;; amdgpu-corpus repo=ggml-org/llama.cpp kind=compiled arch=gfx950 opt=O3
	.amdgcn_target "amdgcn-amd-amdhsa--gfx950"
	.amdhsa_code_object_version 6
	.section	.text._ZL15flash_attn_tileILi512ELi512ELi4ELi8ELb0EEvPKcS1_S1_S1_S1_PKiPfP15HIP_vector_typeIfLj2EEffffjfiS5_IjLj3EEiiiiiiiiiiiliiliiiiil,"axG",@progbits,_ZL15flash_attn_tileILi512ELi512ELi4ELi8ELb0EEvPKcS1_S1_S1_S1_PKiPfP15HIP_vector_typeIfLj2EEffffjfiS5_IjLj3EEiiiiiiiiiiiliiliiiiil,comdat
	.globl	_ZL15flash_attn_tileILi512ELi512ELi4ELi8ELb0EEvPKcS1_S1_S1_S1_PKiPfP15HIP_vector_typeIfLj2EEffffjfiS5_IjLj3EEiiiiiiiiiiiliiliiiiil ; -- Begin function _ZL15flash_attn_tileILi512ELi512ELi4ELi8ELb0EEvPKcS1_S1_S1_S1_PKiPfP15HIP_vector_typeIfLj2EEffffjfiS5_IjLj3EEiiiiiiiiiiiliiliiiiil
	.p2align	8
	.type	_ZL15flash_attn_tileILi512ELi512ELi4ELi8ELb0EEvPKcS1_S1_S1_S1_PKiPfP15HIP_vector_typeIfLj2EEffffjfiS5_IjLj3EEiiiiiiiiiiiliiliiiiil,@function
_ZL15flash_attn_tileILi512ELi512ELi4ELi8ELb0EEvPKcS1_S1_S1_S1_PKiPfP15HIP_vector_typeIfLj2EEffffjfiS5_IjLj3EEiiiiiiiiiiiliiliiiiil: ; @_ZL15flash_attn_tileILi512ELi512ELi4ELi8ELb0EEvPKcS1_S1_S1_S1_PKiPfP15HIP_vector_typeIfLj2EEffffjfiS5_IjLj3EEiiiiiiiiiiiliiliiiiil
; %bb.0:
	s_load_dwordx4 s[20:23], s[0:1], 0x5c
	s_load_dwordx2 s[24:25], s[0:1], 0x80
	s_load_dwordx2 s[28:29], s[0:1], 0xb8
	s_mov_b64 s[26:27], 0
	s_waitcnt lgkmcnt(0)
	s_ashr_i32 s5, s23, 31
	s_lshr_b32 s5, s5, 29
	s_add_i32 s5, s23, s5
	s_ashr_i32 s5, s5, 3
	v_cvt_f32_u32_e32 v1, s5
	s_sub_i32 s6, 0, s5
	v_rcp_iflag_f32_e32 v1, v1
	s_nop 0
	v_mul_f32_e32 v1, 0x4f7ffffe, v1
	v_cvt_u32_f32_e32 v1, v1
	s_nop 0
	v_readfirstlane_b32 s7, v1
	s_mul_i32 s6, s6, s7
	s_mul_hi_u32 s6, s7, s6
	s_add_i32 s7, s7, s6
	s_mul_hi_u32 s6, s4, s7
	s_mul_i32 s7, s6, s5
	s_sub_i32 s7, s4, s7
	s_add_i32 s8, s6, 1
	s_sub_i32 s9, s7, s5
	s_cmp_ge_u32 s7, s5
	s_cselect_b32 s6, s8, s6
	s_cselect_b32 s7, s9, s7
	s_add_i32 s8, s6, 1
	s_cmp_ge_u32 s7, s5
	s_cselect_b32 s30, s8, s6
	s_abs_i32 s5, s25
	v_cvt_f32_u32_e32 v1, s5
	s_lshl_b32 s4, s4, 3
	s_mul_i32 s8, s30, s23
	s_xor_b32 s6, s23, s25
	v_rcp_iflag_f32_e32 v1, v1
	s_sub_i32 s9, 0, s5
	s_sub_i32 s25, s4, s8
	s_abs_i32 s7, s23
	v_mul_f32_e32 v1, 0x4f7ffffe, v1
	v_cvt_u32_f32_e32 v1, v1
	s_ashr_i32 s6, s6, 31
	v_readfirstlane_b32 s4, v1
	s_mul_i32 s9, s9, s4
	s_mul_hi_u32 s8, s4, s9
	s_add_i32 s4, s4, s8
	s_mul_hi_u32 s4, s7, s4
	s_mul_i32 s8, s4, s5
	s_sub_i32 s7, s7, s8
	s_add_i32 s9, s4, 1
	s_sub_i32 s8, s7, s5
	s_cmp_ge_u32 s7, s5
	s_cselect_b32 s4, s9, s4
	s_cselect_b32 s7, s8, s7
	s_add_i32 s8, s4, 1
	s_cmp_ge_u32 s7, s5
	s_cselect_b32 s4, s8, s4
	s_xor_b32 s4, s4, s6
	s_sub_i32 s33, s4, s6
	s_abs_i32 s31, s33
	v_cvt_f32_u32_e32 v1, s31
	s_load_dwordx16 s[4:19], s[0:1], 0x0
	v_rcp_iflag_f32_e32 v1, v1
	s_waitcnt lgkmcnt(0)
	s_cmp_eq_u64 s[10:11], 0
	v_mul_f32_e32 v1, 0x4f7ffffe, v1
	v_cvt_u32_f32_e32 v1, v1
	s_nop 0
	v_readfirstlane_b32 s34, v1
	s_cbranch_scc1 .LBB0_2
; %bb.1:
	s_abs_i32 s28, s28
	v_cvt_f32_u32_e32 v1, s28
	s_sub_i32 s37, 0, s28
	s_abs_i32 s36, s30
	s_ashr_i32 s35, s30, 31
	v_rcp_iflag_f32_e32 v1, v1
	s_load_dwordx2 s[26:27], s[0:1], 0xc8
	v_mul_f32_e32 v1, 0x4f7ffffe, v1
	v_cvt_u32_f32_e32 v1, v1
	s_nop 0
	v_readfirstlane_b32 s38, v1
	s_mul_i32 s37, s37, s38
	s_mul_hi_u32 s37, s38, s37
	s_add_i32 s38, s38, s37
	s_mul_hi_u32 s37, s36, s38
	s_mul_i32 s37, s37, s28
	s_sub_i32 s36, s36, s37
	s_sub_i32 s37, s36, s28
	s_cmp_ge_u32 s36, s28
	s_cselect_b32 s36, s37, s36
	s_sub_i32 s37, s36, s28
	s_cmp_ge_u32 s36, s28
	s_cselect_b32 s28, s37, s36
	s_xor_b32 s28, s28, s35
	s_sub_i32 s28, s28, s35
	s_ashr_i32 s35, s28, 31
	s_waitcnt lgkmcnt(0)
	s_mul_hi_u32 s36, s26, s28
	s_mul_i32 s35, s26, s35
	s_mul_i32 s27, s27, s28
	s_add_i32 s35, s36, s35
	s_add_i32 s35, s35, s27
	s_mul_i32 s26, s26, s28
	s_add_u32 s26, s10, s26
	s_addc_u32 s27, s11, s35
.LBB0_2:
	s_load_dwordx4 s[36:39], s[0:1], 0x70
	v_lshrrev_b32_e32 v2, 10, v0
	v_bfe_u32 v2, v2, 2, 8
	v_lshl_add_u32 v13, s2, 2, v2
	v_mul_hi_u32 v2, s20, v13
	s_waitcnt lgkmcnt(0)
	s_mul_i32 s10, s30, s38
	s_ashr_i32 s28, s10, 31
	s_mul_i32 s11, s25, s37
	s_add_u32 s4, s4, s10
	s_addc_u32 s5, s5, s28
	s_ashr_i32 s10, s11, 31
	v_add_u32_e32 v2, v13, v2
	s_add_u32 s4, s4, s11
	v_lshrrev_b32_e32 v2, s21, v2
	s_addc_u32 s5, s5, s10
	s_ashr_i32 s11, s37, 31
	s_mov_b32 s10, s37
	v_mul_lo_u32 v2, v2, s22
	s_ashr_i32 s37, s36, 31
	v_sub_u32_e32 v2, v13, v2
	s_lshr_b64 s[20:21], s[36:37], 2
	v_mad_u64_u32 v[4:5], s[20:21], s20, v2, 0
	s_lshr_b64 s[38:39], s[10:11], 2
	v_mov_b32_e32 v6, v5
	s_lshr_b32 s10, s37, 2
	v_bfe_u32 v1, v0, 10, 10
	v_mad_u64_u32 v[6:7], s[20:21], s10, v2, v[6:7]
	v_lshlrev_b32_e32 v3, 1, v1
	v_mov_b32_e32 v5, v6
	v_and_b32_e32 v12, 0x3ff, v0
	v_mov_b32_e32 v7, 0
	v_lshl_add_u64 v[4:5], v[4:5], 2, s[4:5]
	v_lshlrev_b32_e32 v6, 4, v12
	v_and_b32_e32 v28, 6, v3
	v_lshl_add_u64 v[22:23], v[4:5], 0, v[6:7]
	v_mad_u64_u32 v[4:5], s[4:5], s38, v28, 0
	v_mov_b32_e32 v0, v5
	s_lshr_b32 s10, s11, 2
	v_mad_u64_u32 v[6:7], s[4:5], s10, v28, v[0:1]
	v_mov_b32_e32 v5, v6
	v_lshl_add_u64 v[24:25], v[4:5], 2, v[22:23]
	global_load_dwordx4 v[4:7], v[24:25], off
	global_load_dwordx4 v[8:11], v[24:25], off offset:512
	global_load_dwordx4 v[14:17], v[24:25], off offset:1024
	;; [unrolled: 1-line block ×3, first 2 shown]
	v_bitop3_b32 v26, v3, 7, 1 bitop3:0xc8
	v_mad_u64_u32 v[24:25], s[4:5], s38, v26, 0
	v_mov_b32_e32 v0, v25
	v_mad_u64_u32 v[26:27], s[4:5], s10, v26, v[0:1]
	v_mov_b32_e32 v25, v26
	v_lshl_add_u64 v[26:27], v[24:25], 2, v[22:23]
	global_load_dwordx4 v[22:25], v[26:27], off
	global_load_dwordx4 v[32:35], v[26:27], off offset:512
	global_load_dwordx4 v[36:39], v[26:27], off offset:1024
	;; [unrolled: 1-line block ×3, first 2 shown]
	s_load_dword s4, s[0:1], 0x40
	v_lshlrev_b32_e32 v0, 3, v12
	v_lshlrev_b32_e32 v30, 11, v1
	v_add_u32_e32 v29, v0, v30
	v_or_b32_e32 v3, 1, v3
	v_lshl_add_u32 v3, v3, 10, v0
	s_cmp_eq_u64 s[14:15], 0
	s_waitcnt vmcnt(7) lgkmcnt(0)
	v_fma_mixlo_f16 v4, s4, v4, 0
	v_fma_mixlo_f16 v5, s4, v5, 0
	;; [unrolled: 1-line block ×4, first 2 shown]
	s_waitcnt vmcnt(6)
	v_fma_mixlo_f16 v8, s4, v8, 0
	v_fma_mixlo_f16 v9, s4, v9, 0
	;; [unrolled: 1-line block ×4, first 2 shown]
	v_lshlrev_b32_e32 v5, 16, v5
	v_and_b32_e32 v4, 0xffff, v4
	v_lshlrev_b32_e32 v7, 16, v7
	v_and_b32_e32 v6, 0xffff, v6
	;; [unrolled: 2-line block ×4, first 2 shown]
	v_or_b32_e32 v4, v5, v4
	v_or3_b32 v5, v7, v6, 0
	v_or_b32_e32 v6, v9, v8
	s_waitcnt vmcnt(5)
	v_fma_mixlo_f16 v14, s4, v14, 0
	v_fma_mixlo_f16 v15, s4, v15, 0
	s_waitcnt vmcnt(4)
	v_fma_mixlo_f16 v18, s4, v18, 0
	v_fma_mixlo_f16 v19, s4, v19, 0
	v_or3_b32 v7, v11, v10, 0
	v_or3_b32 v4, 0, 0, v4
	;; [unrolled: 1-line block ×3, first 2 shown]
	v_fma_mixlo_f16 v16, s4, v16, 0
	v_fma_mixlo_f16 v17, s4, v17, 0
	v_lshlrev_b32_e32 v15, 16, v15
	v_and_b32_e32 v14, 0xffff, v14
	v_lshlrev_b32_e32 v19, 16, v19
	v_and_b32_e32 v18, 0xffff, v18
	ds_write2_b64 v29, v[4:5], v[6:7] offset1:32
	v_fma_mixlo_f16 v4, s4, v20, 0
	v_fma_mixlo_f16 v5, s4, v21, 0
	v_lshlrev_b32_e32 v17, 16, v17
	v_and_b32_e32 v16, 0xffff, v16
	v_or_b32_e32 v8, v15, v14
	v_or_b32_e32 v10, v19, v18
	v_lshlrev_b32_e32 v5, 16, v5
	v_and_b32_e32 v4, 0xffff, v4
	v_or3_b32 v9, v17, v16, 0
	v_or3_b32 v8, 0, 0, v8
	;; [unrolled: 1-line block ×4, first 2 shown]
	ds_write2_b64 v29, v[8:9], v[4:5] offset0:64 offset1:96
	s_waitcnt vmcnt(3)
	v_fma_mixlo_f16 v4, s4, v22, 0
	v_fma_mixlo_f16 v5, s4, v23, 0
	v_lshlrev_b32_e32 v5, 16, v5
	v_and_b32_e32 v4, 0xffff, v4
	v_or_b32_e32 v4, v5, v4
	v_fma_mixlo_f16 v5, s4, v24, 0
	v_fma_mixlo_f16 v6, s4, v25, 0
	v_lshlrev_b32_e32 v6, 16, v6
	v_and_b32_e32 v5, 0xffff, v5
	v_or3_b32 v5, v6, v5, 0
	s_waitcnt vmcnt(2)
	v_fma_mixlo_f16 v6, s4, v32, 0
	v_fma_mixlo_f16 v7, s4, v33, 0
	v_lshlrev_b32_e32 v7, 16, v7
	v_and_b32_e32 v6, 0xffff, v6
	v_or_b32_e32 v6, v7, v6
	v_fma_mixlo_f16 v7, s4, v34, 0
	v_fma_mixlo_f16 v8, s4, v35, 0
	v_lshlrev_b32_e32 v8, 16, v8
	v_and_b32_e32 v7, 0xffff, v7
	v_or3_b32 v4, 0, 0, v4
	v_or3_b32 v7, v8, v7, 0
	;; [unrolled: 1-line block ×3, first 2 shown]
	ds_write2_b64 v3, v[4:5], v[6:7] offset1:32
	s_waitcnt vmcnt(1)
	v_fma_mixlo_f16 v4, s4, v36, 0
	v_fma_mixlo_f16 v5, s4, v37, 0
	v_lshlrev_b32_e32 v5, 16, v5
	v_and_b32_e32 v4, 0xffff, v4
	v_or_b32_e32 v4, v5, v4
	v_fma_mixlo_f16 v5, s4, v38, 0
	v_fma_mixlo_f16 v6, s4, v39, 0
	v_lshlrev_b32_e32 v6, 16, v6
	v_and_b32_e32 v5, 0xffff, v5
	v_or3_b32 v5, v6, v5, 0
	s_waitcnt vmcnt(0)
	v_fma_mixlo_f16 v6, s4, v40, 0
	v_fma_mixlo_f16 v7, s4, v41, 0
	v_lshlrev_b32_e32 v7, 16, v7
	v_and_b32_e32 v6, 0xffff, v6
	v_or_b32_e32 v6, v7, v6
	v_fma_mixlo_f16 v7, s4, v42, 0
	v_fma_mixlo_f16 v8, s4, v43, 0
	v_lshlrev_b32_e32 v8, 16, v8
	v_and_b32_e32 v7, 0xffff, v7
	v_or3_b32 v4, 0, 0, v4
	v_or3_b32 v7, v8, v7, 0
	;; [unrolled: 1-line block ×3, first 2 shown]
	ds_write2_b64 v3, v[4:5], v[6:7] offset0:64 offset1:96
	s_waitcnt lgkmcnt(0)
	s_barrier
	s_cbranch_scc1 .LBB0_4
; %bb.3:
	s_load_dword s4, s[0:1], 0xd0
	s_mov_b32 s5, 0
	s_waitcnt lgkmcnt(0)
	s_mul_i32 s4, s4, s30
	s_add_i32 s4, s4, s2
	s_lshl_b64 s[4:5], s[4:5], 2
	s_add_u32 s4, s14, s4
	s_addc_u32 s5, s15, s5
	s_load_dword s24, s[4:5], 0x0
.LBB0_4:
	s_lshl_b32 s2, s3, 7
	v_lshlrev_b32_e32 v29, 2, v12
	s_waitcnt lgkmcnt(0)
	s_cmp_lt_i32 s2, s24
	v_mbcnt_lo_u32_b32 v3, -1, 0
	s_cbranch_scc1 .LBB0_7
; %bb.5:
	v_mbcnt_hi_u32_b32 v23, -1, v3
	v_and_b32_e32 v4, 0x60, v23
	v_add_u32_e32 v31, 32, v4
	v_xor_b32_e32 v36, 16, v23
	v_xor_b32_e32 v35, 8, v23
	;; [unrolled: 1-line block ×5, first 2 shown]
	s_cbranch_execz .LBB0_8
; %bb.6:
	v_mov_b32_e32 v15, 0
	v_mov_b32_e32 v27, 0xfeffffff
	;; [unrolled: 1-line block ×20, first 2 shown]
	s_branch .LBB0_10
.LBB0_7:
                                        ; implicit-def: $vgpr23
                                        ; implicit-def: $vgpr31
                                        ; implicit-def: $vgpr36
                                        ; implicit-def: $vgpr35
                                        ; implicit-def: $vgpr34
                                        ; implicit-def: $vgpr33
                                        ; implicit-def: $vgpr32
.LBB0_8:
	s_sub_i32 s4, 0, s31
	s_mul_i32 s4, s4, s34
	s_mul_hi_u32 s4, s34, s4
	s_add_i32 s34, s34, s4
	s_load_dwordx2 s[4:5], s[0:1], 0x8c
	s_load_dwordx4 s[36:39], s[0:1], 0x98
	s_abs_i32 s20, s25
	s_mul_hi_u32 s21, s20, s34
	s_ashr_i32 s28, s25, 31
	s_waitcnt lgkmcnt(0)
	s_ashr_i32 s11, s4, 2
	s_ashr_i32 s4, s30, 31
	s_mul_hi_u32 s34, s36, s30
	s_mul_i32 s35, s36, s4
	s_add_i32 s34, s34, s35
	s_mul_i32 s35, s37, s30
	s_ashr_i32 s33, s33, 31
	s_ashr_i32 s10, s38, 2
	s_ashr_i32 s29, s29, 1
	s_add_i32 s34, s34, s35
	s_mul_i32 s35, s36, s30
	s_add_u32 s6, s6, s35
	s_addc_u32 s7, s7, s34
	s_xor_b32 s28, s28, s33
	s_mul_i32 s33, s21, s31
	s_sub_i32 s20, s20, s33
	s_add_i32 s33, s21, 1
	s_sub_i32 s34, s20, s31
	s_cmp_ge_u32 s20, s31
	s_cselect_b32 s21, s33, s21
	s_cselect_b32 s20, s34, s20
	s_add_i32 s33, s21, 1
	s_cmp_ge_u32 s20, s31
	s_load_dwordx2 s[14:15], s[0:1], 0xa8
	s_cselect_b32 s20, s33, s21
	s_xor_b32 s20, s20, s28
	s_sub_i32 s20, s20, s28
	s_mul_i32 s5, s20, s5
	s_ashr_i32 s21, s5, 31
	s_add_u32 s6, s6, s5
	s_waitcnt lgkmcnt(0)
	s_mul_hi_u32 s5, s14, s30
	s_mul_i32 s4, s14, s4
	s_addc_u32 s7, s7, s21
	s_add_i32 s4, s5, s4
	s_mul_i32 s5, s15, s30
	s_add_i32 s4, s4, s5
	s_mul_i32 s5, s14, s30
	s_add_u32 s5, s8, s5
	s_mul_i32 s20, s20, s39
	s_addc_u32 s8, s9, s4
	s_ashr_i32 s9, s20, 31
	v_lshrrev_b32_e32 v4, 3, v12
	s_add_u32 s4, s5, s20
	v_lshl_add_u32 v5, v1, 2, v4
	v_and_b32_e32 v4, 28, v29
	s_addc_u32 s5, s8, s9
	v_lshlrev_b32_e32 v6, 2, v4
	s_movk_i32 s8, 0x90
	v_mad_u32_u24 v6, v5, s8, v6
	v_mul_lo_u32 v18, s11, v5
	v_mov_b32_e32 v5, 0x8000
	v_add_u32_e32 v37, 0x8000, v6
	v_add_u32_e32 v38, 0xa400, v6
	v_mad_u32_u24 v39, v12, s8, v5
	v_mad_u64_u32 v[22:23], s[8:9], v2, s29, v[12:13]
	v_mul_lo_u32 v6, s10, v1
	v_mov_b32_e32 v2, 0xc800
	v_lshlrev_b32_e32 v16, 2, v29
	v_ashrrev_i32_e32 v7, 31, v6
	v_mbcnt_hi_u32_b32 v23, -1, v3
	v_mov_b32_e32 v17, 0
	v_lshl_add_u32 v20, s11, 6, v18
	v_lshl_add_u32 v40, v1, 9, v2
	;; [unrolled: 1-line block ×3, first 2 shown]
	v_lshl_add_u64 v[6:7], v[6:7], 2, s[4:5]
	v_or_b32_e32 v43, 0x8000, v0
	s_add_u32 s4, s0, 0xd0
	v_mov_b32_e32 v26, 0xfeffffff
	v_and_b32_e32 v0, 0x60, v23
	v_ashrrev_i32_e32 v19, 31, v18
	v_ashrrev_i32_e32 v21, 31, v20
	v_add_u32_e32 v41, 0x8000, v2
	v_add_u32_e32 v42, 0x8200, v2
	s_addc_u32 s5, s1, 0
	v_lshl_add_u64 v[24:25], v[6:7], 0, v[16:17]
	v_lshlrev_b32_e32 v16, 2, v4
	v_add_u32_e32 v31, 32, v0
	v_xor_b32_e32 v36, 16, v23
	v_xor_b32_e32 v35, 8, v23
	;; [unrolled: 1-line block ×5, first 2 shown]
	s_mov_b32 s8, 0x3fb8aa3b
	s_mov_b32 s9, 0xc2ce8ed0
	;; [unrolled: 1-line block ×3, first 2 shown]
	v_mov_b32_e32 v44, 0x7f800000
	s_mov_b32 s15, 0x10001
	v_add_u32_e32 v45, v40, v29
	v_add_u32_e32 v46, 0x800, v43
	;; [unrolled: 1-line block ×8, first 2 shown]
	v_mov_b32_e32 v7, v17
	v_mov_b32_e32 v8, v17
	;; [unrolled: 1-line block ×19, first 2 shown]
.LBB0_9:                                ; =>This Inner Loop Header: Depth=1
	s_mul_hi_i32 s21, s2, s11
	s_mul_i32 s20, s2, s11
	s_lshl_b64 s[20:21], s[20:21], 2
	s_add_u32 s20, s6, s20
	s_addc_u32 s21, s7, s21
	v_lshl_add_u64 v[0:1], v[18:19], 2, s[20:21]
	v_lshl_add_u64 v[0:1], v[0:1], 0, v[16:17]
	global_load_dwordx4 v[64:67], v[0:1], off
	v_lshl_add_u64 v[2:3], v[20:21], 2, s[20:21]
	v_lshl_add_u64 v[2:3], v[2:3], 0, v[16:17]
	v_mov_b32_e32 v62, v26
	v_mov_b32_e32 v26, 0
	v_mov_b32_e32 v4, v27
	v_mov_b32_e32 v27, 0
	v_mov_b32_e32 v63, 0
	v_cmp_lt_i32_e32 vcc, v36, v31
	s_mul_hi_i32 s21, s2, s10
	s_mul_i32 s20, s2, s10
	s_waitcnt vmcnt(0)
	ds_write_b128 v37, v[64:67]
	global_load_dwordx4 v[64:67], v[2:3], off
	s_waitcnt vmcnt(0)
	ds_write_b128 v38, v[64:67]
	s_waitcnt lgkmcnt(0)
	s_barrier
	ds_read_b128 v[64:67], v39
	ds_read_b128 v[68:71], v39 offset:4608
	ds_read_b128 v[72:75], v39 offset:9216
	;; [unrolled: 1-line block ×3, first 2 shown]
	ds_read_b128 v[80:83], v30
	ds_read_b128 v[84:87], v30 offset:1024
	s_waitcnt lgkmcnt(1)
	;;#ASMSTART
	v_dot2_f32_f16 v26, v64, v80, v26
	;;#ASMEND
	s_nop 0
	;;#ASMSTART
	v_dot2_f32_f16 v26, v65, v81, v26
	;;#ASMEND
	s_nop 0
	;; [unrolled: 4-line block ×3, first 2 shown]
	;;#ASMSTART
	v_dot2_f32_f16 v26, v67, v83, v26
	;;#ASMEND
	s_waitcnt lgkmcnt(0)
	;;#ASMSTART
	v_dot2_f32_f16 v27, v64, v84, v27
	;;#ASMEND
	v_mov_b32_e32 v64, 0
	;;#ASMSTART
	v_dot2_f32_f16 v27, v65, v85, v27
	;;#ASMEND
	v_mov_b32_e32 v65, 0
	;; [unrolled: 4-line block ×3, first 2 shown]
	;;#ASMSTART
	v_dot2_f32_f16 v27, v67, v87, v27
	;;#ASMEND
	;;#ASMSTART
	v_dot2_f32_f16 v64, v68, v80, v64
	;;#ASMEND
	v_mov_b32_e32 v67, 0
	;;#ASMSTART
	v_dot2_f32_f16 v64, v69, v81, v64
	;;#ASMEND
	s_nop 0
	;;#ASMSTART
	v_dot2_f32_f16 v64, v70, v82, v64
	;;#ASMEND
	s_nop 0
	;;#ASMSTART
	v_dot2_f32_f16 v64, v71, v83, v64
	;;#ASMEND
	;;#ASMSTART
	v_dot2_f32_f16 v63, v68, v84, v63
	;;#ASMEND
	v_mov_b32_e32 v68, 0
	;;#ASMSTART
	v_dot2_f32_f16 v63, v69, v85, v63
	;;#ASMEND
	s_nop 0
	;;#ASMSTART
	v_dot2_f32_f16 v63, v70, v86, v63
	;;#ASMEND
	s_nop 0
	;;#ASMSTART
	v_dot2_f32_f16 v63, v71, v87, v63
	;;#ASMEND
	;;#ASMSTART
	v_dot2_f32_f16 v66, v72, v80, v66
	;;#ASMEND
	s_nop 0
	;;#ASMSTART
	v_dot2_f32_f16 v66, v73, v81, v66
	;;#ASMEND
	s_nop 0
	;;#ASMSTART
	v_dot2_f32_f16 v66, v74, v82, v66
	;;#ASMEND
	s_nop 0
	;;#ASMSTART
	v_dot2_f32_f16 v66, v75, v83, v66
	;;#ASMEND
	;;#ASMSTART
	v_dot2_f32_f16 v65, v72, v84, v65
	;;#ASMEND
	s_nop 0
	;; [unrolled: 15-line block ×4, first 2 shown]
	;;#ASMSTART
	v_dot2_f32_f16 v67, v77, v85, v67
	;;#ASMEND
	s_nop 0
	;;#ASMSTART
	v_dot2_f32_f16 v67, v78, v86, v67
	;;#ASMEND
	s_nop 0
	;;#ASMSTART
	v_dot2_f32_f16 v67, v79, v87, v67
	;;#ASMEND
	ds_read_b128 v[70:73], v39 offset:16
	ds_read_b128 v[74:77], v39 offset:4624
	;; [unrolled: 1-line block ×6, first 2 shown]
	s_waitcnt lgkmcnt(1)
	;;#ASMSTART
	v_dot2_f32_f16 v26, v70, v86, v26
	;;#ASMEND
	s_nop 0
	;;#ASMSTART
	v_dot2_f32_f16 v26, v71, v87, v26
	;;#ASMEND
	s_nop 0
	;; [unrolled: 4-line block ×3, first 2 shown]
	;;#ASMSTART
	v_dot2_f32_f16 v26, v73, v89, v26
	;;#ASMEND
	s_waitcnt lgkmcnt(0)
	;;#ASMSTART
	v_dot2_f32_f16 v27, v70, v90, v27
	;;#ASMEND
	s_nop 0
	;;#ASMSTART
	v_dot2_f32_f16 v27, v71, v91, v27
	;;#ASMEND
	s_nop 0
	;;#ASMSTART
	v_dot2_f32_f16 v27, v72, v92, v27
	;;#ASMEND
	s_nop 0
	;;#ASMSTART
	v_dot2_f32_f16 v27, v73, v93, v27
	;;#ASMEND
	;;#ASMSTART
	v_dot2_f32_f16 v64, v74, v86, v64
	;;#ASMEND
	s_nop 0
	;;#ASMSTART
	v_dot2_f32_f16 v64, v75, v87, v64
	;;#ASMEND
	s_nop 0
	;;#ASMSTART
	v_dot2_f32_f16 v64, v76, v88, v64
	;;#ASMEND
	s_nop 0
	;;#ASMSTART
	v_dot2_f32_f16 v64, v77, v89, v64
	;;#ASMEND
	;; [unrolled: 15-line block ×7, first 2 shown]
	ds_read_b128 v[70:73], v39 offset:32
	ds_read_b128 v[74:77], v39 offset:4640
	;; [unrolled: 1-line block ×6, first 2 shown]
	s_waitcnt lgkmcnt(1)
	;;#ASMSTART
	v_dot2_f32_f16 v26, v70, v86, v26
	;;#ASMEND
	s_nop 0
	;;#ASMSTART
	v_dot2_f32_f16 v26, v71, v87, v26
	;;#ASMEND
	s_nop 0
	;; [unrolled: 4-line block ×3, first 2 shown]
	;;#ASMSTART
	v_dot2_f32_f16 v26, v73, v89, v26
	;;#ASMEND
	s_waitcnt lgkmcnt(0)
	;;#ASMSTART
	v_dot2_f32_f16 v27, v70, v90, v27
	;;#ASMEND
	s_nop 0
	;;#ASMSTART
	v_dot2_f32_f16 v27, v71, v91, v27
	;;#ASMEND
	s_nop 0
	;;#ASMSTART
	v_dot2_f32_f16 v27, v72, v92, v27
	;;#ASMEND
	s_nop 0
	;;#ASMSTART
	v_dot2_f32_f16 v27, v73, v93, v27
	;;#ASMEND
	;;#ASMSTART
	v_dot2_f32_f16 v64, v74, v86, v64
	;;#ASMEND
	s_nop 0
	;;#ASMSTART
	v_dot2_f32_f16 v64, v75, v87, v64
	;;#ASMEND
	s_nop 0
	;;#ASMSTART
	v_dot2_f32_f16 v64, v76, v88, v64
	;;#ASMEND
	s_nop 0
	;;#ASMSTART
	v_dot2_f32_f16 v64, v77, v89, v64
	;;#ASMEND
	;; [unrolled: 15-line block ×7, first 2 shown]
	ds_read_b128 v[70:73], v39 offset:48
	ds_read_b128 v[74:77], v39 offset:4656
	;; [unrolled: 1-line block ×6, first 2 shown]
	s_waitcnt lgkmcnt(1)
	;;#ASMSTART
	v_dot2_f32_f16 v26, v70, v86, v26
	;;#ASMEND
	s_nop 0
	;;#ASMSTART
	v_dot2_f32_f16 v26, v71, v87, v26
	;;#ASMEND
	s_nop 0
	;; [unrolled: 4-line block ×3, first 2 shown]
	;;#ASMSTART
	v_dot2_f32_f16 v26, v73, v89, v26
	;;#ASMEND
	s_waitcnt lgkmcnt(0)
	;;#ASMSTART
	v_dot2_f32_f16 v27, v70, v90, v27
	;;#ASMEND
	s_nop 0
	;;#ASMSTART
	v_dot2_f32_f16 v27, v71, v91, v27
	;;#ASMEND
	s_nop 0
	;;#ASMSTART
	v_dot2_f32_f16 v27, v72, v92, v27
	;;#ASMEND
	s_nop 0
	;;#ASMSTART
	v_dot2_f32_f16 v27, v73, v93, v27
	;;#ASMEND
	;;#ASMSTART
	v_dot2_f32_f16 v64, v74, v86, v64
	;;#ASMEND
	s_nop 0
	;;#ASMSTART
	v_dot2_f32_f16 v64, v75, v87, v64
	;;#ASMEND
	s_nop 0
	;;#ASMSTART
	v_dot2_f32_f16 v64, v76, v88, v64
	;;#ASMEND
	s_nop 0
	;;#ASMSTART
	v_dot2_f32_f16 v64, v77, v89, v64
	;;#ASMEND
	;; [unrolled: 15-line block ×7, first 2 shown]
	ds_read_b128 v[70:73], v39 offset:64
	ds_read_b128 v[74:77], v39 offset:4672
	;; [unrolled: 1-line block ×6, first 2 shown]
	s_waitcnt lgkmcnt(1)
	;;#ASMSTART
	v_dot2_f32_f16 v26, v70, v86, v26
	;;#ASMEND
	s_nop 0
	;;#ASMSTART
	v_dot2_f32_f16 v26, v71, v87, v26
	;;#ASMEND
	s_nop 0
	;; [unrolled: 4-line block ×3, first 2 shown]
	;;#ASMSTART
	v_dot2_f32_f16 v26, v73, v89, v26
	;;#ASMEND
	s_waitcnt lgkmcnt(0)
	;;#ASMSTART
	v_dot2_f32_f16 v27, v70, v90, v27
	;;#ASMEND
	s_nop 0
	;;#ASMSTART
	v_dot2_f32_f16 v27, v71, v91, v27
	;;#ASMEND
	s_nop 0
	;;#ASMSTART
	v_dot2_f32_f16 v27, v72, v92, v27
	;;#ASMEND
	s_nop 0
	;;#ASMSTART
	v_dot2_f32_f16 v27, v73, v93, v27
	;;#ASMEND
	;;#ASMSTART
	v_dot2_f32_f16 v64, v74, v86, v64
	;;#ASMEND
	s_nop 0
	;;#ASMSTART
	v_dot2_f32_f16 v64, v75, v87, v64
	;;#ASMEND
	s_nop 0
	;;#ASMSTART
	v_dot2_f32_f16 v64, v76, v88, v64
	;;#ASMEND
	s_nop 0
	;;#ASMSTART
	v_dot2_f32_f16 v64, v77, v89, v64
	;;#ASMEND
	;; [unrolled: 15-line block ×7, first 2 shown]
	ds_read_b128 v[70:73], v39 offset:80
	ds_read_b128 v[74:77], v39 offset:4688
	;; [unrolled: 1-line block ×6, first 2 shown]
	s_waitcnt lgkmcnt(1)
	;;#ASMSTART
	v_dot2_f32_f16 v26, v70, v86, v26
	;;#ASMEND
	s_nop 0
	;;#ASMSTART
	v_dot2_f32_f16 v26, v71, v87, v26
	;;#ASMEND
	s_nop 0
	;; [unrolled: 4-line block ×3, first 2 shown]
	;;#ASMSTART
	v_dot2_f32_f16 v26, v73, v89, v26
	;;#ASMEND
	s_waitcnt lgkmcnt(0)
	;;#ASMSTART
	v_dot2_f32_f16 v27, v70, v90, v27
	;;#ASMEND
	s_nop 0
	;;#ASMSTART
	v_dot2_f32_f16 v27, v71, v91, v27
	;;#ASMEND
	s_nop 0
	;;#ASMSTART
	v_dot2_f32_f16 v27, v72, v92, v27
	;;#ASMEND
	s_nop 0
	;;#ASMSTART
	v_dot2_f32_f16 v27, v73, v93, v27
	;;#ASMEND
	;;#ASMSTART
	v_dot2_f32_f16 v64, v74, v86, v64
	;;#ASMEND
	s_nop 0
	;;#ASMSTART
	v_dot2_f32_f16 v64, v75, v87, v64
	;;#ASMEND
	s_nop 0
	;;#ASMSTART
	v_dot2_f32_f16 v64, v76, v88, v64
	;;#ASMEND
	s_nop 0
	;;#ASMSTART
	v_dot2_f32_f16 v64, v77, v89, v64
	;;#ASMEND
	;; [unrolled: 15-line block ×7, first 2 shown]
	ds_read_b128 v[70:73], v39 offset:96
	ds_read_b128 v[74:77], v39 offset:4704
	;; [unrolled: 1-line block ×6, first 2 shown]
	s_waitcnt lgkmcnt(1)
	;;#ASMSTART
	v_dot2_f32_f16 v26, v70, v86, v26
	;;#ASMEND
	s_nop 0
	;;#ASMSTART
	v_dot2_f32_f16 v26, v71, v87, v26
	;;#ASMEND
	s_nop 0
	;; [unrolled: 4-line block ×3, first 2 shown]
	;;#ASMSTART
	v_dot2_f32_f16 v26, v73, v89, v26
	;;#ASMEND
	s_waitcnt lgkmcnt(0)
	;;#ASMSTART
	v_dot2_f32_f16 v27, v70, v90, v27
	;;#ASMEND
	s_nop 0
	;;#ASMSTART
	v_dot2_f32_f16 v27, v71, v91, v27
	;;#ASMEND
	s_nop 0
	;;#ASMSTART
	v_dot2_f32_f16 v27, v72, v92, v27
	;;#ASMEND
	s_nop 0
	;;#ASMSTART
	v_dot2_f32_f16 v27, v73, v93, v27
	;;#ASMEND
	;;#ASMSTART
	v_dot2_f32_f16 v64, v74, v86, v64
	;;#ASMEND
	s_nop 0
	;;#ASMSTART
	v_dot2_f32_f16 v64, v75, v87, v64
	;;#ASMEND
	s_nop 0
	;;#ASMSTART
	v_dot2_f32_f16 v64, v76, v88, v64
	;;#ASMEND
	s_nop 0
	;;#ASMSTART
	v_dot2_f32_f16 v64, v77, v89, v64
	;;#ASMEND
	;; [unrolled: 15-line block ×7, first 2 shown]
	ds_read_b128 v[70:73], v39 offset:112
	ds_read_b128 v[74:77], v39 offset:4720
	;; [unrolled: 1-line block ×6, first 2 shown]
	s_waitcnt lgkmcnt(1)
	;;#ASMSTART
	v_dot2_f32_f16 v26, v70, v86, v26
	;;#ASMEND
	s_nop 0
	;;#ASMSTART
	v_dot2_f32_f16 v26, v71, v87, v26
	;;#ASMEND
	s_nop 0
	;; [unrolled: 4-line block ×3, first 2 shown]
	;;#ASMSTART
	v_dot2_f32_f16 v26, v73, v89, v26
	;;#ASMEND
	s_waitcnt lgkmcnt(0)
	;;#ASMSTART
	v_dot2_f32_f16 v27, v70, v90, v27
	;;#ASMEND
	s_nop 0
	;;#ASMSTART
	v_dot2_f32_f16 v27, v71, v91, v27
	;;#ASMEND
	s_nop 0
	;;#ASMSTART
	v_dot2_f32_f16 v27, v72, v92, v27
	;;#ASMEND
	s_nop 0
	;;#ASMSTART
	v_dot2_f32_f16 v27, v73, v93, v27
	;;#ASMEND
	;;#ASMSTART
	v_dot2_f32_f16 v64, v74, v86, v64
	;;#ASMEND
	s_nop 0
	;;#ASMSTART
	v_dot2_f32_f16 v64, v75, v87, v64
	;;#ASMEND
	s_nop 0
	;;#ASMSTART
	v_dot2_f32_f16 v64, v76, v88, v64
	;;#ASMEND
	s_nop 0
	;;#ASMSTART
	v_dot2_f32_f16 v64, v77, v89, v64
	;;#ASMEND
	;; [unrolled: 15-line block ×7, first 2 shown]
	s_barrier
	global_load_dwordx4 v[70:73], v[0:1], off offset:128
	s_waitcnt vmcnt(0)
	ds_write_b128 v37, v[70:73]
	global_load_dwordx4 v[70:73], v[2:3], off offset:128
	s_waitcnt vmcnt(0)
	ds_write_b128 v38, v[70:73]
	s_waitcnt lgkmcnt(0)
	s_barrier
	ds_read_b128 v[70:73], v39
	ds_read_b128 v[74:77], v39 offset:4608
	ds_read_b128 v[78:81], v39 offset:9216
	;; [unrolled: 1-line block ×5, first 2 shown]
	s_waitcnt lgkmcnt(1)
	;;#ASMSTART
	v_dot2_f32_f16 v26, v70, v86, v26
	;;#ASMEND
	s_nop 0
	;;#ASMSTART
	v_dot2_f32_f16 v26, v71, v87, v26
	;;#ASMEND
	s_nop 0
	;;#ASMSTART
	v_dot2_f32_f16 v26, v72, v88, v26
	;;#ASMEND
	s_nop 0
	;;#ASMSTART
	v_dot2_f32_f16 v26, v73, v89, v26
	;;#ASMEND
	s_waitcnt lgkmcnt(0)
	;;#ASMSTART
	v_dot2_f32_f16 v27, v70, v90, v27
	;;#ASMEND
	s_nop 0
	;;#ASMSTART
	v_dot2_f32_f16 v27, v71, v91, v27
	;;#ASMEND
	s_nop 0
	;;#ASMSTART
	v_dot2_f32_f16 v27, v72, v92, v27
	;;#ASMEND
	s_nop 0
	;;#ASMSTART
	v_dot2_f32_f16 v27, v73, v93, v27
	;;#ASMEND
	;;#ASMSTART
	v_dot2_f32_f16 v64, v74, v86, v64
	;;#ASMEND
	s_nop 0
	;;#ASMSTART
	v_dot2_f32_f16 v64, v75, v87, v64
	;;#ASMEND
	s_nop 0
	;;#ASMSTART
	v_dot2_f32_f16 v64, v76, v88, v64
	;;#ASMEND
	s_nop 0
	;;#ASMSTART
	v_dot2_f32_f16 v64, v77, v89, v64
	;;#ASMEND
	;; [unrolled: 15-line block ×7, first 2 shown]
	ds_read_b128 v[70:73], v39 offset:16
	ds_read_b128 v[74:77], v39 offset:4624
	;; [unrolled: 1-line block ×6, first 2 shown]
	s_waitcnt lgkmcnt(1)
	;;#ASMSTART
	v_dot2_f32_f16 v26, v70, v86, v26
	;;#ASMEND
	s_nop 0
	;;#ASMSTART
	v_dot2_f32_f16 v26, v71, v87, v26
	;;#ASMEND
	s_nop 0
	;; [unrolled: 4-line block ×3, first 2 shown]
	;;#ASMSTART
	v_dot2_f32_f16 v26, v73, v89, v26
	;;#ASMEND
	s_waitcnt lgkmcnt(0)
	;;#ASMSTART
	v_dot2_f32_f16 v27, v70, v90, v27
	;;#ASMEND
	s_nop 0
	;;#ASMSTART
	v_dot2_f32_f16 v27, v71, v91, v27
	;;#ASMEND
	s_nop 0
	;;#ASMSTART
	v_dot2_f32_f16 v27, v72, v92, v27
	;;#ASMEND
	s_nop 0
	;;#ASMSTART
	v_dot2_f32_f16 v27, v73, v93, v27
	;;#ASMEND
	;;#ASMSTART
	v_dot2_f32_f16 v64, v74, v86, v64
	;;#ASMEND
	s_nop 0
	;;#ASMSTART
	v_dot2_f32_f16 v64, v75, v87, v64
	;;#ASMEND
	s_nop 0
	;;#ASMSTART
	v_dot2_f32_f16 v64, v76, v88, v64
	;;#ASMEND
	s_nop 0
	;;#ASMSTART
	v_dot2_f32_f16 v64, v77, v89, v64
	;;#ASMEND
	;; [unrolled: 15-line block ×7, first 2 shown]
	ds_read_b128 v[70:73], v39 offset:32
	ds_read_b128 v[74:77], v39 offset:4640
	;; [unrolled: 1-line block ×6, first 2 shown]
	s_waitcnt lgkmcnt(1)
	;;#ASMSTART
	v_dot2_f32_f16 v26, v70, v86, v26
	;;#ASMEND
	s_nop 0
	;;#ASMSTART
	v_dot2_f32_f16 v26, v71, v87, v26
	;;#ASMEND
	s_nop 0
	;; [unrolled: 4-line block ×3, first 2 shown]
	;;#ASMSTART
	v_dot2_f32_f16 v26, v73, v89, v26
	;;#ASMEND
	s_waitcnt lgkmcnt(0)
	;;#ASMSTART
	v_dot2_f32_f16 v27, v70, v90, v27
	;;#ASMEND
	s_nop 0
	;;#ASMSTART
	v_dot2_f32_f16 v27, v71, v91, v27
	;;#ASMEND
	s_nop 0
	;;#ASMSTART
	v_dot2_f32_f16 v27, v72, v92, v27
	;;#ASMEND
	s_nop 0
	;;#ASMSTART
	v_dot2_f32_f16 v27, v73, v93, v27
	;;#ASMEND
	;;#ASMSTART
	v_dot2_f32_f16 v64, v74, v86, v64
	;;#ASMEND
	s_nop 0
	;;#ASMSTART
	v_dot2_f32_f16 v64, v75, v87, v64
	;;#ASMEND
	s_nop 0
	;;#ASMSTART
	v_dot2_f32_f16 v64, v76, v88, v64
	;;#ASMEND
	s_nop 0
	;;#ASMSTART
	v_dot2_f32_f16 v64, v77, v89, v64
	;;#ASMEND
	;; [unrolled: 15-line block ×7, first 2 shown]
	ds_read_b128 v[70:73], v39 offset:48
	ds_read_b128 v[74:77], v39 offset:4656
	;; [unrolled: 1-line block ×6, first 2 shown]
	s_waitcnt lgkmcnt(1)
	;;#ASMSTART
	v_dot2_f32_f16 v26, v70, v86, v26
	;;#ASMEND
	s_nop 0
	;;#ASMSTART
	v_dot2_f32_f16 v26, v71, v87, v26
	;;#ASMEND
	s_nop 0
	;;#ASMSTART
	v_dot2_f32_f16 v26, v72, v88, v26
	;;#ASMEND
	s_nop 0
	;;#ASMSTART
	v_dot2_f32_f16 v26, v73, v89, v26
	;;#ASMEND
	s_waitcnt lgkmcnt(0)
	;;#ASMSTART
	v_dot2_f32_f16 v27, v70, v90, v27
	;;#ASMEND
	s_nop 0
	;;#ASMSTART
	v_dot2_f32_f16 v27, v71, v91, v27
	;;#ASMEND
	s_nop 0
	;;#ASMSTART
	v_dot2_f32_f16 v27, v72, v92, v27
	;;#ASMEND
	s_nop 0
	;;#ASMSTART
	v_dot2_f32_f16 v27, v73, v93, v27
	;;#ASMEND
	;;#ASMSTART
	v_dot2_f32_f16 v64, v74, v86, v64
	;;#ASMEND
	s_nop 0
	;;#ASMSTART
	v_dot2_f32_f16 v64, v75, v87, v64
	;;#ASMEND
	s_nop 0
	;;#ASMSTART
	v_dot2_f32_f16 v64, v76, v88, v64
	;;#ASMEND
	s_nop 0
	;;#ASMSTART
	v_dot2_f32_f16 v64, v77, v89, v64
	;;#ASMEND
	;; [unrolled: 15-line block ×7, first 2 shown]
	ds_read_b128 v[70:73], v39 offset:64
	ds_read_b128 v[74:77], v39 offset:4672
	;; [unrolled: 1-line block ×6, first 2 shown]
	s_waitcnt lgkmcnt(1)
	;;#ASMSTART
	v_dot2_f32_f16 v26, v70, v86, v26
	;;#ASMEND
	s_nop 0
	;;#ASMSTART
	v_dot2_f32_f16 v26, v71, v87, v26
	;;#ASMEND
	s_nop 0
	;; [unrolled: 4-line block ×3, first 2 shown]
	;;#ASMSTART
	v_dot2_f32_f16 v26, v73, v89, v26
	;;#ASMEND
	s_waitcnt lgkmcnt(0)
	;;#ASMSTART
	v_dot2_f32_f16 v27, v70, v90, v27
	;;#ASMEND
	s_nop 0
	;;#ASMSTART
	v_dot2_f32_f16 v27, v71, v91, v27
	;;#ASMEND
	s_nop 0
	;;#ASMSTART
	v_dot2_f32_f16 v27, v72, v92, v27
	;;#ASMEND
	s_nop 0
	;;#ASMSTART
	v_dot2_f32_f16 v27, v73, v93, v27
	;;#ASMEND
	;;#ASMSTART
	v_dot2_f32_f16 v64, v74, v86, v64
	;;#ASMEND
	s_nop 0
	;;#ASMSTART
	v_dot2_f32_f16 v64, v75, v87, v64
	;;#ASMEND
	s_nop 0
	;;#ASMSTART
	v_dot2_f32_f16 v64, v76, v88, v64
	;;#ASMEND
	s_nop 0
	;;#ASMSTART
	v_dot2_f32_f16 v64, v77, v89, v64
	;;#ASMEND
	;; [unrolled: 15-line block ×7, first 2 shown]
	ds_read_b128 v[70:73], v39 offset:80
	ds_read_b128 v[74:77], v39 offset:4688
	;; [unrolled: 1-line block ×6, first 2 shown]
	s_waitcnt lgkmcnt(1)
	;;#ASMSTART
	v_dot2_f32_f16 v26, v70, v86, v26
	;;#ASMEND
	s_nop 0
	;;#ASMSTART
	v_dot2_f32_f16 v26, v71, v87, v26
	;;#ASMEND
	s_nop 0
	;; [unrolled: 4-line block ×3, first 2 shown]
	;;#ASMSTART
	v_dot2_f32_f16 v26, v73, v89, v26
	;;#ASMEND
	s_waitcnt lgkmcnt(0)
	;;#ASMSTART
	v_dot2_f32_f16 v27, v70, v90, v27
	;;#ASMEND
	s_nop 0
	;;#ASMSTART
	v_dot2_f32_f16 v27, v71, v91, v27
	;;#ASMEND
	s_nop 0
	;;#ASMSTART
	v_dot2_f32_f16 v27, v72, v92, v27
	;;#ASMEND
	s_nop 0
	;;#ASMSTART
	v_dot2_f32_f16 v27, v73, v93, v27
	;;#ASMEND
	;;#ASMSTART
	v_dot2_f32_f16 v64, v74, v86, v64
	;;#ASMEND
	s_nop 0
	;;#ASMSTART
	v_dot2_f32_f16 v64, v75, v87, v64
	;;#ASMEND
	s_nop 0
	;;#ASMSTART
	v_dot2_f32_f16 v64, v76, v88, v64
	;;#ASMEND
	s_nop 0
	;;#ASMSTART
	v_dot2_f32_f16 v64, v77, v89, v64
	;;#ASMEND
	;;#ASMSTART
	v_dot2_f32_f16 v63, v74, v90, v63
	;;#ASMEND
	s_nop 0
	;;#ASMSTART
	v_dot2_f32_f16 v63, v75, v91, v63
	;;#ASMEND
	s_nop 0
	;;#ASMSTART
	v_dot2_f32_f16 v63, v76, v92, v63
	;;#ASMEND
	s_nop 0
	;;#ASMSTART
	v_dot2_f32_f16 v63, v77, v93, v63
	;;#ASMEND
	;;#ASMSTART
	v_dot2_f32_f16 v66, v78, v86, v66
	;;#ASMEND
	s_nop 0
	;;#ASMSTART
	v_dot2_f32_f16 v66, v79, v87, v66
	;;#ASMEND
	s_nop 0
	;;#ASMSTART
	v_dot2_f32_f16 v66, v80, v88, v66
	;;#ASMEND
	s_nop 0
	;;#ASMSTART
	v_dot2_f32_f16 v66, v81, v89, v66
	;;#ASMEND
	;;#ASMSTART
	v_dot2_f32_f16 v65, v78, v90, v65
	;;#ASMEND
	s_nop 0
	;;#ASMSTART
	v_dot2_f32_f16 v65, v79, v91, v65
	;;#ASMEND
	s_nop 0
	;;#ASMSTART
	v_dot2_f32_f16 v65, v80, v92, v65
	;;#ASMEND
	s_nop 0
	;;#ASMSTART
	v_dot2_f32_f16 v65, v81, v93, v65
	;;#ASMEND
	;;#ASMSTART
	v_dot2_f32_f16 v68, v82, v86, v68
	;;#ASMEND
	s_nop 0
	;;#ASMSTART
	v_dot2_f32_f16 v68, v83, v87, v68
	;;#ASMEND
	s_nop 0
	;;#ASMSTART
	v_dot2_f32_f16 v68, v84, v88, v68
	;;#ASMEND
	s_nop 0
	;;#ASMSTART
	v_dot2_f32_f16 v68, v85, v89, v68
	;;#ASMEND
	;;#ASMSTART
	v_dot2_f32_f16 v67, v82, v90, v67
	;;#ASMEND
	s_nop 0
	;;#ASMSTART
	v_dot2_f32_f16 v67, v83, v91, v67
	;;#ASMEND
	s_nop 0
	;;#ASMSTART
	v_dot2_f32_f16 v67, v84, v92, v67
	;;#ASMEND
	s_nop 0
	;;#ASMSTART
	v_dot2_f32_f16 v67, v85, v93, v67
	;;#ASMEND
	ds_read_b128 v[70:73], v39 offset:96
	ds_read_b128 v[74:77], v39 offset:4704
	;; [unrolled: 1-line block ×6, first 2 shown]
	s_waitcnt lgkmcnt(1)
	;;#ASMSTART
	v_dot2_f32_f16 v26, v70, v86, v26
	;;#ASMEND
	s_nop 0
	;;#ASMSTART
	v_dot2_f32_f16 v26, v71, v87, v26
	;;#ASMEND
	s_nop 0
	;; [unrolled: 4-line block ×3, first 2 shown]
	;;#ASMSTART
	v_dot2_f32_f16 v26, v73, v89, v26
	;;#ASMEND
	s_waitcnt lgkmcnt(0)
	;;#ASMSTART
	v_dot2_f32_f16 v27, v70, v90, v27
	;;#ASMEND
	s_nop 0
	;;#ASMSTART
	v_dot2_f32_f16 v27, v71, v91, v27
	;;#ASMEND
	s_nop 0
	;;#ASMSTART
	v_dot2_f32_f16 v27, v72, v92, v27
	;;#ASMEND
	s_nop 0
	;;#ASMSTART
	v_dot2_f32_f16 v27, v73, v93, v27
	;;#ASMEND
	;;#ASMSTART
	v_dot2_f32_f16 v64, v74, v86, v64
	;;#ASMEND
	s_nop 0
	;;#ASMSTART
	v_dot2_f32_f16 v64, v75, v87, v64
	;;#ASMEND
	s_nop 0
	;;#ASMSTART
	v_dot2_f32_f16 v64, v76, v88, v64
	;;#ASMEND
	s_nop 0
	;;#ASMSTART
	v_dot2_f32_f16 v64, v77, v89, v64
	;;#ASMEND
	;; [unrolled: 15-line block ×7, first 2 shown]
	ds_read_b128 v[70:73], v39 offset:112
	ds_read_b128 v[74:77], v39 offset:4720
	;; [unrolled: 1-line block ×6, first 2 shown]
	s_waitcnt lgkmcnt(1)
	;;#ASMSTART
	v_dot2_f32_f16 v26, v70, v86, v26
	;;#ASMEND
	s_nop 0
	;;#ASMSTART
	v_dot2_f32_f16 v26, v71, v87, v26
	;;#ASMEND
	s_nop 0
	;; [unrolled: 4-line block ×3, first 2 shown]
	;;#ASMSTART
	v_dot2_f32_f16 v26, v73, v89, v26
	;;#ASMEND
	s_waitcnt lgkmcnt(0)
	;;#ASMSTART
	v_dot2_f32_f16 v27, v70, v90, v27
	;;#ASMEND
	s_nop 0
	;;#ASMSTART
	v_dot2_f32_f16 v27, v71, v91, v27
	;;#ASMEND
	s_nop 0
	;;#ASMSTART
	v_dot2_f32_f16 v27, v72, v92, v27
	;;#ASMEND
	s_nop 0
	;;#ASMSTART
	v_dot2_f32_f16 v27, v73, v93, v27
	;;#ASMEND
	;;#ASMSTART
	v_dot2_f32_f16 v64, v74, v86, v64
	;;#ASMEND
	s_nop 0
	;;#ASMSTART
	v_dot2_f32_f16 v64, v75, v87, v64
	;;#ASMEND
	s_nop 0
	;;#ASMSTART
	v_dot2_f32_f16 v64, v76, v88, v64
	;;#ASMEND
	s_nop 0
	;;#ASMSTART
	v_dot2_f32_f16 v64, v77, v89, v64
	;;#ASMEND
	;; [unrolled: 15-line block ×7, first 2 shown]
	s_barrier
	global_load_dwordx4 v[70:73], v[0:1], off offset:256
	s_waitcnt vmcnt(0)
	ds_write_b128 v37, v[70:73]
	global_load_dwordx4 v[70:73], v[2:3], off offset:256
	s_waitcnt vmcnt(0)
	ds_write_b128 v38, v[70:73]
	s_waitcnt lgkmcnt(0)
	s_barrier
	ds_read_b128 v[70:73], v39
	ds_read_b128 v[74:77], v39 offset:4608
	ds_read_b128 v[78:81], v39 offset:9216
	;; [unrolled: 1-line block ×5, first 2 shown]
	s_waitcnt lgkmcnt(1)
	;;#ASMSTART
	v_dot2_f32_f16 v26, v70, v86, v26
	;;#ASMEND
	s_nop 0
	;;#ASMSTART
	v_dot2_f32_f16 v26, v71, v87, v26
	;;#ASMEND
	s_nop 0
	;; [unrolled: 4-line block ×3, first 2 shown]
	;;#ASMSTART
	v_dot2_f32_f16 v26, v73, v89, v26
	;;#ASMEND
	s_waitcnt lgkmcnt(0)
	;;#ASMSTART
	v_dot2_f32_f16 v27, v70, v90, v27
	;;#ASMEND
	s_nop 0
	;;#ASMSTART
	v_dot2_f32_f16 v27, v71, v91, v27
	;;#ASMEND
	s_nop 0
	;;#ASMSTART
	v_dot2_f32_f16 v27, v72, v92, v27
	;;#ASMEND
	s_nop 0
	;;#ASMSTART
	v_dot2_f32_f16 v27, v73, v93, v27
	;;#ASMEND
	;;#ASMSTART
	v_dot2_f32_f16 v64, v74, v86, v64
	;;#ASMEND
	s_nop 0
	;;#ASMSTART
	v_dot2_f32_f16 v64, v75, v87, v64
	;;#ASMEND
	s_nop 0
	;;#ASMSTART
	v_dot2_f32_f16 v64, v76, v88, v64
	;;#ASMEND
	s_nop 0
	;;#ASMSTART
	v_dot2_f32_f16 v64, v77, v89, v64
	;;#ASMEND
	;;#ASMSTART
	v_dot2_f32_f16 v63, v74, v90, v63
	;;#ASMEND
	s_nop 0
	;;#ASMSTART
	v_dot2_f32_f16 v63, v75, v91, v63
	;;#ASMEND
	s_nop 0
	;;#ASMSTART
	v_dot2_f32_f16 v63, v76, v92, v63
	;;#ASMEND
	s_nop 0
	;;#ASMSTART
	v_dot2_f32_f16 v63, v77, v93, v63
	;;#ASMEND
	;;#ASMSTART
	v_dot2_f32_f16 v66, v78, v86, v66
	;;#ASMEND
	s_nop 0
	;;#ASMSTART
	v_dot2_f32_f16 v66, v79, v87, v66
	;;#ASMEND
	s_nop 0
	;;#ASMSTART
	v_dot2_f32_f16 v66, v80, v88, v66
	;;#ASMEND
	s_nop 0
	;;#ASMSTART
	v_dot2_f32_f16 v66, v81, v89, v66
	;;#ASMEND
	;;#ASMSTART
	v_dot2_f32_f16 v65, v78, v90, v65
	;;#ASMEND
	s_nop 0
	;;#ASMSTART
	v_dot2_f32_f16 v65, v79, v91, v65
	;;#ASMEND
	s_nop 0
	;;#ASMSTART
	v_dot2_f32_f16 v65, v80, v92, v65
	;;#ASMEND
	s_nop 0
	;;#ASMSTART
	v_dot2_f32_f16 v65, v81, v93, v65
	;;#ASMEND
	;;#ASMSTART
	v_dot2_f32_f16 v68, v82, v86, v68
	;;#ASMEND
	s_nop 0
	;;#ASMSTART
	v_dot2_f32_f16 v68, v83, v87, v68
	;;#ASMEND
	s_nop 0
	;;#ASMSTART
	v_dot2_f32_f16 v68, v84, v88, v68
	;;#ASMEND
	s_nop 0
	;;#ASMSTART
	v_dot2_f32_f16 v68, v85, v89, v68
	;;#ASMEND
	;;#ASMSTART
	v_dot2_f32_f16 v67, v82, v90, v67
	;;#ASMEND
	s_nop 0
	;;#ASMSTART
	v_dot2_f32_f16 v67, v83, v91, v67
	;;#ASMEND
	s_nop 0
	;;#ASMSTART
	v_dot2_f32_f16 v67, v84, v92, v67
	;;#ASMEND
	s_nop 0
	;;#ASMSTART
	v_dot2_f32_f16 v67, v85, v93, v67
	;;#ASMEND
	ds_read_b128 v[70:73], v39 offset:16
	ds_read_b128 v[74:77], v39 offset:4624
	;; [unrolled: 1-line block ×6, first 2 shown]
	s_waitcnt lgkmcnt(1)
	;;#ASMSTART
	v_dot2_f32_f16 v26, v70, v86, v26
	;;#ASMEND
	s_nop 0
	;;#ASMSTART
	v_dot2_f32_f16 v26, v71, v87, v26
	;;#ASMEND
	s_nop 0
	;; [unrolled: 4-line block ×3, first 2 shown]
	;;#ASMSTART
	v_dot2_f32_f16 v26, v73, v89, v26
	;;#ASMEND
	s_waitcnt lgkmcnt(0)
	;;#ASMSTART
	v_dot2_f32_f16 v27, v70, v90, v27
	;;#ASMEND
	s_nop 0
	;;#ASMSTART
	v_dot2_f32_f16 v27, v71, v91, v27
	;;#ASMEND
	s_nop 0
	;;#ASMSTART
	v_dot2_f32_f16 v27, v72, v92, v27
	;;#ASMEND
	s_nop 0
	;;#ASMSTART
	v_dot2_f32_f16 v27, v73, v93, v27
	;;#ASMEND
	;;#ASMSTART
	v_dot2_f32_f16 v64, v74, v86, v64
	;;#ASMEND
	s_nop 0
	;;#ASMSTART
	v_dot2_f32_f16 v64, v75, v87, v64
	;;#ASMEND
	s_nop 0
	;;#ASMSTART
	v_dot2_f32_f16 v64, v76, v88, v64
	;;#ASMEND
	s_nop 0
	;;#ASMSTART
	v_dot2_f32_f16 v64, v77, v89, v64
	;;#ASMEND
	;; [unrolled: 15-line block ×7, first 2 shown]
	ds_read_b128 v[70:73], v39 offset:32
	ds_read_b128 v[74:77], v39 offset:4640
	;; [unrolled: 1-line block ×6, first 2 shown]
	s_waitcnt lgkmcnt(1)
	;;#ASMSTART
	v_dot2_f32_f16 v26, v70, v86, v26
	;;#ASMEND
	s_nop 0
	;;#ASMSTART
	v_dot2_f32_f16 v26, v71, v87, v26
	;;#ASMEND
	s_nop 0
	;; [unrolled: 4-line block ×3, first 2 shown]
	;;#ASMSTART
	v_dot2_f32_f16 v26, v73, v89, v26
	;;#ASMEND
	s_waitcnt lgkmcnt(0)
	;;#ASMSTART
	v_dot2_f32_f16 v27, v70, v90, v27
	;;#ASMEND
	s_nop 0
	;;#ASMSTART
	v_dot2_f32_f16 v27, v71, v91, v27
	;;#ASMEND
	s_nop 0
	;;#ASMSTART
	v_dot2_f32_f16 v27, v72, v92, v27
	;;#ASMEND
	s_nop 0
	;;#ASMSTART
	v_dot2_f32_f16 v27, v73, v93, v27
	;;#ASMEND
	;;#ASMSTART
	v_dot2_f32_f16 v64, v74, v86, v64
	;;#ASMEND
	s_nop 0
	;;#ASMSTART
	v_dot2_f32_f16 v64, v75, v87, v64
	;;#ASMEND
	s_nop 0
	;;#ASMSTART
	v_dot2_f32_f16 v64, v76, v88, v64
	;;#ASMEND
	s_nop 0
	;;#ASMSTART
	v_dot2_f32_f16 v64, v77, v89, v64
	;;#ASMEND
	;; [unrolled: 15-line block ×7, first 2 shown]
	ds_read_b128 v[70:73], v39 offset:48
	ds_read_b128 v[74:77], v39 offset:4656
	;; [unrolled: 1-line block ×6, first 2 shown]
	s_waitcnt lgkmcnt(1)
	;;#ASMSTART
	v_dot2_f32_f16 v26, v70, v86, v26
	;;#ASMEND
	s_nop 0
	;;#ASMSTART
	v_dot2_f32_f16 v26, v71, v87, v26
	;;#ASMEND
	s_nop 0
	;; [unrolled: 4-line block ×3, first 2 shown]
	;;#ASMSTART
	v_dot2_f32_f16 v26, v73, v89, v26
	;;#ASMEND
	s_waitcnt lgkmcnt(0)
	;;#ASMSTART
	v_dot2_f32_f16 v27, v70, v90, v27
	;;#ASMEND
	s_nop 0
	;;#ASMSTART
	v_dot2_f32_f16 v27, v71, v91, v27
	;;#ASMEND
	s_nop 0
	;;#ASMSTART
	v_dot2_f32_f16 v27, v72, v92, v27
	;;#ASMEND
	s_nop 0
	;;#ASMSTART
	v_dot2_f32_f16 v27, v73, v93, v27
	;;#ASMEND
	;;#ASMSTART
	v_dot2_f32_f16 v64, v74, v86, v64
	;;#ASMEND
	s_nop 0
	;;#ASMSTART
	v_dot2_f32_f16 v64, v75, v87, v64
	;;#ASMEND
	s_nop 0
	;;#ASMSTART
	v_dot2_f32_f16 v64, v76, v88, v64
	;;#ASMEND
	s_nop 0
	;;#ASMSTART
	v_dot2_f32_f16 v64, v77, v89, v64
	;;#ASMEND
	;; [unrolled: 15-line block ×7, first 2 shown]
	ds_read_b128 v[70:73], v39 offset:64
	ds_read_b128 v[74:77], v39 offset:4672
	;; [unrolled: 1-line block ×6, first 2 shown]
	s_waitcnt lgkmcnt(1)
	;;#ASMSTART
	v_dot2_f32_f16 v26, v70, v86, v26
	;;#ASMEND
	s_nop 0
	;;#ASMSTART
	v_dot2_f32_f16 v26, v71, v87, v26
	;;#ASMEND
	s_nop 0
	;; [unrolled: 4-line block ×3, first 2 shown]
	;;#ASMSTART
	v_dot2_f32_f16 v26, v73, v89, v26
	;;#ASMEND
	s_waitcnt lgkmcnt(0)
	;;#ASMSTART
	v_dot2_f32_f16 v27, v70, v90, v27
	;;#ASMEND
	s_nop 0
	;;#ASMSTART
	v_dot2_f32_f16 v27, v71, v91, v27
	;;#ASMEND
	s_nop 0
	;;#ASMSTART
	v_dot2_f32_f16 v27, v72, v92, v27
	;;#ASMEND
	s_nop 0
	;;#ASMSTART
	v_dot2_f32_f16 v27, v73, v93, v27
	;;#ASMEND
	;;#ASMSTART
	v_dot2_f32_f16 v64, v74, v86, v64
	;;#ASMEND
	s_nop 0
	;;#ASMSTART
	v_dot2_f32_f16 v64, v75, v87, v64
	;;#ASMEND
	s_nop 0
	;;#ASMSTART
	v_dot2_f32_f16 v64, v76, v88, v64
	;;#ASMEND
	s_nop 0
	;;#ASMSTART
	v_dot2_f32_f16 v64, v77, v89, v64
	;;#ASMEND
	;;#ASMSTART
	v_dot2_f32_f16 v63, v74, v90, v63
	;;#ASMEND
	s_nop 0
	;;#ASMSTART
	v_dot2_f32_f16 v63, v75, v91, v63
	;;#ASMEND
	s_nop 0
	;;#ASMSTART
	v_dot2_f32_f16 v63, v76, v92, v63
	;;#ASMEND
	s_nop 0
	;;#ASMSTART
	v_dot2_f32_f16 v63, v77, v93, v63
	;;#ASMEND
	;;#ASMSTART
	v_dot2_f32_f16 v66, v78, v86, v66
	;;#ASMEND
	s_nop 0
	;;#ASMSTART
	v_dot2_f32_f16 v66, v79, v87, v66
	;;#ASMEND
	s_nop 0
	;;#ASMSTART
	v_dot2_f32_f16 v66, v80, v88, v66
	;;#ASMEND
	s_nop 0
	;;#ASMSTART
	v_dot2_f32_f16 v66, v81, v89, v66
	;;#ASMEND
	;;#ASMSTART
	v_dot2_f32_f16 v65, v78, v90, v65
	;;#ASMEND
	s_nop 0
	;;#ASMSTART
	v_dot2_f32_f16 v65, v79, v91, v65
	;;#ASMEND
	s_nop 0
	;;#ASMSTART
	v_dot2_f32_f16 v65, v80, v92, v65
	;;#ASMEND
	s_nop 0
	;;#ASMSTART
	v_dot2_f32_f16 v65, v81, v93, v65
	;;#ASMEND
	;;#ASMSTART
	v_dot2_f32_f16 v68, v82, v86, v68
	;;#ASMEND
	s_nop 0
	;;#ASMSTART
	v_dot2_f32_f16 v68, v83, v87, v68
	;;#ASMEND
	s_nop 0
	;;#ASMSTART
	v_dot2_f32_f16 v68, v84, v88, v68
	;;#ASMEND
	s_nop 0
	;;#ASMSTART
	v_dot2_f32_f16 v68, v85, v89, v68
	;;#ASMEND
	;;#ASMSTART
	v_dot2_f32_f16 v67, v82, v90, v67
	;;#ASMEND
	s_nop 0
	;;#ASMSTART
	v_dot2_f32_f16 v67, v83, v91, v67
	;;#ASMEND
	s_nop 0
	;;#ASMSTART
	v_dot2_f32_f16 v67, v84, v92, v67
	;;#ASMEND
	s_nop 0
	;;#ASMSTART
	v_dot2_f32_f16 v67, v85, v93, v67
	;;#ASMEND
	ds_read_b128 v[70:73], v39 offset:80
	ds_read_b128 v[74:77], v39 offset:4688
	;; [unrolled: 1-line block ×6, first 2 shown]
	s_waitcnt lgkmcnt(1)
	;;#ASMSTART
	v_dot2_f32_f16 v26, v70, v86, v26
	;;#ASMEND
	s_nop 0
	;;#ASMSTART
	v_dot2_f32_f16 v26, v71, v87, v26
	;;#ASMEND
	s_nop 0
	;; [unrolled: 4-line block ×3, first 2 shown]
	;;#ASMSTART
	v_dot2_f32_f16 v26, v73, v89, v26
	;;#ASMEND
	s_waitcnt lgkmcnt(0)
	;;#ASMSTART
	v_dot2_f32_f16 v27, v70, v90, v27
	;;#ASMEND
	s_nop 0
	;;#ASMSTART
	v_dot2_f32_f16 v27, v71, v91, v27
	;;#ASMEND
	s_nop 0
	;;#ASMSTART
	v_dot2_f32_f16 v27, v72, v92, v27
	;;#ASMEND
	s_nop 0
	;;#ASMSTART
	v_dot2_f32_f16 v27, v73, v93, v27
	;;#ASMEND
	;;#ASMSTART
	v_dot2_f32_f16 v64, v74, v86, v64
	;;#ASMEND
	s_nop 0
	;;#ASMSTART
	v_dot2_f32_f16 v64, v75, v87, v64
	;;#ASMEND
	s_nop 0
	;;#ASMSTART
	v_dot2_f32_f16 v64, v76, v88, v64
	;;#ASMEND
	s_nop 0
	;;#ASMSTART
	v_dot2_f32_f16 v64, v77, v89, v64
	;;#ASMEND
	;; [unrolled: 15-line block ×7, first 2 shown]
	ds_read_b128 v[70:73], v39 offset:96
	ds_read_b128 v[74:77], v39 offset:4704
	;; [unrolled: 1-line block ×6, first 2 shown]
	s_waitcnt lgkmcnt(1)
	;;#ASMSTART
	v_dot2_f32_f16 v26, v70, v86, v26
	;;#ASMEND
	s_nop 0
	;;#ASMSTART
	v_dot2_f32_f16 v26, v71, v87, v26
	;;#ASMEND
	s_nop 0
	;; [unrolled: 4-line block ×3, first 2 shown]
	;;#ASMSTART
	v_dot2_f32_f16 v26, v73, v89, v26
	;;#ASMEND
	s_waitcnt lgkmcnt(0)
	;;#ASMSTART
	v_dot2_f32_f16 v27, v70, v90, v27
	;;#ASMEND
	s_nop 0
	;;#ASMSTART
	v_dot2_f32_f16 v27, v71, v91, v27
	;;#ASMEND
	s_nop 0
	;;#ASMSTART
	v_dot2_f32_f16 v27, v72, v92, v27
	;;#ASMEND
	s_nop 0
	;;#ASMSTART
	v_dot2_f32_f16 v27, v73, v93, v27
	;;#ASMEND
	;;#ASMSTART
	v_dot2_f32_f16 v64, v74, v86, v64
	;;#ASMEND
	s_nop 0
	;;#ASMSTART
	v_dot2_f32_f16 v64, v75, v87, v64
	;;#ASMEND
	s_nop 0
	;;#ASMSTART
	v_dot2_f32_f16 v64, v76, v88, v64
	;;#ASMEND
	s_nop 0
	;;#ASMSTART
	v_dot2_f32_f16 v64, v77, v89, v64
	;;#ASMEND
	;; [unrolled: 15-line block ×7, first 2 shown]
	ds_read_b128 v[70:73], v39 offset:112
	ds_read_b128 v[74:77], v39 offset:4720
	;; [unrolled: 1-line block ×6, first 2 shown]
	s_waitcnt lgkmcnt(1)
	;;#ASMSTART
	v_dot2_f32_f16 v26, v70, v86, v26
	;;#ASMEND
	s_nop 0
	;;#ASMSTART
	v_dot2_f32_f16 v26, v71, v87, v26
	;;#ASMEND
	s_nop 0
	;;#ASMSTART
	v_dot2_f32_f16 v26, v72, v88, v26
	;;#ASMEND
	s_nop 0
	;;#ASMSTART
	v_dot2_f32_f16 v26, v73, v89, v26
	;;#ASMEND
	s_waitcnt lgkmcnt(0)
	;;#ASMSTART
	v_dot2_f32_f16 v27, v70, v90, v27
	;;#ASMEND
	s_nop 0
	;;#ASMSTART
	v_dot2_f32_f16 v27, v71, v91, v27
	;;#ASMEND
	s_nop 0
	;;#ASMSTART
	v_dot2_f32_f16 v27, v72, v92, v27
	;;#ASMEND
	s_nop 0
	;;#ASMSTART
	v_dot2_f32_f16 v27, v73, v93, v27
	;;#ASMEND
	;;#ASMSTART
	v_dot2_f32_f16 v64, v74, v86, v64
	;;#ASMEND
	s_nop 0
	;;#ASMSTART
	v_dot2_f32_f16 v64, v75, v87, v64
	;;#ASMEND
	s_nop 0
	;;#ASMSTART
	v_dot2_f32_f16 v64, v76, v88, v64
	;;#ASMEND
	s_nop 0
	;;#ASMSTART
	v_dot2_f32_f16 v64, v77, v89, v64
	;;#ASMEND
	;; [unrolled: 15-line block ×7, first 2 shown]
	s_barrier
	global_load_dwordx4 v[70:73], v[0:1], off offset:384
	s_waitcnt vmcnt(0)
	ds_write_b128 v37, v[70:73]
	global_load_dwordx4 v[70:73], v[2:3], off offset:384
	s_waitcnt vmcnt(0)
	ds_write_b128 v38, v[70:73]
	s_waitcnt lgkmcnt(0)
	s_barrier
	ds_read_b128 v[70:73], v39
	ds_read_b128 v[74:77], v39 offset:4608
	ds_read_b128 v[78:81], v39 offset:9216
	;; [unrolled: 1-line block ×5, first 2 shown]
	s_waitcnt lgkmcnt(1)
	;;#ASMSTART
	v_dot2_f32_f16 v26, v70, v86, v26
	;;#ASMEND
	s_nop 0
	;;#ASMSTART
	v_dot2_f32_f16 v26, v71, v87, v26
	;;#ASMEND
	s_nop 0
	;; [unrolled: 4-line block ×3, first 2 shown]
	;;#ASMSTART
	v_dot2_f32_f16 v26, v73, v89, v26
	;;#ASMEND
	s_waitcnt lgkmcnt(0)
	;;#ASMSTART
	v_dot2_f32_f16 v27, v70, v90, v27
	;;#ASMEND
	s_nop 0
	;;#ASMSTART
	v_dot2_f32_f16 v27, v71, v91, v27
	;;#ASMEND
	s_nop 0
	;;#ASMSTART
	v_dot2_f32_f16 v27, v72, v92, v27
	;;#ASMEND
	s_nop 0
	;;#ASMSTART
	v_dot2_f32_f16 v27, v73, v93, v27
	;;#ASMEND
	;;#ASMSTART
	v_dot2_f32_f16 v64, v74, v86, v64
	;;#ASMEND
	s_nop 0
	;;#ASMSTART
	v_dot2_f32_f16 v64, v75, v87, v64
	;;#ASMEND
	s_nop 0
	;;#ASMSTART
	v_dot2_f32_f16 v64, v76, v88, v64
	;;#ASMEND
	s_nop 0
	;;#ASMSTART
	v_dot2_f32_f16 v64, v77, v89, v64
	;;#ASMEND
	;; [unrolled: 15-line block ×7, first 2 shown]
	ds_read_b128 v[70:73], v39 offset:16
	ds_read_b128 v[74:77], v39 offset:4624
	;; [unrolled: 1-line block ×6, first 2 shown]
	s_waitcnt lgkmcnt(1)
	;;#ASMSTART
	v_dot2_f32_f16 v26, v70, v86, v26
	;;#ASMEND
	s_nop 0
	;;#ASMSTART
	v_dot2_f32_f16 v26, v71, v87, v26
	;;#ASMEND
	s_nop 0
	;; [unrolled: 4-line block ×3, first 2 shown]
	;;#ASMSTART
	v_dot2_f32_f16 v26, v73, v89, v26
	;;#ASMEND
	s_waitcnt lgkmcnt(0)
	;;#ASMSTART
	v_dot2_f32_f16 v27, v70, v90, v27
	;;#ASMEND
	s_nop 0
	;;#ASMSTART
	v_dot2_f32_f16 v27, v71, v91, v27
	;;#ASMEND
	s_nop 0
	;;#ASMSTART
	v_dot2_f32_f16 v27, v72, v92, v27
	;;#ASMEND
	s_nop 0
	;;#ASMSTART
	v_dot2_f32_f16 v27, v73, v93, v27
	;;#ASMEND
	;;#ASMSTART
	v_dot2_f32_f16 v64, v74, v86, v64
	;;#ASMEND
	s_nop 0
	;;#ASMSTART
	v_dot2_f32_f16 v64, v75, v87, v64
	;;#ASMEND
	s_nop 0
	;;#ASMSTART
	v_dot2_f32_f16 v64, v76, v88, v64
	;;#ASMEND
	s_nop 0
	;;#ASMSTART
	v_dot2_f32_f16 v64, v77, v89, v64
	;;#ASMEND
	;; [unrolled: 15-line block ×7, first 2 shown]
	ds_read_b128 v[70:73], v39 offset:32
	ds_read_b128 v[74:77], v39 offset:4640
	ds_read_b128 v[78:81], v39 offset:9248
	ds_read_b128 v[82:85], v39 offset:13856
	ds_read_b128 v[86:89], v30 offset:416
	ds_read_b128 v[90:93], v30 offset:1440
	s_waitcnt lgkmcnt(1)
	;;#ASMSTART
	v_dot2_f32_f16 v26, v70, v86, v26
	;;#ASMEND
	s_nop 0
	;;#ASMSTART
	v_dot2_f32_f16 v26, v71, v87, v26
	;;#ASMEND
	s_nop 0
	;;#ASMSTART
	v_dot2_f32_f16 v26, v72, v88, v26
	;;#ASMEND
	s_nop 0
	;;#ASMSTART
	v_dot2_f32_f16 v26, v73, v89, v26
	;;#ASMEND
	s_waitcnt lgkmcnt(0)
	;;#ASMSTART
	v_dot2_f32_f16 v27, v70, v90, v27
	;;#ASMEND
	s_nop 0
	;;#ASMSTART
	v_dot2_f32_f16 v27, v71, v91, v27
	;;#ASMEND
	s_nop 0
	;;#ASMSTART
	v_dot2_f32_f16 v27, v72, v92, v27
	;;#ASMEND
	s_nop 0
	;;#ASMSTART
	v_dot2_f32_f16 v27, v73, v93, v27
	;;#ASMEND
	;;#ASMSTART
	v_dot2_f32_f16 v64, v74, v86, v64
	;;#ASMEND
	s_nop 0
	;;#ASMSTART
	v_dot2_f32_f16 v64, v75, v87, v64
	;;#ASMEND
	s_nop 0
	;;#ASMSTART
	v_dot2_f32_f16 v64, v76, v88, v64
	;;#ASMEND
	s_nop 0
	;;#ASMSTART
	v_dot2_f32_f16 v64, v77, v89, v64
	;;#ASMEND
	;; [unrolled: 15-line block ×7, first 2 shown]
	ds_read_b128 v[70:73], v39 offset:48
	ds_read_b128 v[74:77], v39 offset:4656
	;; [unrolled: 1-line block ×6, first 2 shown]
	s_waitcnt lgkmcnt(1)
	;;#ASMSTART
	v_dot2_f32_f16 v26, v70, v86, v26
	;;#ASMEND
	s_nop 0
	;;#ASMSTART
	v_dot2_f32_f16 v26, v71, v87, v26
	;;#ASMEND
	s_nop 0
	;; [unrolled: 4-line block ×3, first 2 shown]
	;;#ASMSTART
	v_dot2_f32_f16 v26, v73, v89, v26
	;;#ASMEND
	s_waitcnt lgkmcnt(0)
	;;#ASMSTART
	v_dot2_f32_f16 v27, v70, v90, v27
	;;#ASMEND
	s_nop 0
	;;#ASMSTART
	v_dot2_f32_f16 v27, v71, v91, v27
	;;#ASMEND
	s_nop 0
	;;#ASMSTART
	v_dot2_f32_f16 v27, v72, v92, v27
	;;#ASMEND
	s_nop 0
	;;#ASMSTART
	v_dot2_f32_f16 v27, v73, v93, v27
	;;#ASMEND
	;;#ASMSTART
	v_dot2_f32_f16 v64, v74, v86, v64
	;;#ASMEND
	s_nop 0
	;;#ASMSTART
	v_dot2_f32_f16 v64, v75, v87, v64
	;;#ASMEND
	s_nop 0
	;;#ASMSTART
	v_dot2_f32_f16 v64, v76, v88, v64
	;;#ASMEND
	s_nop 0
	;;#ASMSTART
	v_dot2_f32_f16 v64, v77, v89, v64
	;;#ASMEND
	;; [unrolled: 15-line block ×7, first 2 shown]
	ds_read_b128 v[70:73], v39 offset:64
	ds_read_b128 v[74:77], v39 offset:4672
	;; [unrolled: 1-line block ×6, first 2 shown]
	s_waitcnt lgkmcnt(1)
	;;#ASMSTART
	v_dot2_f32_f16 v26, v70, v86, v26
	;;#ASMEND
	s_nop 0
	;;#ASMSTART
	v_dot2_f32_f16 v26, v71, v87, v26
	;;#ASMEND
	s_nop 0
	;; [unrolled: 4-line block ×3, first 2 shown]
	;;#ASMSTART
	v_dot2_f32_f16 v26, v73, v89, v26
	;;#ASMEND
	s_waitcnt lgkmcnt(0)
	;;#ASMSTART
	v_dot2_f32_f16 v27, v70, v90, v27
	;;#ASMEND
	s_nop 0
	;;#ASMSTART
	v_dot2_f32_f16 v27, v71, v91, v27
	;;#ASMEND
	s_nop 0
	;;#ASMSTART
	v_dot2_f32_f16 v27, v72, v92, v27
	;;#ASMEND
	s_nop 0
	;;#ASMSTART
	v_dot2_f32_f16 v27, v73, v93, v27
	;;#ASMEND
	;;#ASMSTART
	v_dot2_f32_f16 v64, v74, v86, v64
	;;#ASMEND
	s_nop 0
	;;#ASMSTART
	v_dot2_f32_f16 v64, v75, v87, v64
	;;#ASMEND
	s_nop 0
	;;#ASMSTART
	v_dot2_f32_f16 v64, v76, v88, v64
	;;#ASMEND
	s_nop 0
	;;#ASMSTART
	v_dot2_f32_f16 v64, v77, v89, v64
	;;#ASMEND
	;; [unrolled: 15-line block ×7, first 2 shown]
	ds_read_b128 v[70:73], v39 offset:80
	ds_read_b128 v[74:77], v39 offset:4688
	;; [unrolled: 1-line block ×6, first 2 shown]
	s_waitcnt lgkmcnt(1)
	;;#ASMSTART
	v_dot2_f32_f16 v26, v70, v86, v26
	;;#ASMEND
	s_nop 0
	;;#ASMSTART
	v_dot2_f32_f16 v26, v71, v87, v26
	;;#ASMEND
	s_nop 0
	;;#ASMSTART
	v_dot2_f32_f16 v26, v72, v88, v26
	;;#ASMEND
	s_nop 0
	;;#ASMSTART
	v_dot2_f32_f16 v26, v73, v89, v26
	;;#ASMEND
	s_waitcnt lgkmcnt(0)
	;;#ASMSTART
	v_dot2_f32_f16 v27, v70, v90, v27
	;;#ASMEND
	s_nop 0
	;;#ASMSTART
	v_dot2_f32_f16 v27, v71, v91, v27
	;;#ASMEND
	s_nop 0
	;;#ASMSTART
	v_dot2_f32_f16 v27, v72, v92, v27
	;;#ASMEND
	s_nop 0
	;;#ASMSTART
	v_dot2_f32_f16 v27, v73, v93, v27
	;;#ASMEND
	;;#ASMSTART
	v_dot2_f32_f16 v64, v74, v86, v64
	;;#ASMEND
	s_nop 0
	;;#ASMSTART
	v_dot2_f32_f16 v64, v75, v87, v64
	;;#ASMEND
	s_nop 0
	;;#ASMSTART
	v_dot2_f32_f16 v64, v76, v88, v64
	;;#ASMEND
	s_nop 0
	;;#ASMSTART
	v_dot2_f32_f16 v64, v77, v89, v64
	;;#ASMEND
	;; [unrolled: 15-line block ×7, first 2 shown]
	ds_read_b128 v[70:73], v39 offset:96
	ds_read_b128 v[74:77], v39 offset:4704
	;; [unrolled: 1-line block ×6, first 2 shown]
	s_waitcnt lgkmcnt(1)
	;;#ASMSTART
	v_dot2_f32_f16 v26, v70, v86, v26
	;;#ASMEND
	s_nop 0
	;;#ASMSTART
	v_dot2_f32_f16 v26, v71, v87, v26
	;;#ASMEND
	s_nop 0
	;;#ASMSTART
	v_dot2_f32_f16 v26, v72, v88, v26
	;;#ASMEND
	s_nop 0
	;;#ASMSTART
	v_dot2_f32_f16 v26, v73, v89, v26
	;;#ASMEND
	s_waitcnt lgkmcnt(0)
	;;#ASMSTART
	v_dot2_f32_f16 v27, v70, v90, v27
	;;#ASMEND
	s_nop 0
	;;#ASMSTART
	v_dot2_f32_f16 v27, v71, v91, v27
	;;#ASMEND
	s_nop 0
	;;#ASMSTART
	v_dot2_f32_f16 v27, v72, v92, v27
	;;#ASMEND
	s_nop 0
	;;#ASMSTART
	v_dot2_f32_f16 v27, v73, v93, v27
	;;#ASMEND
	;;#ASMSTART
	v_dot2_f32_f16 v64, v74, v86, v64
	;;#ASMEND
	s_nop 0
	;;#ASMSTART
	v_dot2_f32_f16 v64, v75, v87, v64
	;;#ASMEND
	s_nop 0
	;;#ASMSTART
	v_dot2_f32_f16 v64, v76, v88, v64
	;;#ASMEND
	s_nop 0
	;;#ASMSTART
	v_dot2_f32_f16 v64, v77, v89, v64
	;;#ASMEND
	;; [unrolled: 15-line block ×7, first 2 shown]
	ds_read_b128 v[70:73], v39 offset:112
	ds_read_b128 v[74:77], v39 offset:4720
	;; [unrolled: 1-line block ×6, first 2 shown]
	s_waitcnt lgkmcnt(1)
	;;#ASMSTART
	v_dot2_f32_f16 v26, v70, v86, v26
	;;#ASMEND
	s_nop 0
	;;#ASMSTART
	v_dot2_f32_f16 v26, v71, v87, v26
	;;#ASMEND
	s_nop 0
	;; [unrolled: 4-line block ×3, first 2 shown]
	;;#ASMSTART
	v_dot2_f32_f16 v26, v73, v89, v26
	;;#ASMEND
	s_waitcnt lgkmcnt(0)
	;;#ASMSTART
	v_dot2_f32_f16 v27, v70, v90, v27
	;;#ASMEND
	s_nop 0
	;;#ASMSTART
	v_dot2_f32_f16 v27, v71, v91, v27
	;;#ASMEND
	s_nop 0
	;;#ASMSTART
	v_dot2_f32_f16 v27, v72, v92, v27
	;;#ASMEND
	s_nop 0
	;;#ASMSTART
	v_dot2_f32_f16 v27, v73, v93, v27
	;;#ASMEND
	;;#ASMSTART
	v_dot2_f32_f16 v64, v74, v86, v64
	;;#ASMEND
	s_nop 0
	;;#ASMSTART
	v_dot2_f32_f16 v64, v75, v87, v64
	;;#ASMEND
	s_nop 0
	;;#ASMSTART
	v_dot2_f32_f16 v64, v76, v88, v64
	;;#ASMEND
	s_nop 0
	;;#ASMSTART
	v_dot2_f32_f16 v64, v77, v89, v64
	;;#ASMEND
	;; [unrolled: 15-line block ×7, first 2 shown]
	s_barrier
	global_load_dwordx4 v[70:73], v[0:1], off offset:512
	s_waitcnt vmcnt(0)
	ds_write_b128 v37, v[70:73]
	global_load_dwordx4 v[70:73], v[2:3], off offset:512
	s_waitcnt vmcnt(0)
	ds_write_b128 v38, v[70:73]
	s_waitcnt lgkmcnt(0)
	s_barrier
	ds_read_b128 v[70:73], v39
	ds_read_b128 v[74:77], v39 offset:4608
	ds_read_b128 v[78:81], v39 offset:9216
	;; [unrolled: 1-line block ×5, first 2 shown]
	s_waitcnt lgkmcnt(1)
	;;#ASMSTART
	v_dot2_f32_f16 v26, v70, v86, v26
	;;#ASMEND
	s_nop 0
	;;#ASMSTART
	v_dot2_f32_f16 v26, v71, v87, v26
	;;#ASMEND
	s_nop 0
	;; [unrolled: 4-line block ×3, first 2 shown]
	;;#ASMSTART
	v_dot2_f32_f16 v26, v73, v89, v26
	;;#ASMEND
	s_waitcnt lgkmcnt(0)
	;;#ASMSTART
	v_dot2_f32_f16 v27, v70, v90, v27
	;;#ASMEND
	s_nop 0
	;;#ASMSTART
	v_dot2_f32_f16 v27, v71, v91, v27
	;;#ASMEND
	s_nop 0
	;;#ASMSTART
	v_dot2_f32_f16 v27, v72, v92, v27
	;;#ASMEND
	s_nop 0
	;;#ASMSTART
	v_dot2_f32_f16 v27, v73, v93, v27
	;;#ASMEND
	;;#ASMSTART
	v_dot2_f32_f16 v64, v74, v86, v64
	;;#ASMEND
	s_nop 0
	;;#ASMSTART
	v_dot2_f32_f16 v64, v75, v87, v64
	;;#ASMEND
	s_nop 0
	;;#ASMSTART
	v_dot2_f32_f16 v64, v76, v88, v64
	;;#ASMEND
	s_nop 0
	;;#ASMSTART
	v_dot2_f32_f16 v64, v77, v89, v64
	;;#ASMEND
	;; [unrolled: 15-line block ×7, first 2 shown]
	ds_read_b128 v[70:73], v39 offset:16
	ds_read_b128 v[74:77], v39 offset:4624
	;; [unrolled: 1-line block ×6, first 2 shown]
	s_waitcnt lgkmcnt(1)
	;;#ASMSTART
	v_dot2_f32_f16 v26, v70, v86, v26
	;;#ASMEND
	s_nop 0
	;;#ASMSTART
	v_dot2_f32_f16 v26, v71, v87, v26
	;;#ASMEND
	s_nop 0
	;; [unrolled: 4-line block ×3, first 2 shown]
	;;#ASMSTART
	v_dot2_f32_f16 v26, v73, v89, v26
	;;#ASMEND
	s_waitcnt lgkmcnt(0)
	;;#ASMSTART
	v_dot2_f32_f16 v27, v70, v90, v27
	;;#ASMEND
	s_nop 0
	;;#ASMSTART
	v_dot2_f32_f16 v27, v71, v91, v27
	;;#ASMEND
	s_nop 0
	;;#ASMSTART
	v_dot2_f32_f16 v27, v72, v92, v27
	;;#ASMEND
	s_nop 0
	;;#ASMSTART
	v_dot2_f32_f16 v27, v73, v93, v27
	;;#ASMEND
	;;#ASMSTART
	v_dot2_f32_f16 v64, v74, v86, v64
	;;#ASMEND
	s_nop 0
	;;#ASMSTART
	v_dot2_f32_f16 v64, v75, v87, v64
	;;#ASMEND
	s_nop 0
	;;#ASMSTART
	v_dot2_f32_f16 v64, v76, v88, v64
	;;#ASMEND
	s_nop 0
	;;#ASMSTART
	v_dot2_f32_f16 v64, v77, v89, v64
	;;#ASMEND
	;; [unrolled: 15-line block ×7, first 2 shown]
	ds_read_b128 v[70:73], v39 offset:32
	ds_read_b128 v[74:77], v39 offset:4640
	;; [unrolled: 1-line block ×6, first 2 shown]
	s_waitcnt lgkmcnt(1)
	;;#ASMSTART
	v_dot2_f32_f16 v26, v70, v86, v26
	;;#ASMEND
	s_nop 0
	;;#ASMSTART
	v_dot2_f32_f16 v26, v71, v87, v26
	;;#ASMEND
	s_nop 0
	;; [unrolled: 4-line block ×3, first 2 shown]
	;;#ASMSTART
	v_dot2_f32_f16 v26, v73, v89, v26
	;;#ASMEND
	s_waitcnt lgkmcnt(0)
	;;#ASMSTART
	v_dot2_f32_f16 v27, v70, v90, v27
	;;#ASMEND
	s_nop 0
	;;#ASMSTART
	v_dot2_f32_f16 v27, v71, v91, v27
	;;#ASMEND
	s_nop 0
	;;#ASMSTART
	v_dot2_f32_f16 v27, v72, v92, v27
	;;#ASMEND
	s_nop 0
	;;#ASMSTART
	v_dot2_f32_f16 v27, v73, v93, v27
	;;#ASMEND
	;;#ASMSTART
	v_dot2_f32_f16 v64, v74, v86, v64
	;;#ASMEND
	s_nop 0
	;;#ASMSTART
	v_dot2_f32_f16 v64, v75, v87, v64
	;;#ASMEND
	s_nop 0
	;;#ASMSTART
	v_dot2_f32_f16 v64, v76, v88, v64
	;;#ASMEND
	s_nop 0
	;;#ASMSTART
	v_dot2_f32_f16 v64, v77, v89, v64
	;;#ASMEND
	;; [unrolled: 15-line block ×7, first 2 shown]
	ds_read_b128 v[70:73], v39 offset:48
	ds_read_b128 v[74:77], v39 offset:4656
	;; [unrolled: 1-line block ×6, first 2 shown]
	s_waitcnt lgkmcnt(1)
	;;#ASMSTART
	v_dot2_f32_f16 v26, v70, v86, v26
	;;#ASMEND
	s_nop 0
	;;#ASMSTART
	v_dot2_f32_f16 v26, v71, v87, v26
	;;#ASMEND
	s_nop 0
	;; [unrolled: 4-line block ×3, first 2 shown]
	;;#ASMSTART
	v_dot2_f32_f16 v26, v73, v89, v26
	;;#ASMEND
	s_waitcnt lgkmcnt(0)
	;;#ASMSTART
	v_dot2_f32_f16 v27, v70, v90, v27
	;;#ASMEND
	s_nop 0
	;;#ASMSTART
	v_dot2_f32_f16 v27, v71, v91, v27
	;;#ASMEND
	s_nop 0
	;;#ASMSTART
	v_dot2_f32_f16 v27, v72, v92, v27
	;;#ASMEND
	s_nop 0
	;;#ASMSTART
	v_dot2_f32_f16 v27, v73, v93, v27
	;;#ASMEND
	;;#ASMSTART
	v_dot2_f32_f16 v64, v74, v86, v64
	;;#ASMEND
	s_nop 0
	;;#ASMSTART
	v_dot2_f32_f16 v64, v75, v87, v64
	;;#ASMEND
	s_nop 0
	;;#ASMSTART
	v_dot2_f32_f16 v64, v76, v88, v64
	;;#ASMEND
	s_nop 0
	;;#ASMSTART
	v_dot2_f32_f16 v64, v77, v89, v64
	;;#ASMEND
	;; [unrolled: 15-line block ×7, first 2 shown]
	ds_read_b128 v[70:73], v39 offset:64
	ds_read_b128 v[74:77], v39 offset:4672
	;; [unrolled: 1-line block ×6, first 2 shown]
	s_waitcnt lgkmcnt(1)
	;;#ASMSTART
	v_dot2_f32_f16 v26, v70, v86, v26
	;;#ASMEND
	s_nop 0
	;;#ASMSTART
	v_dot2_f32_f16 v26, v71, v87, v26
	;;#ASMEND
	s_nop 0
	;; [unrolled: 4-line block ×3, first 2 shown]
	;;#ASMSTART
	v_dot2_f32_f16 v26, v73, v89, v26
	;;#ASMEND
	s_waitcnt lgkmcnt(0)
	;;#ASMSTART
	v_dot2_f32_f16 v27, v70, v90, v27
	;;#ASMEND
	s_nop 0
	;;#ASMSTART
	v_dot2_f32_f16 v27, v71, v91, v27
	;;#ASMEND
	s_nop 0
	;;#ASMSTART
	v_dot2_f32_f16 v27, v72, v92, v27
	;;#ASMEND
	s_nop 0
	;;#ASMSTART
	v_dot2_f32_f16 v27, v73, v93, v27
	;;#ASMEND
	;;#ASMSTART
	v_dot2_f32_f16 v64, v74, v86, v64
	;;#ASMEND
	s_nop 0
	;;#ASMSTART
	v_dot2_f32_f16 v64, v75, v87, v64
	;;#ASMEND
	s_nop 0
	;;#ASMSTART
	v_dot2_f32_f16 v64, v76, v88, v64
	;;#ASMEND
	s_nop 0
	;;#ASMSTART
	v_dot2_f32_f16 v64, v77, v89, v64
	;;#ASMEND
	;; [unrolled: 15-line block ×7, first 2 shown]
	ds_read_b128 v[70:73], v39 offset:80
	ds_read_b128 v[74:77], v39 offset:4688
	;; [unrolled: 1-line block ×6, first 2 shown]
	s_waitcnt lgkmcnt(1)
	;;#ASMSTART
	v_dot2_f32_f16 v26, v70, v86, v26
	;;#ASMEND
	s_nop 0
	;;#ASMSTART
	v_dot2_f32_f16 v26, v71, v87, v26
	;;#ASMEND
	s_nop 0
	;; [unrolled: 4-line block ×3, first 2 shown]
	;;#ASMSTART
	v_dot2_f32_f16 v26, v73, v89, v26
	;;#ASMEND
	s_waitcnt lgkmcnt(0)
	;;#ASMSTART
	v_dot2_f32_f16 v27, v70, v90, v27
	;;#ASMEND
	s_nop 0
	;;#ASMSTART
	v_dot2_f32_f16 v27, v71, v91, v27
	;;#ASMEND
	s_nop 0
	;;#ASMSTART
	v_dot2_f32_f16 v27, v72, v92, v27
	;;#ASMEND
	s_nop 0
	;;#ASMSTART
	v_dot2_f32_f16 v27, v73, v93, v27
	;;#ASMEND
	;;#ASMSTART
	v_dot2_f32_f16 v64, v74, v86, v64
	;;#ASMEND
	s_nop 0
	;;#ASMSTART
	v_dot2_f32_f16 v64, v75, v87, v64
	;;#ASMEND
	s_nop 0
	;;#ASMSTART
	v_dot2_f32_f16 v64, v76, v88, v64
	;;#ASMEND
	s_nop 0
	;;#ASMSTART
	v_dot2_f32_f16 v64, v77, v89, v64
	;;#ASMEND
	;; [unrolled: 15-line block ×7, first 2 shown]
	ds_read_b128 v[70:73], v39 offset:96
	ds_read_b128 v[74:77], v39 offset:4704
	;; [unrolled: 1-line block ×6, first 2 shown]
	s_waitcnt lgkmcnt(1)
	;;#ASMSTART
	v_dot2_f32_f16 v26, v70, v86, v26
	;;#ASMEND
	s_nop 0
	;;#ASMSTART
	v_dot2_f32_f16 v26, v71, v87, v26
	;;#ASMEND
	s_nop 0
	;; [unrolled: 4-line block ×3, first 2 shown]
	;;#ASMSTART
	v_dot2_f32_f16 v26, v73, v89, v26
	;;#ASMEND
	s_waitcnt lgkmcnt(0)
	;;#ASMSTART
	v_dot2_f32_f16 v27, v70, v90, v27
	;;#ASMEND
	s_nop 0
	;;#ASMSTART
	v_dot2_f32_f16 v27, v71, v91, v27
	;;#ASMEND
	s_nop 0
	;;#ASMSTART
	v_dot2_f32_f16 v27, v72, v92, v27
	;;#ASMEND
	s_nop 0
	;;#ASMSTART
	v_dot2_f32_f16 v27, v73, v93, v27
	;;#ASMEND
	;;#ASMSTART
	v_dot2_f32_f16 v64, v74, v86, v64
	;;#ASMEND
	s_nop 0
	;;#ASMSTART
	v_dot2_f32_f16 v64, v75, v87, v64
	;;#ASMEND
	s_nop 0
	;;#ASMSTART
	v_dot2_f32_f16 v64, v76, v88, v64
	;;#ASMEND
	s_nop 0
	;;#ASMSTART
	v_dot2_f32_f16 v64, v77, v89, v64
	;;#ASMEND
	;; [unrolled: 15-line block ×7, first 2 shown]
	ds_read_b128 v[70:73], v39 offset:112
	ds_read_b128 v[74:77], v39 offset:4720
	;; [unrolled: 1-line block ×6, first 2 shown]
	s_waitcnt lgkmcnt(1)
	;;#ASMSTART
	v_dot2_f32_f16 v26, v70, v86, v26
	;;#ASMEND
	s_nop 0
	;;#ASMSTART
	v_dot2_f32_f16 v26, v71, v87, v26
	;;#ASMEND
	s_nop 0
	;; [unrolled: 4-line block ×3, first 2 shown]
	;;#ASMSTART
	v_dot2_f32_f16 v26, v73, v89, v26
	;;#ASMEND
	s_waitcnt lgkmcnt(0)
	;;#ASMSTART
	v_dot2_f32_f16 v27, v70, v90, v27
	;;#ASMEND
	s_nop 0
	;;#ASMSTART
	v_dot2_f32_f16 v27, v71, v91, v27
	;;#ASMEND
	s_nop 0
	;;#ASMSTART
	v_dot2_f32_f16 v27, v72, v92, v27
	;;#ASMEND
	s_nop 0
	;;#ASMSTART
	v_dot2_f32_f16 v27, v73, v93, v27
	;;#ASMEND
	;;#ASMSTART
	v_dot2_f32_f16 v64, v74, v86, v64
	;;#ASMEND
	s_nop 0
	;;#ASMSTART
	v_dot2_f32_f16 v64, v75, v87, v64
	;;#ASMEND
	s_nop 0
	;;#ASMSTART
	v_dot2_f32_f16 v64, v76, v88, v64
	;;#ASMEND
	s_nop 0
	;;#ASMSTART
	v_dot2_f32_f16 v64, v77, v89, v64
	;;#ASMEND
	;; [unrolled: 15-line block ×7, first 2 shown]
	s_barrier
	global_load_dwordx4 v[70:73], v[0:1], off offset:640
	s_waitcnt vmcnt(0)
	ds_write_b128 v37, v[70:73]
	global_load_dwordx4 v[70:73], v[2:3], off offset:640
	s_waitcnt vmcnt(0)
	ds_write_b128 v38, v[70:73]
	s_waitcnt lgkmcnt(0)
	s_barrier
	ds_read_b128 v[70:73], v39
	ds_read_b128 v[74:77], v39 offset:4608
	ds_read_b128 v[78:81], v39 offset:9216
	;; [unrolled: 1-line block ×5, first 2 shown]
	s_waitcnt lgkmcnt(1)
	;;#ASMSTART
	v_dot2_f32_f16 v26, v70, v86, v26
	;;#ASMEND
	s_nop 0
	;;#ASMSTART
	v_dot2_f32_f16 v26, v71, v87, v26
	;;#ASMEND
	s_nop 0
	;; [unrolled: 4-line block ×3, first 2 shown]
	;;#ASMSTART
	v_dot2_f32_f16 v26, v73, v89, v26
	;;#ASMEND
	s_waitcnt lgkmcnt(0)
	;;#ASMSTART
	v_dot2_f32_f16 v27, v70, v90, v27
	;;#ASMEND
	s_nop 0
	;;#ASMSTART
	v_dot2_f32_f16 v27, v71, v91, v27
	;;#ASMEND
	s_nop 0
	;;#ASMSTART
	v_dot2_f32_f16 v27, v72, v92, v27
	;;#ASMEND
	s_nop 0
	;;#ASMSTART
	v_dot2_f32_f16 v27, v73, v93, v27
	;;#ASMEND
	;;#ASMSTART
	v_dot2_f32_f16 v64, v74, v86, v64
	;;#ASMEND
	s_nop 0
	;;#ASMSTART
	v_dot2_f32_f16 v64, v75, v87, v64
	;;#ASMEND
	s_nop 0
	;;#ASMSTART
	v_dot2_f32_f16 v64, v76, v88, v64
	;;#ASMEND
	s_nop 0
	;;#ASMSTART
	v_dot2_f32_f16 v64, v77, v89, v64
	;;#ASMEND
	;; [unrolled: 15-line block ×7, first 2 shown]
	ds_read_b128 v[70:73], v39 offset:16
	ds_read_b128 v[74:77], v39 offset:4624
	;; [unrolled: 1-line block ×6, first 2 shown]
	s_waitcnt lgkmcnt(1)
	;;#ASMSTART
	v_dot2_f32_f16 v26, v70, v86, v26
	;;#ASMEND
	s_nop 0
	;;#ASMSTART
	v_dot2_f32_f16 v26, v71, v87, v26
	;;#ASMEND
	s_nop 0
	;; [unrolled: 4-line block ×3, first 2 shown]
	;;#ASMSTART
	v_dot2_f32_f16 v26, v73, v89, v26
	;;#ASMEND
	s_waitcnt lgkmcnt(0)
	;;#ASMSTART
	v_dot2_f32_f16 v27, v70, v90, v27
	;;#ASMEND
	s_nop 0
	;;#ASMSTART
	v_dot2_f32_f16 v27, v71, v91, v27
	;;#ASMEND
	s_nop 0
	;;#ASMSTART
	v_dot2_f32_f16 v27, v72, v92, v27
	;;#ASMEND
	s_nop 0
	;;#ASMSTART
	v_dot2_f32_f16 v27, v73, v93, v27
	;;#ASMEND
	;;#ASMSTART
	v_dot2_f32_f16 v64, v74, v86, v64
	;;#ASMEND
	s_nop 0
	;;#ASMSTART
	v_dot2_f32_f16 v64, v75, v87, v64
	;;#ASMEND
	s_nop 0
	;;#ASMSTART
	v_dot2_f32_f16 v64, v76, v88, v64
	;;#ASMEND
	s_nop 0
	;;#ASMSTART
	v_dot2_f32_f16 v64, v77, v89, v64
	;;#ASMEND
	;; [unrolled: 15-line block ×7, first 2 shown]
	ds_read_b128 v[70:73], v39 offset:32
	ds_read_b128 v[74:77], v39 offset:4640
	;; [unrolled: 1-line block ×6, first 2 shown]
	s_waitcnt lgkmcnt(1)
	;;#ASMSTART
	v_dot2_f32_f16 v26, v70, v86, v26
	;;#ASMEND
	s_nop 0
	;;#ASMSTART
	v_dot2_f32_f16 v26, v71, v87, v26
	;;#ASMEND
	s_nop 0
	;; [unrolled: 4-line block ×3, first 2 shown]
	;;#ASMSTART
	v_dot2_f32_f16 v26, v73, v89, v26
	;;#ASMEND
	s_waitcnt lgkmcnt(0)
	;;#ASMSTART
	v_dot2_f32_f16 v27, v70, v90, v27
	;;#ASMEND
	s_nop 0
	;;#ASMSTART
	v_dot2_f32_f16 v27, v71, v91, v27
	;;#ASMEND
	s_nop 0
	;;#ASMSTART
	v_dot2_f32_f16 v27, v72, v92, v27
	;;#ASMEND
	s_nop 0
	;;#ASMSTART
	v_dot2_f32_f16 v27, v73, v93, v27
	;;#ASMEND
	;;#ASMSTART
	v_dot2_f32_f16 v64, v74, v86, v64
	;;#ASMEND
	s_nop 0
	;;#ASMSTART
	v_dot2_f32_f16 v64, v75, v87, v64
	;;#ASMEND
	s_nop 0
	;;#ASMSTART
	v_dot2_f32_f16 v64, v76, v88, v64
	;;#ASMEND
	s_nop 0
	;;#ASMSTART
	v_dot2_f32_f16 v64, v77, v89, v64
	;;#ASMEND
	;; [unrolled: 15-line block ×7, first 2 shown]
	ds_read_b128 v[70:73], v39 offset:48
	ds_read_b128 v[74:77], v39 offset:4656
	ds_read_b128 v[78:81], v39 offset:9264
	ds_read_b128 v[82:85], v39 offset:13872
	ds_read_b128 v[86:89], v30 offset:688
	ds_read_b128 v[90:93], v30 offset:1712
	s_waitcnt lgkmcnt(1)
	;;#ASMSTART
	v_dot2_f32_f16 v26, v70, v86, v26
	;;#ASMEND
	s_nop 0
	;;#ASMSTART
	v_dot2_f32_f16 v26, v71, v87, v26
	;;#ASMEND
	s_nop 0
	;; [unrolled: 4-line block ×3, first 2 shown]
	;;#ASMSTART
	v_dot2_f32_f16 v26, v73, v89, v26
	;;#ASMEND
	s_waitcnt lgkmcnt(0)
	;;#ASMSTART
	v_dot2_f32_f16 v27, v70, v90, v27
	;;#ASMEND
	s_nop 0
	;;#ASMSTART
	v_dot2_f32_f16 v27, v71, v91, v27
	;;#ASMEND
	s_nop 0
	;;#ASMSTART
	v_dot2_f32_f16 v27, v72, v92, v27
	;;#ASMEND
	s_nop 0
	;;#ASMSTART
	v_dot2_f32_f16 v27, v73, v93, v27
	;;#ASMEND
	;;#ASMSTART
	v_dot2_f32_f16 v64, v74, v86, v64
	;;#ASMEND
	s_nop 0
	;;#ASMSTART
	v_dot2_f32_f16 v64, v75, v87, v64
	;;#ASMEND
	s_nop 0
	;;#ASMSTART
	v_dot2_f32_f16 v64, v76, v88, v64
	;;#ASMEND
	s_nop 0
	;;#ASMSTART
	v_dot2_f32_f16 v64, v77, v89, v64
	;;#ASMEND
	;; [unrolled: 15-line block ×7, first 2 shown]
	ds_read_b128 v[70:73], v39 offset:64
	ds_read_b128 v[74:77], v39 offset:4672
	;; [unrolled: 1-line block ×6, first 2 shown]
	s_waitcnt lgkmcnt(1)
	;;#ASMSTART
	v_dot2_f32_f16 v26, v70, v86, v26
	;;#ASMEND
	s_nop 0
	;;#ASMSTART
	v_dot2_f32_f16 v26, v71, v87, v26
	;;#ASMEND
	s_nop 0
	;; [unrolled: 4-line block ×3, first 2 shown]
	;;#ASMSTART
	v_dot2_f32_f16 v26, v73, v89, v26
	;;#ASMEND
	s_waitcnt lgkmcnt(0)
	;;#ASMSTART
	v_dot2_f32_f16 v27, v70, v90, v27
	;;#ASMEND
	s_nop 0
	;;#ASMSTART
	v_dot2_f32_f16 v27, v71, v91, v27
	;;#ASMEND
	s_nop 0
	;;#ASMSTART
	v_dot2_f32_f16 v27, v72, v92, v27
	;;#ASMEND
	s_nop 0
	;;#ASMSTART
	v_dot2_f32_f16 v27, v73, v93, v27
	;;#ASMEND
	;;#ASMSTART
	v_dot2_f32_f16 v64, v74, v86, v64
	;;#ASMEND
	s_nop 0
	;;#ASMSTART
	v_dot2_f32_f16 v64, v75, v87, v64
	;;#ASMEND
	s_nop 0
	;;#ASMSTART
	v_dot2_f32_f16 v64, v76, v88, v64
	;;#ASMEND
	s_nop 0
	;;#ASMSTART
	v_dot2_f32_f16 v64, v77, v89, v64
	;;#ASMEND
	;; [unrolled: 15-line block ×7, first 2 shown]
	ds_read_b128 v[70:73], v39 offset:80
	ds_read_b128 v[74:77], v39 offset:4688
	;; [unrolled: 1-line block ×6, first 2 shown]
	s_waitcnt lgkmcnt(1)
	;;#ASMSTART
	v_dot2_f32_f16 v26, v70, v86, v26
	;;#ASMEND
	s_nop 0
	;;#ASMSTART
	v_dot2_f32_f16 v26, v71, v87, v26
	;;#ASMEND
	s_nop 0
	;; [unrolled: 4-line block ×3, first 2 shown]
	;;#ASMSTART
	v_dot2_f32_f16 v26, v73, v89, v26
	;;#ASMEND
	s_waitcnt lgkmcnt(0)
	;;#ASMSTART
	v_dot2_f32_f16 v27, v70, v90, v27
	;;#ASMEND
	s_nop 0
	;;#ASMSTART
	v_dot2_f32_f16 v27, v71, v91, v27
	;;#ASMEND
	s_nop 0
	;;#ASMSTART
	v_dot2_f32_f16 v27, v72, v92, v27
	;;#ASMEND
	s_nop 0
	;;#ASMSTART
	v_dot2_f32_f16 v27, v73, v93, v27
	;;#ASMEND
	;;#ASMSTART
	v_dot2_f32_f16 v64, v74, v86, v64
	;;#ASMEND
	s_nop 0
	;;#ASMSTART
	v_dot2_f32_f16 v64, v75, v87, v64
	;;#ASMEND
	s_nop 0
	;;#ASMSTART
	v_dot2_f32_f16 v64, v76, v88, v64
	;;#ASMEND
	s_nop 0
	;;#ASMSTART
	v_dot2_f32_f16 v64, v77, v89, v64
	;;#ASMEND
	;;#ASMSTART
	v_dot2_f32_f16 v63, v74, v90, v63
	;;#ASMEND
	s_nop 0
	;;#ASMSTART
	v_dot2_f32_f16 v63, v75, v91, v63
	;;#ASMEND
	s_nop 0
	;;#ASMSTART
	v_dot2_f32_f16 v63, v76, v92, v63
	;;#ASMEND
	s_nop 0
	;;#ASMSTART
	v_dot2_f32_f16 v63, v77, v93, v63
	;;#ASMEND
	;;#ASMSTART
	v_dot2_f32_f16 v66, v78, v86, v66
	;;#ASMEND
	s_nop 0
	;;#ASMSTART
	v_dot2_f32_f16 v66, v79, v87, v66
	;;#ASMEND
	s_nop 0
	;;#ASMSTART
	v_dot2_f32_f16 v66, v80, v88, v66
	;;#ASMEND
	s_nop 0
	;;#ASMSTART
	v_dot2_f32_f16 v66, v81, v89, v66
	;;#ASMEND
	;;#ASMSTART
	v_dot2_f32_f16 v65, v78, v90, v65
	;;#ASMEND
	s_nop 0
	;;#ASMSTART
	v_dot2_f32_f16 v65, v79, v91, v65
	;;#ASMEND
	s_nop 0
	;;#ASMSTART
	v_dot2_f32_f16 v65, v80, v92, v65
	;;#ASMEND
	s_nop 0
	;;#ASMSTART
	v_dot2_f32_f16 v65, v81, v93, v65
	;;#ASMEND
	;;#ASMSTART
	v_dot2_f32_f16 v68, v82, v86, v68
	;;#ASMEND
	s_nop 0
	;;#ASMSTART
	v_dot2_f32_f16 v68, v83, v87, v68
	;;#ASMEND
	s_nop 0
	;;#ASMSTART
	v_dot2_f32_f16 v68, v84, v88, v68
	;;#ASMEND
	s_nop 0
	;;#ASMSTART
	v_dot2_f32_f16 v68, v85, v89, v68
	;;#ASMEND
	;;#ASMSTART
	v_dot2_f32_f16 v67, v82, v90, v67
	;;#ASMEND
	s_nop 0
	;;#ASMSTART
	v_dot2_f32_f16 v67, v83, v91, v67
	;;#ASMEND
	s_nop 0
	;;#ASMSTART
	v_dot2_f32_f16 v67, v84, v92, v67
	;;#ASMEND
	s_nop 0
	;;#ASMSTART
	v_dot2_f32_f16 v67, v85, v93, v67
	;;#ASMEND
	ds_read_b128 v[70:73], v39 offset:96
	ds_read_b128 v[74:77], v39 offset:4704
	ds_read_b128 v[78:81], v39 offset:9312
	ds_read_b128 v[82:85], v39 offset:13920
	ds_read_b128 v[86:89], v30 offset:736
	ds_read_b128 v[90:93], v30 offset:1760
	s_waitcnt lgkmcnt(1)
	;;#ASMSTART
	v_dot2_f32_f16 v26, v70, v86, v26
	;;#ASMEND
	s_nop 0
	;;#ASMSTART
	v_dot2_f32_f16 v26, v71, v87, v26
	;;#ASMEND
	s_nop 0
	;; [unrolled: 4-line block ×3, first 2 shown]
	;;#ASMSTART
	v_dot2_f32_f16 v26, v73, v89, v26
	;;#ASMEND
	s_waitcnt lgkmcnt(0)
	;;#ASMSTART
	v_dot2_f32_f16 v27, v70, v90, v27
	;;#ASMEND
	s_nop 0
	;;#ASMSTART
	v_dot2_f32_f16 v27, v71, v91, v27
	;;#ASMEND
	s_nop 0
	;;#ASMSTART
	v_dot2_f32_f16 v27, v72, v92, v27
	;;#ASMEND
	s_nop 0
	;;#ASMSTART
	v_dot2_f32_f16 v27, v73, v93, v27
	;;#ASMEND
	;;#ASMSTART
	v_dot2_f32_f16 v64, v74, v86, v64
	;;#ASMEND
	s_nop 0
	;;#ASMSTART
	v_dot2_f32_f16 v64, v75, v87, v64
	;;#ASMEND
	s_nop 0
	;;#ASMSTART
	v_dot2_f32_f16 v64, v76, v88, v64
	;;#ASMEND
	s_nop 0
	;;#ASMSTART
	v_dot2_f32_f16 v64, v77, v89, v64
	;;#ASMEND
	;; [unrolled: 15-line block ×7, first 2 shown]
	ds_read_b128 v[70:73], v39 offset:112
	ds_read_b128 v[74:77], v39 offset:4720
	;; [unrolled: 1-line block ×6, first 2 shown]
	s_waitcnt lgkmcnt(1)
	;;#ASMSTART
	v_dot2_f32_f16 v26, v70, v86, v26
	;;#ASMEND
	s_nop 0
	;;#ASMSTART
	v_dot2_f32_f16 v26, v71, v87, v26
	;;#ASMEND
	s_nop 0
	;; [unrolled: 4-line block ×3, first 2 shown]
	;;#ASMSTART
	v_dot2_f32_f16 v26, v73, v89, v26
	;;#ASMEND
	s_waitcnt lgkmcnt(0)
	;;#ASMSTART
	v_dot2_f32_f16 v27, v70, v90, v27
	;;#ASMEND
	s_nop 0
	;;#ASMSTART
	v_dot2_f32_f16 v27, v71, v91, v27
	;;#ASMEND
	s_nop 0
	;;#ASMSTART
	v_dot2_f32_f16 v27, v72, v92, v27
	;;#ASMEND
	s_nop 0
	;;#ASMSTART
	v_dot2_f32_f16 v27, v73, v93, v27
	;;#ASMEND
	;;#ASMSTART
	v_dot2_f32_f16 v64, v74, v86, v64
	;;#ASMEND
	s_nop 0
	;;#ASMSTART
	v_dot2_f32_f16 v64, v75, v87, v64
	;;#ASMEND
	s_nop 0
	;;#ASMSTART
	v_dot2_f32_f16 v64, v76, v88, v64
	;;#ASMEND
	s_nop 0
	;;#ASMSTART
	v_dot2_f32_f16 v64, v77, v89, v64
	;;#ASMEND
	;;#ASMSTART
	v_dot2_f32_f16 v63, v74, v90, v63
	;;#ASMEND
	s_nop 0
	;;#ASMSTART
	v_dot2_f32_f16 v63, v75, v91, v63
	;;#ASMEND
	s_nop 0
	;;#ASMSTART
	v_dot2_f32_f16 v63, v76, v92, v63
	;;#ASMEND
	s_nop 0
	;;#ASMSTART
	v_dot2_f32_f16 v63, v77, v93, v63
	;;#ASMEND
	;;#ASMSTART
	v_dot2_f32_f16 v66, v78, v86, v66
	;;#ASMEND
	s_nop 0
	;;#ASMSTART
	v_dot2_f32_f16 v66, v79, v87, v66
	;;#ASMEND
	s_nop 0
	;;#ASMSTART
	v_dot2_f32_f16 v66, v80, v88, v66
	;;#ASMEND
	s_nop 0
	;;#ASMSTART
	v_dot2_f32_f16 v66, v81, v89, v66
	;;#ASMEND
	;;#ASMSTART
	v_dot2_f32_f16 v65, v78, v90, v65
	;;#ASMEND
	s_nop 0
	;;#ASMSTART
	v_dot2_f32_f16 v65, v79, v91, v65
	;;#ASMEND
	s_nop 0
	;;#ASMSTART
	v_dot2_f32_f16 v65, v80, v92, v65
	;;#ASMEND
	s_nop 0
	;;#ASMSTART
	v_dot2_f32_f16 v65, v81, v93, v65
	;;#ASMEND
	;;#ASMSTART
	v_dot2_f32_f16 v68, v82, v86, v68
	;;#ASMEND
	s_nop 0
	;;#ASMSTART
	v_dot2_f32_f16 v68, v83, v87, v68
	;;#ASMEND
	s_nop 0
	;;#ASMSTART
	v_dot2_f32_f16 v68, v84, v88, v68
	;;#ASMEND
	s_nop 0
	;;#ASMSTART
	v_dot2_f32_f16 v68, v85, v89, v68
	;;#ASMEND
	;;#ASMSTART
	v_dot2_f32_f16 v67, v82, v90, v67
	;;#ASMEND
	s_nop 0
	;;#ASMSTART
	v_dot2_f32_f16 v67, v83, v91, v67
	;;#ASMEND
	s_nop 0
	;;#ASMSTART
	v_dot2_f32_f16 v67, v84, v92, v67
	;;#ASMEND
	s_nop 0
	;;#ASMSTART
	v_dot2_f32_f16 v67, v85, v93, v67
	;;#ASMEND
	s_barrier
	global_load_dwordx4 v[70:73], v[0:1], off offset:768
	s_waitcnt vmcnt(0)
	ds_write_b128 v37, v[70:73]
	global_load_dwordx4 v[70:73], v[2:3], off offset:768
	s_waitcnt vmcnt(0)
	ds_write_b128 v38, v[70:73]
	s_waitcnt lgkmcnt(0)
	s_barrier
	ds_read_b128 v[70:73], v39
	ds_read_b128 v[74:77], v39 offset:4608
	ds_read_b128 v[78:81], v39 offset:9216
	;; [unrolled: 1-line block ×5, first 2 shown]
	s_waitcnt lgkmcnt(1)
	;;#ASMSTART
	v_dot2_f32_f16 v26, v70, v86, v26
	;;#ASMEND
	s_nop 0
	;;#ASMSTART
	v_dot2_f32_f16 v26, v71, v87, v26
	;;#ASMEND
	s_nop 0
	;; [unrolled: 4-line block ×3, first 2 shown]
	;;#ASMSTART
	v_dot2_f32_f16 v26, v73, v89, v26
	;;#ASMEND
	s_waitcnt lgkmcnt(0)
	;;#ASMSTART
	v_dot2_f32_f16 v27, v70, v90, v27
	;;#ASMEND
	s_nop 0
	;;#ASMSTART
	v_dot2_f32_f16 v27, v71, v91, v27
	;;#ASMEND
	s_nop 0
	;;#ASMSTART
	v_dot2_f32_f16 v27, v72, v92, v27
	;;#ASMEND
	s_nop 0
	;;#ASMSTART
	v_dot2_f32_f16 v27, v73, v93, v27
	;;#ASMEND
	;;#ASMSTART
	v_dot2_f32_f16 v64, v74, v86, v64
	;;#ASMEND
	s_nop 0
	;;#ASMSTART
	v_dot2_f32_f16 v64, v75, v87, v64
	;;#ASMEND
	s_nop 0
	;;#ASMSTART
	v_dot2_f32_f16 v64, v76, v88, v64
	;;#ASMEND
	s_nop 0
	;;#ASMSTART
	v_dot2_f32_f16 v64, v77, v89, v64
	;;#ASMEND
	;; [unrolled: 15-line block ×7, first 2 shown]
	ds_read_b128 v[70:73], v39 offset:16
	ds_read_b128 v[74:77], v39 offset:4624
	;; [unrolled: 1-line block ×6, first 2 shown]
	s_waitcnt lgkmcnt(1)
	;;#ASMSTART
	v_dot2_f32_f16 v26, v70, v86, v26
	;;#ASMEND
	s_nop 0
	;;#ASMSTART
	v_dot2_f32_f16 v26, v71, v87, v26
	;;#ASMEND
	s_nop 0
	;; [unrolled: 4-line block ×3, first 2 shown]
	;;#ASMSTART
	v_dot2_f32_f16 v26, v73, v89, v26
	;;#ASMEND
	s_waitcnt lgkmcnt(0)
	;;#ASMSTART
	v_dot2_f32_f16 v27, v70, v90, v27
	;;#ASMEND
	s_nop 0
	;;#ASMSTART
	v_dot2_f32_f16 v27, v71, v91, v27
	;;#ASMEND
	s_nop 0
	;;#ASMSTART
	v_dot2_f32_f16 v27, v72, v92, v27
	;;#ASMEND
	s_nop 0
	;;#ASMSTART
	v_dot2_f32_f16 v27, v73, v93, v27
	;;#ASMEND
	;;#ASMSTART
	v_dot2_f32_f16 v64, v74, v86, v64
	;;#ASMEND
	s_nop 0
	;;#ASMSTART
	v_dot2_f32_f16 v64, v75, v87, v64
	;;#ASMEND
	s_nop 0
	;;#ASMSTART
	v_dot2_f32_f16 v64, v76, v88, v64
	;;#ASMEND
	s_nop 0
	;;#ASMSTART
	v_dot2_f32_f16 v64, v77, v89, v64
	;;#ASMEND
	;; [unrolled: 15-line block ×7, first 2 shown]
	ds_read_b128 v[70:73], v39 offset:32
	ds_read_b128 v[74:77], v39 offset:4640
	;; [unrolled: 1-line block ×6, first 2 shown]
	s_waitcnt lgkmcnt(1)
	;;#ASMSTART
	v_dot2_f32_f16 v26, v70, v86, v26
	;;#ASMEND
	s_nop 0
	;;#ASMSTART
	v_dot2_f32_f16 v26, v71, v87, v26
	;;#ASMEND
	s_nop 0
	;; [unrolled: 4-line block ×3, first 2 shown]
	;;#ASMSTART
	v_dot2_f32_f16 v26, v73, v89, v26
	;;#ASMEND
	s_waitcnt lgkmcnt(0)
	;;#ASMSTART
	v_dot2_f32_f16 v27, v70, v90, v27
	;;#ASMEND
	s_nop 0
	;;#ASMSTART
	v_dot2_f32_f16 v27, v71, v91, v27
	;;#ASMEND
	s_nop 0
	;;#ASMSTART
	v_dot2_f32_f16 v27, v72, v92, v27
	;;#ASMEND
	s_nop 0
	;;#ASMSTART
	v_dot2_f32_f16 v27, v73, v93, v27
	;;#ASMEND
	;;#ASMSTART
	v_dot2_f32_f16 v64, v74, v86, v64
	;;#ASMEND
	s_nop 0
	;;#ASMSTART
	v_dot2_f32_f16 v64, v75, v87, v64
	;;#ASMEND
	s_nop 0
	;;#ASMSTART
	v_dot2_f32_f16 v64, v76, v88, v64
	;;#ASMEND
	s_nop 0
	;;#ASMSTART
	v_dot2_f32_f16 v64, v77, v89, v64
	;;#ASMEND
	;; [unrolled: 15-line block ×7, first 2 shown]
	ds_read_b128 v[70:73], v39 offset:48
	ds_read_b128 v[74:77], v39 offset:4656
	ds_read_b128 v[78:81], v39 offset:9264
	ds_read_b128 v[82:85], v39 offset:13872
	ds_read_b128 v[86:89], v30 offset:816
	ds_read_b128 v[90:93], v30 offset:1840
	s_waitcnt lgkmcnt(1)
	;;#ASMSTART
	v_dot2_f32_f16 v26, v70, v86, v26
	;;#ASMEND
	s_nop 0
	;;#ASMSTART
	v_dot2_f32_f16 v26, v71, v87, v26
	;;#ASMEND
	s_nop 0
	;;#ASMSTART
	v_dot2_f32_f16 v26, v72, v88, v26
	;;#ASMEND
	s_nop 0
	;;#ASMSTART
	v_dot2_f32_f16 v26, v73, v89, v26
	;;#ASMEND
	s_waitcnt lgkmcnt(0)
	;;#ASMSTART
	v_dot2_f32_f16 v27, v70, v90, v27
	;;#ASMEND
	s_nop 0
	;;#ASMSTART
	v_dot2_f32_f16 v27, v71, v91, v27
	;;#ASMEND
	s_nop 0
	;;#ASMSTART
	v_dot2_f32_f16 v27, v72, v92, v27
	;;#ASMEND
	s_nop 0
	;;#ASMSTART
	v_dot2_f32_f16 v27, v73, v93, v27
	;;#ASMEND
	;;#ASMSTART
	v_dot2_f32_f16 v64, v74, v86, v64
	;;#ASMEND
	s_nop 0
	;;#ASMSTART
	v_dot2_f32_f16 v64, v75, v87, v64
	;;#ASMEND
	s_nop 0
	;;#ASMSTART
	v_dot2_f32_f16 v64, v76, v88, v64
	;;#ASMEND
	s_nop 0
	;;#ASMSTART
	v_dot2_f32_f16 v64, v77, v89, v64
	;;#ASMEND
	;; [unrolled: 15-line block ×7, first 2 shown]
	ds_read_b128 v[70:73], v39 offset:64
	ds_read_b128 v[74:77], v39 offset:4672
	;; [unrolled: 1-line block ×6, first 2 shown]
	s_waitcnt lgkmcnt(1)
	;;#ASMSTART
	v_dot2_f32_f16 v26, v70, v86, v26
	;;#ASMEND
	s_nop 0
	;;#ASMSTART
	v_dot2_f32_f16 v26, v71, v87, v26
	;;#ASMEND
	s_nop 0
	;; [unrolled: 4-line block ×3, first 2 shown]
	;;#ASMSTART
	v_dot2_f32_f16 v26, v73, v89, v26
	;;#ASMEND
	s_waitcnt lgkmcnt(0)
	;;#ASMSTART
	v_dot2_f32_f16 v27, v70, v90, v27
	;;#ASMEND
	s_nop 0
	;;#ASMSTART
	v_dot2_f32_f16 v27, v71, v91, v27
	;;#ASMEND
	s_nop 0
	;;#ASMSTART
	v_dot2_f32_f16 v27, v72, v92, v27
	;;#ASMEND
	s_nop 0
	;;#ASMSTART
	v_dot2_f32_f16 v27, v73, v93, v27
	;;#ASMEND
	;;#ASMSTART
	v_dot2_f32_f16 v64, v74, v86, v64
	;;#ASMEND
	s_nop 0
	;;#ASMSTART
	v_dot2_f32_f16 v64, v75, v87, v64
	;;#ASMEND
	s_nop 0
	;;#ASMSTART
	v_dot2_f32_f16 v64, v76, v88, v64
	;;#ASMEND
	s_nop 0
	;;#ASMSTART
	v_dot2_f32_f16 v64, v77, v89, v64
	;;#ASMEND
	;; [unrolled: 15-line block ×7, first 2 shown]
	ds_read_b128 v[70:73], v39 offset:80
	ds_read_b128 v[74:77], v39 offset:4688
	;; [unrolled: 1-line block ×6, first 2 shown]
	s_waitcnt lgkmcnt(1)
	;;#ASMSTART
	v_dot2_f32_f16 v26, v70, v86, v26
	;;#ASMEND
	s_nop 0
	;;#ASMSTART
	v_dot2_f32_f16 v26, v71, v87, v26
	;;#ASMEND
	s_nop 0
	;; [unrolled: 4-line block ×3, first 2 shown]
	;;#ASMSTART
	v_dot2_f32_f16 v26, v73, v89, v26
	;;#ASMEND
	s_waitcnt lgkmcnt(0)
	;;#ASMSTART
	v_dot2_f32_f16 v27, v70, v90, v27
	;;#ASMEND
	s_nop 0
	;;#ASMSTART
	v_dot2_f32_f16 v27, v71, v91, v27
	;;#ASMEND
	s_nop 0
	;;#ASMSTART
	v_dot2_f32_f16 v27, v72, v92, v27
	;;#ASMEND
	s_nop 0
	;;#ASMSTART
	v_dot2_f32_f16 v27, v73, v93, v27
	;;#ASMEND
	;;#ASMSTART
	v_dot2_f32_f16 v64, v74, v86, v64
	;;#ASMEND
	s_nop 0
	;;#ASMSTART
	v_dot2_f32_f16 v64, v75, v87, v64
	;;#ASMEND
	s_nop 0
	;;#ASMSTART
	v_dot2_f32_f16 v64, v76, v88, v64
	;;#ASMEND
	s_nop 0
	;;#ASMSTART
	v_dot2_f32_f16 v64, v77, v89, v64
	;;#ASMEND
	;;#ASMSTART
	v_dot2_f32_f16 v63, v74, v90, v63
	;;#ASMEND
	s_nop 0
	;;#ASMSTART
	v_dot2_f32_f16 v63, v75, v91, v63
	;;#ASMEND
	s_nop 0
	;;#ASMSTART
	v_dot2_f32_f16 v63, v76, v92, v63
	;;#ASMEND
	s_nop 0
	;;#ASMSTART
	v_dot2_f32_f16 v63, v77, v93, v63
	;;#ASMEND
	;;#ASMSTART
	v_dot2_f32_f16 v66, v78, v86, v66
	;;#ASMEND
	s_nop 0
	;;#ASMSTART
	v_dot2_f32_f16 v66, v79, v87, v66
	;;#ASMEND
	s_nop 0
	;;#ASMSTART
	v_dot2_f32_f16 v66, v80, v88, v66
	;;#ASMEND
	s_nop 0
	;;#ASMSTART
	v_dot2_f32_f16 v66, v81, v89, v66
	;;#ASMEND
	;;#ASMSTART
	v_dot2_f32_f16 v65, v78, v90, v65
	;;#ASMEND
	s_nop 0
	;;#ASMSTART
	v_dot2_f32_f16 v65, v79, v91, v65
	;;#ASMEND
	s_nop 0
	;;#ASMSTART
	v_dot2_f32_f16 v65, v80, v92, v65
	;;#ASMEND
	s_nop 0
	;;#ASMSTART
	v_dot2_f32_f16 v65, v81, v93, v65
	;;#ASMEND
	;;#ASMSTART
	v_dot2_f32_f16 v68, v82, v86, v68
	;;#ASMEND
	s_nop 0
	;;#ASMSTART
	v_dot2_f32_f16 v68, v83, v87, v68
	;;#ASMEND
	s_nop 0
	;;#ASMSTART
	v_dot2_f32_f16 v68, v84, v88, v68
	;;#ASMEND
	s_nop 0
	;;#ASMSTART
	v_dot2_f32_f16 v68, v85, v89, v68
	;;#ASMEND
	;;#ASMSTART
	v_dot2_f32_f16 v67, v82, v90, v67
	;;#ASMEND
	s_nop 0
	;;#ASMSTART
	v_dot2_f32_f16 v67, v83, v91, v67
	;;#ASMEND
	s_nop 0
	;;#ASMSTART
	v_dot2_f32_f16 v67, v84, v92, v67
	;;#ASMEND
	s_nop 0
	;;#ASMSTART
	v_dot2_f32_f16 v67, v85, v93, v67
	;;#ASMEND
	ds_read_b128 v[70:73], v39 offset:96
	ds_read_b128 v[74:77], v39 offset:4704
	;; [unrolled: 1-line block ×6, first 2 shown]
	s_waitcnt lgkmcnt(1)
	;;#ASMSTART
	v_dot2_f32_f16 v26, v70, v86, v26
	;;#ASMEND
	s_nop 0
	;;#ASMSTART
	v_dot2_f32_f16 v26, v71, v87, v26
	;;#ASMEND
	s_nop 0
	;; [unrolled: 4-line block ×3, first 2 shown]
	;;#ASMSTART
	v_dot2_f32_f16 v26, v73, v89, v26
	;;#ASMEND
	s_waitcnt lgkmcnt(0)
	;;#ASMSTART
	v_dot2_f32_f16 v27, v70, v90, v27
	;;#ASMEND
	s_nop 0
	;;#ASMSTART
	v_dot2_f32_f16 v27, v71, v91, v27
	;;#ASMEND
	s_nop 0
	;;#ASMSTART
	v_dot2_f32_f16 v27, v72, v92, v27
	;;#ASMEND
	s_nop 0
	;;#ASMSTART
	v_dot2_f32_f16 v27, v73, v93, v27
	;;#ASMEND
	;;#ASMSTART
	v_dot2_f32_f16 v64, v74, v86, v64
	;;#ASMEND
	s_nop 0
	;;#ASMSTART
	v_dot2_f32_f16 v64, v75, v87, v64
	;;#ASMEND
	s_nop 0
	;;#ASMSTART
	v_dot2_f32_f16 v64, v76, v88, v64
	;;#ASMEND
	s_nop 0
	;;#ASMSTART
	v_dot2_f32_f16 v64, v77, v89, v64
	;;#ASMEND
	;; [unrolled: 15-line block ×7, first 2 shown]
	ds_read_b128 v[70:73], v39 offset:112
	ds_read_b128 v[74:77], v39 offset:4720
	;; [unrolled: 1-line block ×6, first 2 shown]
	s_waitcnt lgkmcnt(1)
	;;#ASMSTART
	v_dot2_f32_f16 v26, v70, v86, v26
	;;#ASMEND
	s_nop 0
	;;#ASMSTART
	v_dot2_f32_f16 v26, v71, v87, v26
	;;#ASMEND
	s_nop 0
	;; [unrolled: 4-line block ×3, first 2 shown]
	;;#ASMSTART
	v_dot2_f32_f16 v26, v73, v89, v26
	;;#ASMEND
	s_waitcnt lgkmcnt(0)
	;;#ASMSTART
	v_dot2_f32_f16 v27, v70, v90, v27
	;;#ASMEND
	s_nop 0
	;;#ASMSTART
	v_dot2_f32_f16 v27, v71, v91, v27
	;;#ASMEND
	s_nop 0
	;;#ASMSTART
	v_dot2_f32_f16 v27, v72, v92, v27
	;;#ASMEND
	s_nop 0
	;;#ASMSTART
	v_dot2_f32_f16 v27, v73, v93, v27
	;;#ASMEND
	;;#ASMSTART
	v_dot2_f32_f16 v64, v74, v86, v64
	;;#ASMEND
	s_nop 0
	;;#ASMSTART
	v_dot2_f32_f16 v64, v75, v87, v64
	;;#ASMEND
	s_nop 0
	;;#ASMSTART
	v_dot2_f32_f16 v64, v76, v88, v64
	;;#ASMEND
	s_nop 0
	;;#ASMSTART
	v_dot2_f32_f16 v64, v77, v89, v64
	;;#ASMEND
	;; [unrolled: 15-line block ×7, first 2 shown]
	s_barrier
	global_load_dwordx4 v[70:73], v[0:1], off offset:896
	s_waitcnt vmcnt(0)
	ds_write_b128 v37, v[70:73]
	global_load_dwordx4 v[0:3], v[2:3], off offset:896
	s_waitcnt vmcnt(0)
	ds_write_b128 v38, v[0:3]
	s_waitcnt lgkmcnt(0)
	s_barrier
	ds_read_b128 v[0:3], v39
	ds_read_b128 v[70:73], v39 offset:4608
	ds_read_b128 v[74:77], v39 offset:9216
	;; [unrolled: 1-line block ×5, first 2 shown]
	s_waitcnt lgkmcnt(1)
	;;#ASMSTART
	v_dot2_f32_f16 v26, v0, v82, v26
	;;#ASMEND
	s_nop 0
	;;#ASMSTART
	v_dot2_f32_f16 v26, v1, v83, v26
	;;#ASMEND
	s_nop 0
	;; [unrolled: 4-line block ×3, first 2 shown]
	;;#ASMSTART
	v_dot2_f32_f16 v26, v3, v85, v26
	;;#ASMEND
	s_waitcnt lgkmcnt(0)
	;;#ASMSTART
	v_dot2_f32_f16 v27, v0, v86, v27
	;;#ASMEND
	s_nop 0
	;;#ASMSTART
	v_dot2_f32_f16 v27, v1, v87, v27
	;;#ASMEND
	s_nop 0
	;;#ASMSTART
	v_dot2_f32_f16 v27, v2, v88, v27
	;;#ASMEND
	s_nop 0
	;;#ASMSTART
	v_dot2_f32_f16 v27, v3, v89, v27
	;;#ASMEND
	;;#ASMSTART
	v_dot2_f32_f16 v64, v70, v82, v64
	;;#ASMEND
	s_nop 0
	;;#ASMSTART
	v_dot2_f32_f16 v64, v71, v83, v64
	;;#ASMEND
	s_nop 0
	;;#ASMSTART
	v_dot2_f32_f16 v64, v72, v84, v64
	;;#ASMEND
	s_nop 0
	;;#ASMSTART
	v_dot2_f32_f16 v64, v73, v85, v64
	;;#ASMEND
	;; [unrolled: 15-line block ×7, first 2 shown]
	ds_read_b128 v[0:3], v39 offset:16
	ds_read_b128 v[70:73], v39 offset:4624
	;; [unrolled: 1-line block ×6, first 2 shown]
	s_waitcnt lgkmcnt(1)
	;;#ASMSTART
	v_dot2_f32_f16 v26, v0, v82, v26
	;;#ASMEND
	s_nop 0
	;;#ASMSTART
	v_dot2_f32_f16 v26, v1, v83, v26
	;;#ASMEND
	s_nop 0
	;; [unrolled: 4-line block ×3, first 2 shown]
	;;#ASMSTART
	v_dot2_f32_f16 v26, v3, v85, v26
	;;#ASMEND
	s_waitcnt lgkmcnt(0)
	;;#ASMSTART
	v_dot2_f32_f16 v27, v0, v86, v27
	;;#ASMEND
	s_nop 0
	;;#ASMSTART
	v_dot2_f32_f16 v27, v1, v87, v27
	;;#ASMEND
	s_nop 0
	;;#ASMSTART
	v_dot2_f32_f16 v27, v2, v88, v27
	;;#ASMEND
	s_nop 0
	;;#ASMSTART
	v_dot2_f32_f16 v27, v3, v89, v27
	;;#ASMEND
	;;#ASMSTART
	v_dot2_f32_f16 v64, v70, v82, v64
	;;#ASMEND
	s_nop 0
	;;#ASMSTART
	v_dot2_f32_f16 v64, v71, v83, v64
	;;#ASMEND
	s_nop 0
	;;#ASMSTART
	v_dot2_f32_f16 v64, v72, v84, v64
	;;#ASMEND
	s_nop 0
	;;#ASMSTART
	v_dot2_f32_f16 v64, v73, v85, v64
	;;#ASMEND
	;; [unrolled: 15-line block ×7, first 2 shown]
	ds_read_b128 v[0:3], v39 offset:32
	ds_read_b128 v[70:73], v39 offset:4640
	;; [unrolled: 1-line block ×6, first 2 shown]
	s_waitcnt lgkmcnt(1)
	;;#ASMSTART
	v_dot2_f32_f16 v26, v0, v82, v26
	;;#ASMEND
	s_nop 0
	;;#ASMSTART
	v_dot2_f32_f16 v26, v1, v83, v26
	;;#ASMEND
	s_nop 0
	;; [unrolled: 4-line block ×3, first 2 shown]
	;;#ASMSTART
	v_dot2_f32_f16 v26, v3, v85, v26
	;;#ASMEND
	s_waitcnt lgkmcnt(0)
	;;#ASMSTART
	v_dot2_f32_f16 v27, v0, v86, v27
	;;#ASMEND
	s_nop 0
	;;#ASMSTART
	v_dot2_f32_f16 v27, v1, v87, v27
	;;#ASMEND
	s_nop 0
	;;#ASMSTART
	v_dot2_f32_f16 v27, v2, v88, v27
	;;#ASMEND
	s_nop 0
	;;#ASMSTART
	v_dot2_f32_f16 v27, v3, v89, v27
	;;#ASMEND
	;;#ASMSTART
	v_dot2_f32_f16 v64, v70, v82, v64
	;;#ASMEND
	s_nop 0
	;;#ASMSTART
	v_dot2_f32_f16 v64, v71, v83, v64
	;;#ASMEND
	s_nop 0
	;;#ASMSTART
	v_dot2_f32_f16 v64, v72, v84, v64
	;;#ASMEND
	s_nop 0
	;;#ASMSTART
	v_dot2_f32_f16 v64, v73, v85, v64
	;;#ASMEND
	;; [unrolled: 15-line block ×7, first 2 shown]
	ds_read_b128 v[0:3], v39 offset:48
	ds_read_b128 v[70:73], v39 offset:4656
	;; [unrolled: 1-line block ×6, first 2 shown]
	s_waitcnt lgkmcnt(1)
	;;#ASMSTART
	v_dot2_f32_f16 v26, v0, v82, v26
	;;#ASMEND
	s_nop 0
	;;#ASMSTART
	v_dot2_f32_f16 v26, v1, v83, v26
	;;#ASMEND
	s_nop 0
	;;#ASMSTART
	v_dot2_f32_f16 v26, v2, v84, v26
	;;#ASMEND
	s_nop 0
	;;#ASMSTART
	v_dot2_f32_f16 v26, v3, v85, v26
	;;#ASMEND
	s_waitcnt lgkmcnt(0)
	;;#ASMSTART
	v_dot2_f32_f16 v27, v0, v86, v27
	;;#ASMEND
	s_nop 0
	;;#ASMSTART
	v_dot2_f32_f16 v27, v1, v87, v27
	;;#ASMEND
	s_nop 0
	;;#ASMSTART
	v_dot2_f32_f16 v27, v2, v88, v27
	;;#ASMEND
	s_nop 0
	;;#ASMSTART
	v_dot2_f32_f16 v27, v3, v89, v27
	;;#ASMEND
	;;#ASMSTART
	v_dot2_f32_f16 v64, v70, v82, v64
	;;#ASMEND
	s_nop 0
	;;#ASMSTART
	v_dot2_f32_f16 v64, v71, v83, v64
	;;#ASMEND
	s_nop 0
	;;#ASMSTART
	v_dot2_f32_f16 v64, v72, v84, v64
	;;#ASMEND
	s_nop 0
	;;#ASMSTART
	v_dot2_f32_f16 v64, v73, v85, v64
	;;#ASMEND
	;; [unrolled: 15-line block ×7, first 2 shown]
	ds_read_b128 v[0:3], v39 offset:64
	ds_read_b128 v[70:73], v39 offset:4672
	;; [unrolled: 1-line block ×6, first 2 shown]
	s_waitcnt lgkmcnt(1)
	;;#ASMSTART
	v_dot2_f32_f16 v26, v0, v82, v26
	;;#ASMEND
	s_nop 0
	;;#ASMSTART
	v_dot2_f32_f16 v26, v1, v83, v26
	;;#ASMEND
	s_nop 0
	;; [unrolled: 4-line block ×3, first 2 shown]
	;;#ASMSTART
	v_dot2_f32_f16 v26, v3, v85, v26
	;;#ASMEND
	s_waitcnt lgkmcnt(0)
	;;#ASMSTART
	v_dot2_f32_f16 v27, v0, v86, v27
	;;#ASMEND
	s_nop 0
	;;#ASMSTART
	v_dot2_f32_f16 v27, v1, v87, v27
	;;#ASMEND
	s_nop 0
	;;#ASMSTART
	v_dot2_f32_f16 v27, v2, v88, v27
	;;#ASMEND
	s_nop 0
	;;#ASMSTART
	v_dot2_f32_f16 v27, v3, v89, v27
	;;#ASMEND
	;;#ASMSTART
	v_dot2_f32_f16 v64, v70, v82, v64
	;;#ASMEND
	s_nop 0
	;;#ASMSTART
	v_dot2_f32_f16 v64, v71, v83, v64
	;;#ASMEND
	s_nop 0
	;;#ASMSTART
	v_dot2_f32_f16 v64, v72, v84, v64
	;;#ASMEND
	s_nop 0
	;;#ASMSTART
	v_dot2_f32_f16 v64, v73, v85, v64
	;;#ASMEND
	;; [unrolled: 15-line block ×7, first 2 shown]
	ds_read_b128 v[0:3], v39 offset:80
	ds_read_b128 v[70:73], v39 offset:4688
	;; [unrolled: 1-line block ×6, first 2 shown]
	s_waitcnt lgkmcnt(1)
	;;#ASMSTART
	v_dot2_f32_f16 v26, v0, v82, v26
	;;#ASMEND
	s_nop 0
	;;#ASMSTART
	v_dot2_f32_f16 v26, v1, v83, v26
	;;#ASMEND
	s_nop 0
	;; [unrolled: 4-line block ×3, first 2 shown]
	;;#ASMSTART
	v_dot2_f32_f16 v26, v3, v85, v26
	;;#ASMEND
	s_waitcnt lgkmcnt(0)
	;;#ASMSTART
	v_dot2_f32_f16 v27, v0, v86, v27
	;;#ASMEND
	s_nop 0
	;;#ASMSTART
	v_dot2_f32_f16 v27, v1, v87, v27
	;;#ASMEND
	s_nop 0
	;;#ASMSTART
	v_dot2_f32_f16 v27, v2, v88, v27
	;;#ASMEND
	s_nop 0
	;;#ASMSTART
	v_dot2_f32_f16 v27, v3, v89, v27
	;;#ASMEND
	;;#ASMSTART
	v_dot2_f32_f16 v64, v70, v82, v64
	;;#ASMEND
	s_nop 0
	;;#ASMSTART
	v_dot2_f32_f16 v64, v71, v83, v64
	;;#ASMEND
	s_nop 0
	;;#ASMSTART
	v_dot2_f32_f16 v64, v72, v84, v64
	;;#ASMEND
	s_nop 0
	;;#ASMSTART
	v_dot2_f32_f16 v64, v73, v85, v64
	;;#ASMEND
	;; [unrolled: 15-line block ×7, first 2 shown]
	ds_read_b128 v[0:3], v39 offset:96
	ds_read_b128 v[70:73], v39 offset:4704
	ds_read_b128 v[74:77], v39 offset:9312
	ds_read_b128 v[78:81], v39 offset:13920
	ds_read_b128 v[82:85], v30 offset:992
	ds_read_b128 v[86:89], v30 offset:2016
	s_waitcnt lgkmcnt(1)
	;;#ASMSTART
	v_dot2_f32_f16 v26, v0, v82, v26
	;;#ASMEND
	s_nop 0
	;;#ASMSTART
	v_dot2_f32_f16 v26, v1, v83, v26
	;;#ASMEND
	s_nop 0
	;; [unrolled: 4-line block ×3, first 2 shown]
	;;#ASMSTART
	v_dot2_f32_f16 v26, v3, v85, v26
	;;#ASMEND
	s_waitcnt lgkmcnt(0)
	;;#ASMSTART
	v_dot2_f32_f16 v27, v0, v86, v27
	;;#ASMEND
	s_nop 0
	;;#ASMSTART
	v_dot2_f32_f16 v27, v1, v87, v27
	;;#ASMEND
	s_nop 0
	;;#ASMSTART
	v_dot2_f32_f16 v27, v2, v88, v27
	;;#ASMEND
	s_nop 0
	;;#ASMSTART
	v_dot2_f32_f16 v27, v3, v89, v27
	;;#ASMEND
	;;#ASMSTART
	v_dot2_f32_f16 v64, v70, v82, v64
	;;#ASMEND
	s_nop 0
	;;#ASMSTART
	v_dot2_f32_f16 v64, v71, v83, v64
	;;#ASMEND
	s_nop 0
	;;#ASMSTART
	v_dot2_f32_f16 v64, v72, v84, v64
	;;#ASMEND
	s_nop 0
	;;#ASMSTART
	v_dot2_f32_f16 v64, v73, v85, v64
	;;#ASMEND
	;; [unrolled: 15-line block ×7, first 2 shown]
	ds_read_b128 v[0:3], v39 offset:112
	ds_read_b128 v[70:73], v39 offset:4720
	;; [unrolled: 1-line block ×6, first 2 shown]
	s_waitcnt lgkmcnt(1)
	;;#ASMSTART
	v_dot2_f32_f16 v26, v0, v82, v26
	;;#ASMEND
	s_nop 0
	;;#ASMSTART
	v_dot2_f32_f16 v26, v1, v83, v26
	;;#ASMEND
	s_nop 0
	;; [unrolled: 4-line block ×3, first 2 shown]
	;;#ASMSTART
	v_dot2_f32_f16 v26, v3, v85, v26
	;;#ASMEND
	s_waitcnt lgkmcnt(0)
	;;#ASMSTART
	v_dot2_f32_f16 v27, v0, v86, v27
	;;#ASMEND
	v_add_u32_e32 v0, s2, v22
	;;#ASMSTART
	v_dot2_f32_f16 v27, v1, v87, v27
	;;#ASMEND
	v_cndmask_b32_e32 v1, v23, v36, vcc
	;;#ASMSTART
	v_dot2_f32_f16 v27, v2, v88, v27
	;;#ASMEND
	v_cmp_lt_i32_e32 vcc, v35, v31
	;;#ASMSTART
	v_dot2_f32_f16 v27, v3, v89, v27
	;;#ASMEND
	;;#ASMSTART
	v_dot2_f32_f16 v64, v70, v82, v64
	;;#ASMEND
	v_lshlrev_b32_e32 v2, 2, v1
	;;#ASMSTART
	v_dot2_f32_f16 v64, v71, v83, v64
	;;#ASMEND
	s_nop 0
	;;#ASMSTART
	v_dot2_f32_f16 v64, v72, v84, v64
	;;#ASMEND
	v_cndmask_b32_e32 v1, v23, v35, vcc
	;;#ASMSTART
	v_dot2_f32_f16 v64, v73, v85, v64
	;;#ASMEND
	;;#ASMSTART
	v_dot2_f32_f16 v63, v70, v86, v63
	;;#ASMEND
	v_cmp_lt_i32_e32 vcc, v34, v31
	;;#ASMSTART
	v_dot2_f32_f16 v63, v71, v87, v63
	;;#ASMEND
	v_lshlrev_b32_e32 v3, 2, v1
	;;#ASMSTART
	v_dot2_f32_f16 v63, v72, v88, v63
	;;#ASMEND
	s_nop 0
	;;#ASMSTART
	v_dot2_f32_f16 v63, v73, v89, v63
	;;#ASMEND
	;;#ASMSTART
	v_dot2_f32_f16 v66, v74, v82, v66
	;;#ASMEND
	v_cndmask_b32_e32 v1, v23, v34, vcc
	;;#ASMSTART
	v_dot2_f32_f16 v66, v75, v83, v66
	;;#ASMEND
	v_cmp_lt_i32_e32 vcc, v33, v31
	;;#ASMSTART
	v_dot2_f32_f16 v66, v76, v84, v66
	;;#ASMEND
	v_lshlrev_b32_e32 v69, 2, v1
	;;#ASMSTART
	v_dot2_f32_f16 v66, v77, v85, v66
	;;#ASMEND
	;;#ASMSTART
	v_dot2_f32_f16 v65, v74, v86, v65
	;;#ASMEND
	s_nop 0
	;;#ASMSTART
	v_dot2_f32_f16 v65, v75, v87, v65
	;;#ASMEND
	v_cndmask_b32_e32 v1, v23, v33, vcc
	;;#ASMSTART
	v_dot2_f32_f16 v65, v76, v88, v65
	;;#ASMEND
	v_cmp_lt_i32_e32 vcc, v32, v31
	;;#ASMSTART
	v_dot2_f32_f16 v65, v77, v89, v65
	;;#ASMEND
	;;#ASMSTART
	v_dot2_f32_f16 v68, v78, v82, v68
	;;#ASMEND
	v_lshlrev_b32_e32 v70, 2, v1
	;;#ASMSTART
	v_dot2_f32_f16 v68, v79, v83, v68
	;;#ASMEND
	s_nop 0
	;;#ASMSTART
	v_dot2_f32_f16 v68, v80, v84, v68
	;;#ASMEND
	v_cndmask_b32_e32 v1, v23, v32, vcc
	;;#ASMSTART
	v_dot2_f32_f16 v68, v81, v85, v68
	;;#ASMEND
	;;#ASMSTART
	v_dot2_f32_f16 v67, v78, v86, v67
	;;#ASMEND
	v_lshlrev_b32_e32 v71, 2, v1
	;;#ASMSTART
	v_dot2_f32_f16 v67, v79, v87, v67
	;;#ASMEND
	v_ashrrev_i32_e32 v1, 31, v0
	;;#ASMSTART
	v_dot2_f32_f16 v67, v80, v88, v67
	;;#ASMEND
	v_lshl_add_u64 v[0:1], v[0:1], 1, s[26:27]
	;;#ASMSTART
	v_dot2_f32_f16 v67, v81, v89, v67
	;;#ASMEND
	global_load_ushort v72, v[0:1], off
	global_load_ushort v74, v[0:1], off offset:64
	s_waitcnt vmcnt(1)
	v_cvt_f32_f16_e32 v72, v72
	s_waitcnt vmcnt(0)
	v_cvt_f32_f16_e32 v74, v74
	v_add_f32_e32 v73, v26, v72
	v_add_f32_e32 v64, v64, v74
	;; [unrolled: 1-line block ×4, first 2 shown]
	v_max3_f32 v26, v62, v26, v75
	global_load_ushort v75, v[0:1], off offset:128
	v_add_f32_e32 v63, v63, v74
	global_load_ushort v0, v[0:1], off offset:192
	s_barrier
	s_waitcnt vmcnt(1)
	v_cvt_f32_f16_e32 v75, v75
	s_waitcnt vmcnt(0)
	v_cvt_f32_f16_e32 v0, v0
	v_add_f32_e32 v66, v66, v75
	v_add_f32_e32 v76, 0x40051340, v66
	;; [unrolled: 1-line block ×4, first 2 shown]
	v_max3_f32 v26, v26, v76, v68
	ds_bpermute_b32 v68, v2, v26
	v_add_f32_e32 v65, v65, v75
	v_add_f32_e32 v67, v67, v0
	;; [unrolled: 1-line block ×3, first 2 shown]
	s_waitcnt lgkmcnt(0)
	v_max_f32_e32 v68, v68, v68
	v_max_f32_e32 v26, v26, v68
	ds_bpermute_b32 v68, v3, v26
	s_waitcnt lgkmcnt(0)
	v_max_f32_e32 v68, v68, v68
	v_max_f32_e32 v26, v26, v68
	ds_bpermute_b32 v68, v69, v26
	;; [unrolled: 4-line block ×4, first 2 shown]
	s_waitcnt lgkmcnt(0)
	v_max_f32_e32 v68, v68, v68
	v_max_f32_e32 v26, v26, v68
	v_add_f32_e32 v68, v27, v72
	v_add_f32_e32 v27, 0x40051340, v68
	;; [unrolled: 1-line block ×3, first 2 shown]
	v_max3_f32 v27, v4, v27, v72
	v_add_f32_e32 v72, 0x40051340, v65
	v_max3_f32 v0, v27, v72, v0
	ds_bpermute_b32 v2, v2, v0
	v_sub_f32_e32 v1, v1, v26
	s_waitcnt lgkmcnt(0)
	v_max_f32_e32 v2, v2, v2
	v_max_f32_e32 v0, v0, v2
	ds_bpermute_b32 v2, v3, v0
	v_sub_f32_e32 v3, v62, v26
	s_waitcnt lgkmcnt(0)
	v_max_f32_e32 v2, v2, v2
	v_max_f32_e32 v0, v0, v2
	ds_bpermute_b32 v2, v69, v0
	s_waitcnt lgkmcnt(0)
	v_max_f32_e32 v2, v2, v2
	v_max_f32_e32 v0, v0, v2
	ds_bpermute_b32 v2, v70, v0
	;; [unrolled: 4-line block ×3, first 2 shown]
	s_waitcnt lgkmcnt(0)
	v_max_f32_e32 v2, v2, v2
	v_max_f32_e32 v27, v0, v2
	v_sub_f32_e32 v0, v73, v26
	v_mul_f32_e32 v2, 0x3fb8aa3b, v0
	v_fma_f32 v62, v0, s8, -v2
	v_rndne_f32_e32 v69, v2
	v_fmac_f32_e32 v62, 0x32a5705f, v0
	v_sub_f32_e32 v2, v2, v69
	v_add_f32_e32 v2, v2, v62
	v_exp_f32_e32 v2, v2
	v_cvt_i32_f32_e32 v62, v69
	v_cmp_ngt_f32_e32 vcc, s9, v0
	v_sub_f32_e32 v4, v4, v27
	v_ldexp_f32 v2, v2, v62
	v_cndmask_b32_e32 v2, 0, v2, vcc
	v_cmp_nlt_f32_e32 vcc, s14, v0
	s_nop 1
	v_cndmask_b32_e32 v0, v44, v2, vcc
	v_sub_f32_e32 v2, v64, v26
	v_mul_f32_e32 v62, 0x3fb8aa3b, v2
	v_fma_f32 v64, v2, s8, -v62
	v_rndne_f32_e32 v69, v62
	v_fmac_f32_e32 v64, 0x32a5705f, v2
	v_sub_f32_e32 v62, v62, v69
	v_add_f32_e32 v62, v62, v64
	v_exp_f32_e32 v62, v62
	v_cvt_i32_f32_e32 v64, v69
	v_cmp_ngt_f32_e32 vcc, s9, v2
	v_ldexp_f32 v62, v62, v64
	s_nop 0
	v_cndmask_b32_e32 v62, 0, v62, vcc
	v_cmp_nlt_f32_e32 vcc, s14, v2
	s_nop 1
	v_cndmask_b32_e32 v2, v44, v62, vcc
	v_sub_f32_e32 v62, v66, v26
	v_mul_f32_e32 v64, 0x3fb8aa3b, v62
	v_fma_f32 v66, v62, s8, -v64
	v_rndne_f32_e32 v69, v64
	v_fmac_f32_e32 v66, 0x32a5705f, v62
	v_sub_f32_e32 v64, v64, v69
	v_add_f32_e32 v64, v64, v66
	v_exp_f32_e32 v64, v64
	v_cvt_i32_f32_e32 v66, v69
	v_cmp_ngt_f32_e32 vcc, s9, v62
	v_ldexp_f32 v64, v64, v66
	s_nop 0
	v_cndmask_b32_e32 v64, 0, v64, vcc
	v_cmp_nlt_f32_e32 vcc, s14, v62
	s_nop 1
	v_cndmask_b32_e32 v62, v44, v64, vcc
	v_mul_f32_e32 v64, 0x3fb8aa3b, v1
	v_fma_f32 v66, v1, s8, -v64
	v_rndne_f32_e32 v69, v64
	v_fmac_f32_e32 v66, 0x32a5705f, v1
	v_sub_f32_e32 v64, v64, v69
	v_add_f32_e32 v64, v64, v66
	v_exp_f32_e32 v64, v64
	v_cvt_i32_f32_e32 v66, v69
	v_cmp_ngt_f32_e32 vcc, s9, v1
	v_ldexp_f32 v64, v64, v66
	s_nop 0
	v_cndmask_b32_e32 v64, 0, v64, vcc
	v_cmp_nlt_f32_e32 vcc, s14, v1
	v_mul_f32_e32 v1, 0x3fb8aa3b, v3
	v_fma_f32 v66, v3, s8, -v1
	v_rndne_f32_e32 v69, v1
	v_fmac_f32_e32 v66, 0x32a5705f, v3
	v_sub_f32_e32 v1, v1, v69
	v_add_f32_e32 v1, v1, v66
	v_exp_f32_e32 v1, v1
	v_cvt_i32_f32_e32 v66, v69
	v_cndmask_b32_e32 v64, v44, v64, vcc
	v_cmp_ngt_f32_e32 vcc, s9, v3
	v_ldexp_f32 v1, v1, v66
	s_nop 0
	v_cndmask_b32_e32 v1, 0, v1, vcc
	v_cmp_nlt_f32_e32 vcc, s14, v3
	s_nop 1
	v_cndmask_b32_e32 v66, v44, v1, vcc
	v_cvt_f16_f32_e32 v1, v66
	v_mul_u32_u24_e32 v70, 0x10001, v1
	v_sub_f32_e32 v1, v68, v27
	v_mul_f32_e32 v3, 0x3fb8aa3b, v1
	v_pk_mul_f16 v76, v56, v70
	v_pk_mul_f16 v77, v55, v70
	v_fma_f32 v55, v1, s8, -v3
	v_rndne_f32_e32 v56, v3
	v_fmac_f32_e32 v55, 0x32a5705f, v1
	v_sub_f32_e32 v3, v3, v56
	v_add_f32_e32 v3, v3, v55
	v_exp_f32_e32 v3, v3
	v_cvt_i32_f32_e32 v55, v56
	v_cmp_ngt_f32_e32 vcc, s9, v1
	v_pk_mul_f16 v75, v57, v70
	v_pk_mul_f16 v74, v58, v70
	v_ldexp_f32 v3, v3, v55
	v_cndmask_b32_e32 v3, 0, v3, vcc
	v_cmp_nlt_f32_e32 vcc, s14, v1
	v_pk_mul_f16 v71, v61, v70
	v_pk_mul_f16 v72, v60, v70
	v_cndmask_b32_e32 v1, v44, v3, vcc
	v_sub_f32_e32 v3, v63, v27
	v_mul_f32_e32 v55, 0x3fb8aa3b, v3
	v_fma_f32 v56, v3, s8, -v55
	v_rndne_f32_e32 v57, v55
	v_fmac_f32_e32 v56, 0x32a5705f, v3
	v_sub_f32_e32 v55, v55, v57
	v_add_f32_e32 v55, v55, v56
	v_exp_f32_e32 v55, v55
	v_cvt_i32_f32_e32 v56, v57
	v_cmp_ngt_f32_e32 vcc, s9, v3
	v_pk_mul_f16 v73, v59, v70
	v_ldexp_f32 v55, v55, v56
	v_cndmask_b32_e32 v55, 0, v55, vcc
	v_cmp_nlt_f32_e32 vcc, s14, v3
	s_nop 1
	v_cndmask_b32_e32 v3, v44, v55, vcc
	v_sub_f32_e32 v55, v65, v27
	v_mul_f32_e32 v56, 0x3fb8aa3b, v55
	v_fma_f32 v57, v55, s8, -v56
	v_rndne_f32_e32 v58, v56
	v_fmac_f32_e32 v57, 0x32a5705f, v55
	v_sub_f32_e32 v56, v56, v58
	v_add_f32_e32 v56, v56, v57
	v_exp_f32_e32 v56, v56
	v_cvt_i32_f32_e32 v57, v58
	v_cmp_ngt_f32_e32 vcc, s9, v55
	v_ldexp_f32 v56, v56, v57
	s_nop 0
	v_cndmask_b32_e32 v56, 0, v56, vcc
	v_cmp_nlt_f32_e32 vcc, s14, v55
	v_sub_f32_e32 v55, v67, v27
	s_nop 0
	v_cndmask_b32_e32 v63, v44, v56, vcc
	v_mul_f32_e32 v56, 0x3fb8aa3b, v55
	v_fma_f32 v57, v55, s8, -v56
	v_rndne_f32_e32 v58, v56
	v_fmac_f32_e32 v57, 0x32a5705f, v55
	v_sub_f32_e32 v56, v56, v58
	v_add_f32_e32 v56, v56, v57
	v_exp_f32_e32 v56, v56
	v_cvt_i32_f32_e32 v57, v58
	v_cmp_ngt_f32_e32 vcc, s9, v55
	v_ldexp_f32 v56, v56, v57
	s_nop 0
	v_cndmask_b32_e32 v56, 0, v56, vcc
	v_cmp_nlt_f32_e32 vcc, s14, v55
	v_mul_f32_e32 v55, 0x3fb8aa3b, v4
	v_rndne_f32_e32 v57, v55
	v_cndmask_b32_e32 v65, v44, v56, vcc
	v_fma_f32 v56, v4, s8, -v55
	v_fmac_f32_e32 v56, 0x32a5705f, v4
	v_sub_f32_e32 v55, v55, v57
	v_add_f32_e32 v55, v55, v56
	v_exp_f32_e32 v55, v55
	v_cvt_i32_f32_e32 v56, v57
	v_cmp_ngt_f32_e32 vcc, s9, v4
	v_ldexp_f32 v55, v55, v56
	s_nop 0
	v_cndmask_b32_e32 v55, 0, v55, vcc
	v_cmp_nlt_f32_e32 vcc, s14, v4
	v_pk_add_f32 v[56:57], v[0:1], v[2:3]
	v_cvt_pk_f16_f32 v0, v0, v1
	v_cndmask_b32_e32 v67, v44, v55, vcc
	v_cvt_f16_f32_e32 v4, v67
	v_cvt_pk_f16_f32 v1, v2, v3
	ds_write2_b32 v45, v0, v1 offset1:32
	v_cvt_pk_f16_f32 v0, v62, v63
	v_mul_u32_u24_e32 v4, 0x10001, v4
	v_pk_mul_f16 v81, v9, v4
	v_pk_mul_f16 v82, v8, v4
	v_cvt_pk_f16_f32 v1, v64, v65
	v_lshl_add_u64 v[8:9], s[20:21], 2, v[24:25]
	ds_write2_b32 v45, v0, v1 offset0:64 offset1:96
	global_load_dwordx4 v[0:3], v[8:9], off
	v_pk_add_f32 v[56:57], v[62:63], v[56:57]
	v_pk_mul_f16 v78, v54, v4
	v_pk_add_f32 v[56:57], v[64:65], v[56:57]
	v_pk_mul_f16 v79, v11, v4
	v_pk_fma_f32 v[14:15], v[14:15], v[66:67], v[56:57]
	v_pk_mul_f16 v80, v10, v4
	v_pk_mul_f16 v53, v53, v4
	;; [unrolled: 1-line block ×3, first 2 shown]
	s_or_b32 s20, s2, 16
	s_mul_hi_i32 s21, s20, s10
	s_mul_i32 s20, s20, s10
	s_waitcnt vmcnt(0)
	ds_write_b128 v41, v[0:3]
	global_load_dwordx4 v[0:3], v[8:9], off offset:512
	s_waitcnt vmcnt(0)
	ds_write_b128 v42, v[0:3]
	s_waitcnt lgkmcnt(0)
	s_barrier
	ds_read2_b64 v[8:11], v43 offset1:32
	ds_read2_b64 v[54:57], v43 offset0:64 offset1:96
	ds_read_b128 v[58:61], v40
	ds_read_b128 v[62:65], v40 offset:16
	ds_read_b128 v[66:69], v40 offset:32
	;; [unrolled: 1-line block ×3, first 2 shown]
	s_waitcnt lgkmcnt(3)
	v_mul_u32_u24_sdwa v83, v58, s15 dst_sel:DWORD dst_unused:UNUSED_PAD src0_sel:WORD_0 src1_sel:DWORD
	v_mul_u32_u24_sdwa v58, v58, s15 dst_sel:DWORD dst_unused:UNUSED_PAD src0_sel:WORD_1 src1_sel:DWORD
	v_pk_mul_f16 v84, v8, v83
	v_pk_fma_f16 v71, v9, v83, v71
	v_pk_fma_f16 v70, v6, v70, v84
	v_pk_mul_f16 v6, v8, v58
	v_pk_fma_f16 v78, v9, v58, v78
	v_pk_fma_f16 v84, v5, v4, v6
	;; [unrolled: 1-line block ×8, first 2 shown]
	ds_read2_b64 v[4:7], v43 offset0:128 offset1:160
	ds_read2_b64 v[8:11], v43 offset0:192 offset1:224
	v_pk_fma_f16 v74, v54, v83, v74
	v_pk_fma_f16 v54, v54, v58, v80
	;; [unrolled: 1-line block ×6, first 2 shown]
	v_mul_u32_u24_sdwa v58, v59, s15 dst_sel:DWORD dst_unused:UNUSED_PAD src0_sel:WORD_0 src1_sel:DWORD
	v_mul_u32_u24_sdwa v59, v59, s15 dst_sel:DWORD dst_unused:UNUSED_PAD src0_sel:WORD_1 src1_sel:DWORD
	s_waitcnt lgkmcnt(1)
	v_pk_fma_f16 v70, v4, v58, v70
	v_pk_fma_f16 v80, v4, v59, v84
	v_pk_fma_f16 v71, v5, v58, v71
	v_pk_fma_f16 v78, v5, v59, v78
	v_pk_fma_f16 v72, v6, v58, v72
	v_pk_fma_f16 v53, v6, v59, v53
	v_pk_fma_f16 v73, v7, v58, v73
	v_pk_fma_f16 v79, v7, v59, v79
	s_waitcnt lgkmcnt(0)
	v_pk_fma_f16 v74, v8, v58, v74
	v_pk_fma_f16 v54, v8, v59, v54
	v_pk_fma_f16 v75, v9, v58, v75
	v_pk_fma_f16 v55, v9, v59, v55
	v_pk_fma_f16 v76, v10, v58, v76
	v_pk_fma_f16 v56, v10, v59, v56
	v_pk_fma_f16 v58, v11, v58, v77
	v_pk_fma_f16 v57, v11, v59, v57
	ds_read2_b64 v[4:7], v46 offset1:32
	ds_read2_b64 v[8:11], v46 offset0:64 offset1:96
	v_mul_u32_u24_sdwa v59, v60, s15 dst_sel:DWORD dst_unused:UNUSED_PAD src0_sel:WORD_0 src1_sel:DWORD
	v_mul_u32_u24_sdwa v60, v60, s15 dst_sel:DWORD dst_unused:UNUSED_PAD src0_sel:WORD_1 src1_sel:DWORD
	s_waitcnt lgkmcnt(1)
	v_pk_fma_f16 v70, v4, v59, v70
	v_pk_fma_f16 v77, v4, v60, v80
	v_pk_fma_f16 v71, v5, v59, v71
	v_pk_fma_f16 v78, v5, v60, v78
	v_pk_fma_f16 v72, v6, v59, v72
	v_pk_fma_f16 v53, v6, v60, v53
	v_pk_fma_f16 v73, v7, v59, v73
	v_pk_fma_f16 v79, v7, v60, v79
	s_waitcnt lgkmcnt(0)
	v_pk_fma_f16 v74, v8, v59, v74
	v_pk_fma_f16 v54, v8, v60, v54
	v_pk_fma_f16 v75, v9, v59, v75
	v_pk_fma_f16 v55, v9, v60, v55
	v_pk_fma_f16 v76, v10, v59, v76
	v_pk_fma_f16 v56, v10, v60, v56
	v_pk_fma_f16 v58, v11, v59, v58
	v_pk_fma_f16 v57, v11, v60, v57
	ds_read2_b64 v[4:7], v46 offset0:128 offset1:160
	ds_read2_b64 v[8:11], v46 offset0:192 offset1:224
	v_mul_u32_u24_sdwa v59, v61, s15 dst_sel:DWORD dst_unused:UNUSED_PAD src0_sel:WORD_0 src1_sel:DWORD
	v_mul_u32_u24_sdwa v60, v61, s15 dst_sel:DWORD dst_unused:UNUSED_PAD src0_sel:WORD_1 src1_sel:DWORD
	s_waitcnt lgkmcnt(1)
	v_pk_fma_f16 v61, v4, v59, v70
	v_pk_fma_f16 v70, v4, v60, v77
	v_pk_fma_f16 v71, v5, v59, v71
	v_pk_fma_f16 v77, v5, v60, v78
	v_pk_fma_f16 v72, v6, v59, v72
	v_pk_fma_f16 v53, v6, v60, v53
	v_pk_fma_f16 v73, v7, v59, v73
	v_pk_fma_f16 v78, v7, v60, v79
	s_waitcnt lgkmcnt(0)
	v_pk_fma_f16 v74, v8, v59, v74
	v_pk_fma_f16 v54, v8, v60, v54
	v_pk_fma_f16 v75, v9, v59, v75
	v_pk_fma_f16 v55, v9, v60, v55
	v_pk_fma_f16 v76, v10, v59, v76
	v_pk_fma_f16 v56, v10, v60, v56
	v_pk_fma_f16 v58, v11, v59, v58
	v_pk_fma_f16 v57, v11, v60, v57
	ds_read2_b64 v[4:7], v47 offset1:32
	ds_read2_b64 v[8:11], v47 offset0:64 offset1:96
	v_mul_u32_u24_sdwa v59, v62, s15 dst_sel:DWORD dst_unused:UNUSED_PAD src0_sel:WORD_0 src1_sel:DWORD
	v_mul_u32_u24_sdwa v60, v62, s15 dst_sel:DWORD dst_unused:UNUSED_PAD src0_sel:WORD_1 src1_sel:DWORD
	s_waitcnt lgkmcnt(1)
	v_pk_fma_f16 v61, v4, v59, v61
	v_pk_fma_f16 v62, v4, v60, v70
	v_pk_fma_f16 v70, v5, v59, v71
	v_pk_fma_f16 v71, v5, v60, v77
	v_pk_fma_f16 v72, v6, v59, v72
	v_pk_fma_f16 v53, v6, v60, v53
	v_pk_fma_f16 v73, v7, v59, v73
	v_pk_fma_f16 v77, v7, v60, v78
	s_waitcnt lgkmcnt(0)
	v_pk_fma_f16 v74, v8, v59, v74
	v_pk_fma_f16 v54, v8, v60, v54
	v_pk_fma_f16 v75, v9, v59, v75
	v_pk_fma_f16 v55, v9, v60, v55
	v_pk_fma_f16 v76, v10, v59, v76
	v_pk_fma_f16 v56, v10, v60, v56
	v_pk_fma_f16 v58, v11, v59, v58
	v_pk_fma_f16 v57, v11, v60, v57
	ds_read2_b64 v[4:7], v47 offset0:128 offset1:160
	ds_read2_b64 v[8:11], v47 offset0:192 offset1:224
	;; [unrolled: 44-line block ×7, first 2 shown]
	v_mul_u32_u24_sdwa v2, v3, s15 dst_sel:DWORD dst_unused:UNUSED_PAD src0_sel:WORD_0 src1_sel:DWORD
	v_mul_u32_u24_sdwa v3, v3, s15 dst_sel:DWORD dst_unused:UNUSED_PAD src0_sel:WORD_1 src1_sel:DWORD
	s_waitcnt lgkmcnt(0)
	v_pk_fma_f16 v68, v4, v2, v58
	v_pk_fma_f16 v69, v4, v3, v59
	;; [unrolled: 1-line block ×4, first 2 shown]
	v_lshl_add_u64 v[4:5], s[20:21], 2, v[24:25]
	v_pk_fma_f16 v72, v6, v2, v62
	v_pk_fma_f16 v53, v6, v3, v53
	;; [unrolled: 1-line block ×12, first 2 shown]
	s_barrier
	global_load_dwordx4 v[0:3], v[4:5], off
	s_or_b32 s20, s2, 32
	s_mul_hi_i32 s21, s20, s10
	s_mul_i32 s20, s20, s10
	s_waitcnt vmcnt(0)
	ds_write_b128 v41, v[0:3]
	global_load_dwordx4 v[0:3], v[4:5], off offset:512
	s_waitcnt vmcnt(0)
	ds_write_b128 v42, v[0:3]
	s_waitcnt lgkmcnt(0)
	s_barrier
	ds_read2_b64 v[4:7], v43 offset1:32
	ds_read2_b64 v[8:11], v43 offset0:64 offset1:96
	ds_read_b128 v[54:57], v40 offset:64
	ds_read_b128 v[58:61], v40 offset:80
	;; [unrolled: 1-line block ×4, first 2 shown]
	s_waitcnt lgkmcnt(3)
	v_mul_u32_u24_sdwa v81, v54, s15 dst_sel:DWORD dst_unused:UNUSED_PAD src0_sel:WORD_0 src1_sel:DWORD
	v_mul_u32_u24_sdwa v54, v54, s15 dst_sel:DWORD dst_unused:UNUSED_PAD src0_sel:WORD_1 src1_sel:DWORD
	v_pk_fma_f16 v68, v4, v81, v68
	v_pk_fma_f16 v69, v4, v54, v69
	;; [unrolled: 1-line block ×16, first 2 shown]
	ds_read2_b64 v[4:7], v43 offset0:128 offset1:160
	ds_read2_b64 v[8:11], v43 offset0:192 offset1:224
	v_mul_u32_u24_sdwa v80, v55, s15 dst_sel:DWORD dst_unused:UNUSED_PAD src0_sel:WORD_0 src1_sel:DWORD
	v_mul_u32_u24_sdwa v55, v55, s15 dst_sel:DWORD dst_unused:UNUSED_PAD src0_sel:WORD_1 src1_sel:DWORD
	s_waitcnt lgkmcnt(1)
	v_pk_fma_f16 v68, v4, v80, v68
	v_pk_fma_f16 v69, v4, v55, v69
	v_pk_fma_f16 v70, v5, v80, v70
	v_pk_fma_f16 v71, v5, v55, v71
	v_pk_fma_f16 v72, v6, v80, v72
	v_pk_fma_f16 v53, v6, v55, v53
	v_pk_fma_f16 v73, v7, v80, v73
	v_pk_fma_f16 v74, v7, v55, v74
	s_waitcnt lgkmcnt(0)
	v_pk_fma_f16 v75, v8, v80, v75
	v_pk_fma_f16 v76, v8, v55, v76
	v_pk_fma_f16 v66, v9, v80, v66
	v_pk_fma_f16 v77, v9, v55, v77
	v_pk_fma_f16 v67, v10, v80, v67
	v_pk_fma_f16 v78, v10, v55, v78
	v_pk_fma_f16 v79, v11, v80, v79
	v_pk_fma_f16 v54, v11, v55, v54
	ds_read2_b64 v[4:7], v46 offset1:32
	ds_read2_b64 v[8:11], v46 offset0:64 offset1:96
	v_mul_u32_u24_sdwa v55, v56, s15 dst_sel:DWORD dst_unused:UNUSED_PAD src0_sel:WORD_0 src1_sel:DWORD
	v_mul_u32_u24_sdwa v56, v56, s15 dst_sel:DWORD dst_unused:UNUSED_PAD src0_sel:WORD_1 src1_sel:DWORD
	s_waitcnt lgkmcnt(1)
	v_pk_fma_f16 v68, v4, v55, v68
	v_pk_fma_f16 v69, v4, v56, v69
	v_pk_fma_f16 v70, v5, v55, v70
	v_pk_fma_f16 v71, v5, v56, v71
	v_pk_fma_f16 v72, v6, v55, v72
	v_pk_fma_f16 v53, v6, v56, v53
	v_pk_fma_f16 v73, v7, v55, v73
	v_pk_fma_f16 v74, v7, v56, v74
	s_waitcnt lgkmcnt(0)
	v_pk_fma_f16 v75, v8, v55, v75
	v_pk_fma_f16 v76, v8, v56, v76
	v_pk_fma_f16 v66, v9, v55, v66
	v_pk_fma_f16 v77, v9, v56, v77
	v_pk_fma_f16 v67, v10, v55, v67
	v_pk_fma_f16 v78, v10, v56, v78
	v_pk_fma_f16 v55, v11, v55, v79
	v_pk_fma_f16 v54, v11, v56, v54
	ds_read2_b64 v[4:7], v46 offset0:128 offset1:160
	ds_read2_b64 v[8:11], v46 offset0:192 offset1:224
	v_mul_u32_u24_sdwa v56, v57, s15 dst_sel:DWORD dst_unused:UNUSED_PAD src0_sel:WORD_0 src1_sel:DWORD
	v_mul_u32_u24_sdwa v57, v57, s15 dst_sel:DWORD dst_unused:UNUSED_PAD src0_sel:WORD_1 src1_sel:DWORD
	s_waitcnt lgkmcnt(1)
	v_pk_fma_f16 v68, v4, v56, v68
	v_pk_fma_f16 v69, v4, v57, v69
	v_pk_fma_f16 v70, v5, v56, v70
	v_pk_fma_f16 v71, v5, v57, v71
	v_pk_fma_f16 v72, v6, v56, v72
	v_pk_fma_f16 v53, v6, v57, v53
	v_pk_fma_f16 v73, v7, v56, v73
	v_pk_fma_f16 v74, v7, v57, v74
	s_waitcnt lgkmcnt(0)
	v_pk_fma_f16 v75, v8, v56, v75
	v_pk_fma_f16 v76, v8, v57, v76
	v_pk_fma_f16 v66, v9, v56, v66
	v_pk_fma_f16 v77, v9, v57, v77
	v_pk_fma_f16 v67, v10, v56, v67
	v_pk_fma_f16 v78, v10, v57, v78
	v_pk_fma_f16 v55, v11, v56, v55
	v_pk_fma_f16 v54, v11, v57, v54
	ds_read2_b64 v[4:7], v47 offset1:32
	ds_read2_b64 v[8:11], v47 offset0:64 offset1:96
	v_mul_u32_u24_sdwa v56, v58, s15 dst_sel:DWORD dst_unused:UNUSED_PAD src0_sel:WORD_0 src1_sel:DWORD
	v_mul_u32_u24_sdwa v57, v58, s15 dst_sel:DWORD dst_unused:UNUSED_PAD src0_sel:WORD_1 src1_sel:DWORD
	s_waitcnt lgkmcnt(1)
	v_pk_fma_f16 v58, v4, v56, v68
	v_pk_fma_f16 v68, v4, v57, v69
	v_pk_fma_f16 v69, v5, v56, v70
	v_pk_fma_f16 v70, v5, v57, v71
	v_pk_fma_f16 v71, v6, v56, v72
	v_pk_fma_f16 v53, v6, v57, v53
	v_pk_fma_f16 v72, v7, v56, v73
	v_pk_fma_f16 v73, v7, v57, v74
	s_waitcnt lgkmcnt(0)
	v_pk_fma_f16 v74, v8, v56, v75
	v_pk_fma_f16 v75, v8, v57, v76
	v_pk_fma_f16 v66, v9, v56, v66
	v_pk_fma_f16 v76, v9, v57, v77
	v_pk_fma_f16 v67, v10, v56, v67
	v_pk_fma_f16 v77, v10, v57, v78
	v_pk_fma_f16 v55, v11, v56, v55
	v_pk_fma_f16 v54, v11, v57, v54
	;; [unrolled: 44-line block ×7, first 2 shown]
	ds_read2_b64 v[4:7], v52 offset0:128 offset1:160
	ds_read2_b64 v[8:11], v52 offset0:192 offset1:224
	v_mul_u32_u24_sdwa v2, v3, s15 dst_sel:DWORD dst_unused:UNUSED_PAD src0_sel:WORD_0 src1_sel:DWORD
	v_mul_u32_u24_sdwa v3, v3, s15 dst_sel:DWORD dst_unused:UNUSED_PAD src0_sel:WORD_1 src1_sel:DWORD
	s_waitcnt lgkmcnt(0)
	v_pk_fma_f16 v68, v4, v2, v55
	v_pk_fma_f16 v69, v4, v3, v56
	;; [unrolled: 1-line block ×4, first 2 shown]
	v_lshl_add_u64 v[4:5], s[20:21], 2, v[24:25]
	v_pk_fma_f16 v72, v6, v2, v59
	v_pk_fma_f16 v53, v6, v3, v53
	;; [unrolled: 1-line block ×12, first 2 shown]
	s_barrier
	global_load_dwordx4 v[0:3], v[4:5], off
	s_or_b32 s20, s2, 48
	s_mul_hi_i32 s21, s20, s10
	s_mul_i32 s20, s20, s10
	s_waitcnt vmcnt(0)
	ds_write_b128 v41, v[0:3]
	global_load_dwordx4 v[0:3], v[4:5], off offset:512
	s_waitcnt vmcnt(0)
	ds_write_b128 v42, v[0:3]
	s_waitcnt lgkmcnt(0)
	s_barrier
	ds_read2_b64 v[4:7], v43 offset1:32
	ds_read2_b64 v[8:11], v43 offset0:64 offset1:96
	ds_read_b128 v[54:57], v40 offset:128
	ds_read_b128 v[58:61], v40 offset:144
	;; [unrolled: 1-line block ×4, first 2 shown]
	s_waitcnt lgkmcnt(3)
	v_mul_u32_u24_sdwa v81, v54, s15 dst_sel:DWORD dst_unused:UNUSED_PAD src0_sel:WORD_0 src1_sel:DWORD
	v_mul_u32_u24_sdwa v54, v54, s15 dst_sel:DWORD dst_unused:UNUSED_PAD src0_sel:WORD_1 src1_sel:DWORD
	v_pk_fma_f16 v68, v4, v81, v68
	v_pk_fma_f16 v69, v4, v54, v69
	;; [unrolled: 1-line block ×16, first 2 shown]
	ds_read2_b64 v[4:7], v43 offset0:128 offset1:160
	ds_read2_b64 v[8:11], v43 offset0:192 offset1:224
	v_mul_u32_u24_sdwa v80, v55, s15 dst_sel:DWORD dst_unused:UNUSED_PAD src0_sel:WORD_0 src1_sel:DWORD
	v_mul_u32_u24_sdwa v55, v55, s15 dst_sel:DWORD dst_unused:UNUSED_PAD src0_sel:WORD_1 src1_sel:DWORD
	s_waitcnt lgkmcnt(1)
	v_pk_fma_f16 v68, v4, v80, v68
	v_pk_fma_f16 v69, v4, v55, v69
	v_pk_fma_f16 v70, v5, v80, v70
	v_pk_fma_f16 v71, v5, v55, v71
	v_pk_fma_f16 v72, v6, v80, v72
	v_pk_fma_f16 v53, v6, v55, v53
	v_pk_fma_f16 v73, v7, v80, v73
	v_pk_fma_f16 v74, v7, v55, v74
	s_waitcnt lgkmcnt(0)
	v_pk_fma_f16 v75, v8, v80, v75
	v_pk_fma_f16 v76, v8, v55, v76
	v_pk_fma_f16 v77, v9, v80, v77
	v_pk_fma_f16 v78, v9, v55, v78
	v_pk_fma_f16 v66, v10, v80, v66
	v_pk_fma_f16 v67, v10, v55, v67
	v_pk_fma_f16 v79, v11, v80, v79
	v_pk_fma_f16 v54, v11, v55, v54
	ds_read2_b64 v[4:7], v46 offset1:32
	ds_read2_b64 v[8:11], v46 offset0:64 offset1:96
	v_mul_u32_u24_sdwa v55, v56, s15 dst_sel:DWORD dst_unused:UNUSED_PAD src0_sel:WORD_0 src1_sel:DWORD
	v_mul_u32_u24_sdwa v56, v56, s15 dst_sel:DWORD dst_unused:UNUSED_PAD src0_sel:WORD_1 src1_sel:DWORD
	s_waitcnt lgkmcnt(1)
	v_pk_fma_f16 v68, v4, v55, v68
	v_pk_fma_f16 v69, v4, v56, v69
	v_pk_fma_f16 v70, v5, v55, v70
	v_pk_fma_f16 v71, v5, v56, v71
	v_pk_fma_f16 v72, v6, v55, v72
	v_pk_fma_f16 v53, v6, v56, v53
	v_pk_fma_f16 v73, v7, v55, v73
	v_pk_fma_f16 v74, v7, v56, v74
	s_waitcnt lgkmcnt(0)
	v_pk_fma_f16 v75, v8, v55, v75
	v_pk_fma_f16 v76, v8, v56, v76
	v_pk_fma_f16 v77, v9, v55, v77
	v_pk_fma_f16 v78, v9, v56, v78
	v_pk_fma_f16 v66, v10, v55, v66
	v_pk_fma_f16 v67, v10, v56, v67
	v_pk_fma_f16 v55, v11, v55, v79
	v_pk_fma_f16 v54, v11, v56, v54
	ds_read2_b64 v[4:7], v46 offset0:128 offset1:160
	ds_read2_b64 v[8:11], v46 offset0:192 offset1:224
	v_mul_u32_u24_sdwa v56, v57, s15 dst_sel:DWORD dst_unused:UNUSED_PAD src0_sel:WORD_0 src1_sel:DWORD
	v_mul_u32_u24_sdwa v57, v57, s15 dst_sel:DWORD dst_unused:UNUSED_PAD src0_sel:WORD_1 src1_sel:DWORD
	s_waitcnt lgkmcnt(1)
	v_pk_fma_f16 v68, v4, v56, v68
	v_pk_fma_f16 v69, v4, v57, v69
	v_pk_fma_f16 v70, v5, v56, v70
	v_pk_fma_f16 v71, v5, v57, v71
	v_pk_fma_f16 v72, v6, v56, v72
	v_pk_fma_f16 v53, v6, v57, v53
	v_pk_fma_f16 v73, v7, v56, v73
	v_pk_fma_f16 v74, v7, v57, v74
	s_waitcnt lgkmcnt(0)
	v_pk_fma_f16 v75, v8, v56, v75
	v_pk_fma_f16 v76, v8, v57, v76
	v_pk_fma_f16 v77, v9, v56, v77
	v_pk_fma_f16 v78, v9, v57, v78
	v_pk_fma_f16 v66, v10, v56, v66
	v_pk_fma_f16 v67, v10, v57, v67
	v_pk_fma_f16 v55, v11, v56, v55
	v_pk_fma_f16 v54, v11, v57, v54
	ds_read2_b64 v[4:7], v47 offset1:32
	ds_read2_b64 v[8:11], v47 offset0:64 offset1:96
	v_mul_u32_u24_sdwa v56, v58, s15 dst_sel:DWORD dst_unused:UNUSED_PAD src0_sel:WORD_0 src1_sel:DWORD
	v_mul_u32_u24_sdwa v57, v58, s15 dst_sel:DWORD dst_unused:UNUSED_PAD src0_sel:WORD_1 src1_sel:DWORD
	s_waitcnt lgkmcnt(1)
	v_pk_fma_f16 v58, v4, v56, v68
	v_pk_fma_f16 v68, v4, v57, v69
	v_pk_fma_f16 v69, v5, v56, v70
	v_pk_fma_f16 v70, v5, v57, v71
	v_pk_fma_f16 v71, v6, v56, v72
	v_pk_fma_f16 v53, v6, v57, v53
	v_pk_fma_f16 v72, v7, v56, v73
	v_pk_fma_f16 v73, v7, v57, v74
	s_waitcnt lgkmcnt(0)
	v_pk_fma_f16 v74, v8, v56, v75
	v_pk_fma_f16 v75, v8, v57, v76
	v_pk_fma_f16 v76, v9, v56, v77
	v_pk_fma_f16 v77, v9, v57, v78
	v_pk_fma_f16 v66, v10, v56, v66
	v_pk_fma_f16 v67, v10, v57, v67
	v_pk_fma_f16 v55, v11, v56, v55
	v_pk_fma_f16 v54, v11, v57, v54
	;; [unrolled: 44-line block ×7, first 2 shown]
	ds_read2_b64 v[4:7], v52 offset0:128 offset1:160
	ds_read2_b64 v[8:11], v52 offset0:192 offset1:224
	v_mul_u32_u24_sdwa v2, v3, s15 dst_sel:DWORD dst_unused:UNUSED_PAD src0_sel:WORD_0 src1_sel:DWORD
	v_mul_u32_u24_sdwa v3, v3, s15 dst_sel:DWORD dst_unused:UNUSED_PAD src0_sel:WORD_1 src1_sel:DWORD
	s_waitcnt lgkmcnt(0)
	v_pk_fma_f16 v68, v4, v2, v55
	v_pk_fma_f16 v69, v4, v3, v56
	;; [unrolled: 1-line block ×4, first 2 shown]
	v_lshl_add_u64 v[4:5], s[20:21], 2, v[24:25]
	v_pk_fma_f16 v72, v6, v2, v59
	v_pk_fma_f16 v53, v6, v3, v53
	;; [unrolled: 1-line block ×12, first 2 shown]
	s_barrier
	global_load_dwordx4 v[0:3], v[4:5], off
	s_or_b32 s20, s2, 64
	s_mul_hi_i32 s21, s20, s10
	s_mul_i32 s20, s20, s10
	s_waitcnt vmcnt(0)
	ds_write_b128 v41, v[0:3]
	global_load_dwordx4 v[0:3], v[4:5], off offset:512
	s_waitcnt vmcnt(0)
	ds_write_b128 v42, v[0:3]
	s_waitcnt lgkmcnt(0)
	s_barrier
	ds_read2_b64 v[4:7], v43 offset1:32
	ds_read2_b64 v[8:11], v43 offset0:64 offset1:96
	ds_read_b128 v[54:57], v40 offset:192
	ds_read_b128 v[58:61], v40 offset:208
	;; [unrolled: 1-line block ×4, first 2 shown]
	s_waitcnt lgkmcnt(3)
	v_mul_u32_u24_sdwa v81, v54, s15 dst_sel:DWORD dst_unused:UNUSED_PAD src0_sel:WORD_0 src1_sel:DWORD
	v_mul_u32_u24_sdwa v54, v54, s15 dst_sel:DWORD dst_unused:UNUSED_PAD src0_sel:WORD_1 src1_sel:DWORD
	v_pk_fma_f16 v68, v4, v81, v68
	v_pk_fma_f16 v69, v4, v54, v69
	;; [unrolled: 1-line block ×16, first 2 shown]
	ds_read2_b64 v[4:7], v43 offset0:128 offset1:160
	ds_read2_b64 v[8:11], v43 offset0:192 offset1:224
	v_mul_u32_u24_sdwa v80, v55, s15 dst_sel:DWORD dst_unused:UNUSED_PAD src0_sel:WORD_0 src1_sel:DWORD
	v_mul_u32_u24_sdwa v55, v55, s15 dst_sel:DWORD dst_unused:UNUSED_PAD src0_sel:WORD_1 src1_sel:DWORD
	s_waitcnt lgkmcnt(1)
	v_pk_fma_f16 v68, v4, v80, v68
	v_pk_fma_f16 v69, v4, v55, v69
	v_pk_fma_f16 v70, v5, v80, v70
	v_pk_fma_f16 v71, v5, v55, v71
	v_pk_fma_f16 v72, v6, v80, v72
	v_pk_fma_f16 v53, v6, v55, v53
	v_pk_fma_f16 v73, v7, v80, v73
	v_pk_fma_f16 v74, v7, v55, v74
	s_waitcnt lgkmcnt(0)
	v_pk_fma_f16 v75, v8, v80, v75
	v_pk_fma_f16 v76, v8, v55, v76
	v_pk_fma_f16 v77, v9, v80, v77
	v_pk_fma_f16 v78, v9, v55, v78
	v_pk_fma_f16 v66, v10, v80, v66
	v_pk_fma_f16 v67, v10, v55, v67
	v_pk_fma_f16 v79, v11, v80, v79
	v_pk_fma_f16 v54, v11, v55, v54
	ds_read2_b64 v[4:7], v46 offset1:32
	ds_read2_b64 v[8:11], v46 offset0:64 offset1:96
	v_mul_u32_u24_sdwa v55, v56, s15 dst_sel:DWORD dst_unused:UNUSED_PAD src0_sel:WORD_0 src1_sel:DWORD
	v_mul_u32_u24_sdwa v56, v56, s15 dst_sel:DWORD dst_unused:UNUSED_PAD src0_sel:WORD_1 src1_sel:DWORD
	s_waitcnt lgkmcnt(1)
	v_pk_fma_f16 v68, v4, v55, v68
	v_pk_fma_f16 v69, v4, v56, v69
	v_pk_fma_f16 v70, v5, v55, v70
	v_pk_fma_f16 v71, v5, v56, v71
	v_pk_fma_f16 v72, v6, v55, v72
	v_pk_fma_f16 v53, v6, v56, v53
	v_pk_fma_f16 v73, v7, v55, v73
	v_pk_fma_f16 v74, v7, v56, v74
	s_waitcnt lgkmcnt(0)
	v_pk_fma_f16 v75, v8, v55, v75
	v_pk_fma_f16 v76, v8, v56, v76
	v_pk_fma_f16 v77, v9, v55, v77
	v_pk_fma_f16 v78, v9, v56, v78
	v_pk_fma_f16 v66, v10, v55, v66
	v_pk_fma_f16 v67, v10, v56, v67
	v_pk_fma_f16 v55, v11, v55, v79
	v_pk_fma_f16 v54, v11, v56, v54
	ds_read2_b64 v[4:7], v46 offset0:128 offset1:160
	ds_read2_b64 v[8:11], v46 offset0:192 offset1:224
	v_mul_u32_u24_sdwa v56, v57, s15 dst_sel:DWORD dst_unused:UNUSED_PAD src0_sel:WORD_0 src1_sel:DWORD
	v_mul_u32_u24_sdwa v57, v57, s15 dst_sel:DWORD dst_unused:UNUSED_PAD src0_sel:WORD_1 src1_sel:DWORD
	s_waitcnt lgkmcnt(1)
	v_pk_fma_f16 v68, v4, v56, v68
	v_pk_fma_f16 v69, v4, v57, v69
	v_pk_fma_f16 v70, v5, v56, v70
	v_pk_fma_f16 v71, v5, v57, v71
	v_pk_fma_f16 v72, v6, v56, v72
	v_pk_fma_f16 v53, v6, v57, v53
	v_pk_fma_f16 v73, v7, v56, v73
	v_pk_fma_f16 v74, v7, v57, v74
	s_waitcnt lgkmcnt(0)
	v_pk_fma_f16 v75, v8, v56, v75
	v_pk_fma_f16 v76, v8, v57, v76
	v_pk_fma_f16 v77, v9, v56, v77
	v_pk_fma_f16 v78, v9, v57, v78
	v_pk_fma_f16 v66, v10, v56, v66
	v_pk_fma_f16 v67, v10, v57, v67
	v_pk_fma_f16 v55, v11, v56, v55
	v_pk_fma_f16 v54, v11, v57, v54
	ds_read2_b64 v[4:7], v47 offset1:32
	ds_read2_b64 v[8:11], v47 offset0:64 offset1:96
	v_mul_u32_u24_sdwa v56, v58, s15 dst_sel:DWORD dst_unused:UNUSED_PAD src0_sel:WORD_0 src1_sel:DWORD
	v_mul_u32_u24_sdwa v57, v58, s15 dst_sel:DWORD dst_unused:UNUSED_PAD src0_sel:WORD_1 src1_sel:DWORD
	s_waitcnt lgkmcnt(1)
	v_pk_fma_f16 v58, v4, v56, v68
	v_pk_fma_f16 v68, v4, v57, v69
	v_pk_fma_f16 v69, v5, v56, v70
	v_pk_fma_f16 v70, v5, v57, v71
	v_pk_fma_f16 v71, v6, v56, v72
	v_pk_fma_f16 v53, v6, v57, v53
	v_pk_fma_f16 v72, v7, v56, v73
	v_pk_fma_f16 v73, v7, v57, v74
	s_waitcnt lgkmcnt(0)
	v_pk_fma_f16 v74, v8, v56, v75
	v_pk_fma_f16 v75, v8, v57, v76
	v_pk_fma_f16 v76, v9, v56, v77
	v_pk_fma_f16 v77, v9, v57, v78
	v_pk_fma_f16 v66, v10, v56, v66
	v_pk_fma_f16 v67, v10, v57, v67
	v_pk_fma_f16 v55, v11, v56, v55
	v_pk_fma_f16 v54, v11, v57, v54
	;; [unrolled: 44-line block ×7, first 2 shown]
	ds_read2_b64 v[4:7], v52 offset0:128 offset1:160
	ds_read2_b64 v[8:11], v52 offset0:192 offset1:224
	v_mul_u32_u24_sdwa v2, v3, s15 dst_sel:DWORD dst_unused:UNUSED_PAD src0_sel:WORD_0 src1_sel:DWORD
	v_mul_u32_u24_sdwa v3, v3, s15 dst_sel:DWORD dst_unused:UNUSED_PAD src0_sel:WORD_1 src1_sel:DWORD
	s_waitcnt lgkmcnt(0)
	v_pk_fma_f16 v68, v4, v2, v55
	v_pk_fma_f16 v69, v4, v3, v56
	;; [unrolled: 1-line block ×4, first 2 shown]
	v_lshl_add_u64 v[4:5], s[20:21], 2, v[24:25]
	v_pk_fma_f16 v72, v6, v2, v59
	v_pk_fma_f16 v53, v6, v3, v53
	;; [unrolled: 1-line block ×12, first 2 shown]
	s_barrier
	global_load_dwordx4 v[0:3], v[4:5], off
	s_or_b32 s20, s2, 0x50
	s_mul_hi_i32 s21, s20, s10
	s_mul_i32 s20, s20, s10
	s_waitcnt vmcnt(0)
	ds_write_b128 v41, v[0:3]
	global_load_dwordx4 v[0:3], v[4:5], off offset:512
	s_waitcnt vmcnt(0)
	ds_write_b128 v42, v[0:3]
	s_waitcnt lgkmcnt(0)
	s_barrier
	ds_read2_b64 v[4:7], v43 offset1:32
	ds_read2_b64 v[8:11], v43 offset0:64 offset1:96
	ds_read_b128 v[54:57], v40 offset:256
	ds_read_b128 v[58:61], v40 offset:272
	;; [unrolled: 1-line block ×4, first 2 shown]
	s_waitcnt lgkmcnt(3)
	v_mul_u32_u24_sdwa v81, v54, s15 dst_sel:DWORD dst_unused:UNUSED_PAD src0_sel:WORD_0 src1_sel:DWORD
	v_mul_u32_u24_sdwa v54, v54, s15 dst_sel:DWORD dst_unused:UNUSED_PAD src0_sel:WORD_1 src1_sel:DWORD
	v_pk_fma_f16 v68, v4, v81, v68
	v_pk_fma_f16 v69, v4, v54, v69
	;; [unrolled: 1-line block ×16, first 2 shown]
	ds_read2_b64 v[4:7], v43 offset0:128 offset1:160
	ds_read2_b64 v[8:11], v43 offset0:192 offset1:224
	v_mul_u32_u24_sdwa v80, v55, s15 dst_sel:DWORD dst_unused:UNUSED_PAD src0_sel:WORD_0 src1_sel:DWORD
	v_mul_u32_u24_sdwa v55, v55, s15 dst_sel:DWORD dst_unused:UNUSED_PAD src0_sel:WORD_1 src1_sel:DWORD
	s_waitcnt lgkmcnt(1)
	v_pk_fma_f16 v68, v4, v80, v68
	v_pk_fma_f16 v69, v4, v55, v69
	v_pk_fma_f16 v70, v5, v80, v70
	v_pk_fma_f16 v71, v5, v55, v71
	v_pk_fma_f16 v72, v6, v80, v72
	v_pk_fma_f16 v53, v6, v55, v53
	v_pk_fma_f16 v73, v7, v80, v73
	v_pk_fma_f16 v74, v7, v55, v74
	s_waitcnt lgkmcnt(0)
	v_pk_fma_f16 v75, v8, v80, v75
	v_pk_fma_f16 v76, v8, v55, v76
	v_pk_fma_f16 v77, v9, v80, v77
	v_pk_fma_f16 v78, v9, v55, v78
	v_pk_fma_f16 v66, v10, v80, v66
	v_pk_fma_f16 v67, v10, v55, v67
	v_pk_fma_f16 v79, v11, v80, v79
	v_pk_fma_f16 v54, v11, v55, v54
	ds_read2_b64 v[4:7], v46 offset1:32
	ds_read2_b64 v[8:11], v46 offset0:64 offset1:96
	v_mul_u32_u24_sdwa v55, v56, s15 dst_sel:DWORD dst_unused:UNUSED_PAD src0_sel:WORD_0 src1_sel:DWORD
	v_mul_u32_u24_sdwa v56, v56, s15 dst_sel:DWORD dst_unused:UNUSED_PAD src0_sel:WORD_1 src1_sel:DWORD
	s_waitcnt lgkmcnt(1)
	v_pk_fma_f16 v68, v4, v55, v68
	v_pk_fma_f16 v69, v4, v56, v69
	v_pk_fma_f16 v70, v5, v55, v70
	v_pk_fma_f16 v71, v5, v56, v71
	v_pk_fma_f16 v72, v6, v55, v72
	v_pk_fma_f16 v53, v6, v56, v53
	v_pk_fma_f16 v73, v7, v55, v73
	v_pk_fma_f16 v74, v7, v56, v74
	s_waitcnt lgkmcnt(0)
	v_pk_fma_f16 v75, v8, v55, v75
	v_pk_fma_f16 v76, v8, v56, v76
	v_pk_fma_f16 v77, v9, v55, v77
	v_pk_fma_f16 v78, v9, v56, v78
	v_pk_fma_f16 v66, v10, v55, v66
	v_pk_fma_f16 v67, v10, v56, v67
	v_pk_fma_f16 v55, v11, v55, v79
	v_pk_fma_f16 v54, v11, v56, v54
	ds_read2_b64 v[4:7], v46 offset0:128 offset1:160
	ds_read2_b64 v[8:11], v46 offset0:192 offset1:224
	v_mul_u32_u24_sdwa v56, v57, s15 dst_sel:DWORD dst_unused:UNUSED_PAD src0_sel:WORD_0 src1_sel:DWORD
	v_mul_u32_u24_sdwa v57, v57, s15 dst_sel:DWORD dst_unused:UNUSED_PAD src0_sel:WORD_1 src1_sel:DWORD
	s_waitcnt lgkmcnt(1)
	v_pk_fma_f16 v68, v4, v56, v68
	v_pk_fma_f16 v69, v4, v57, v69
	v_pk_fma_f16 v70, v5, v56, v70
	v_pk_fma_f16 v71, v5, v57, v71
	v_pk_fma_f16 v72, v6, v56, v72
	v_pk_fma_f16 v53, v6, v57, v53
	v_pk_fma_f16 v73, v7, v56, v73
	v_pk_fma_f16 v74, v7, v57, v74
	s_waitcnt lgkmcnt(0)
	v_pk_fma_f16 v75, v8, v56, v75
	v_pk_fma_f16 v76, v8, v57, v76
	v_pk_fma_f16 v77, v9, v56, v77
	v_pk_fma_f16 v78, v9, v57, v78
	v_pk_fma_f16 v66, v10, v56, v66
	v_pk_fma_f16 v67, v10, v57, v67
	v_pk_fma_f16 v55, v11, v56, v55
	v_pk_fma_f16 v54, v11, v57, v54
	ds_read2_b64 v[4:7], v47 offset1:32
	ds_read2_b64 v[8:11], v47 offset0:64 offset1:96
	v_mul_u32_u24_sdwa v56, v58, s15 dst_sel:DWORD dst_unused:UNUSED_PAD src0_sel:WORD_0 src1_sel:DWORD
	v_mul_u32_u24_sdwa v57, v58, s15 dst_sel:DWORD dst_unused:UNUSED_PAD src0_sel:WORD_1 src1_sel:DWORD
	s_waitcnt lgkmcnt(1)
	v_pk_fma_f16 v58, v4, v56, v68
	v_pk_fma_f16 v68, v4, v57, v69
	v_pk_fma_f16 v69, v5, v56, v70
	v_pk_fma_f16 v70, v5, v57, v71
	v_pk_fma_f16 v71, v6, v56, v72
	v_pk_fma_f16 v53, v6, v57, v53
	v_pk_fma_f16 v72, v7, v56, v73
	v_pk_fma_f16 v73, v7, v57, v74
	s_waitcnt lgkmcnt(0)
	v_pk_fma_f16 v74, v8, v56, v75
	v_pk_fma_f16 v75, v8, v57, v76
	v_pk_fma_f16 v76, v9, v56, v77
	v_pk_fma_f16 v77, v9, v57, v78
	v_pk_fma_f16 v66, v10, v56, v66
	v_pk_fma_f16 v67, v10, v57, v67
	v_pk_fma_f16 v55, v11, v56, v55
	v_pk_fma_f16 v54, v11, v57, v54
	;; [unrolled: 44-line block ×7, first 2 shown]
	ds_read2_b64 v[4:7], v52 offset0:128 offset1:160
	ds_read2_b64 v[8:11], v52 offset0:192 offset1:224
	v_mul_u32_u24_sdwa v2, v3, s15 dst_sel:DWORD dst_unused:UNUSED_PAD src0_sel:WORD_0 src1_sel:DWORD
	v_mul_u32_u24_sdwa v3, v3, s15 dst_sel:DWORD dst_unused:UNUSED_PAD src0_sel:WORD_1 src1_sel:DWORD
	s_waitcnt lgkmcnt(0)
	v_pk_fma_f16 v68, v4, v2, v55
	v_pk_fma_f16 v69, v4, v3, v56
	;; [unrolled: 1-line block ×4, first 2 shown]
	v_lshl_add_u64 v[4:5], s[20:21], 2, v[24:25]
	v_pk_fma_f16 v72, v6, v2, v59
	v_pk_fma_f16 v53, v6, v3, v53
	;; [unrolled: 1-line block ×12, first 2 shown]
	s_barrier
	global_load_dwordx4 v[0:3], v[4:5], off
	s_or_b32 s20, s2, 0x60
	s_mul_hi_i32 s21, s20, s10
	s_mul_i32 s20, s20, s10
	s_waitcnt vmcnt(0)
	ds_write_b128 v41, v[0:3]
	global_load_dwordx4 v[0:3], v[4:5], off offset:512
	s_waitcnt vmcnt(0)
	ds_write_b128 v42, v[0:3]
	s_waitcnt lgkmcnt(0)
	s_barrier
	ds_read2_b64 v[4:7], v43 offset1:32
	ds_read2_b64 v[8:11], v43 offset0:64 offset1:96
	ds_read_b128 v[54:57], v40 offset:320
	ds_read_b128 v[58:61], v40 offset:336
	;; [unrolled: 1-line block ×4, first 2 shown]
	s_waitcnt lgkmcnt(3)
	v_mul_u32_u24_sdwa v81, v54, s15 dst_sel:DWORD dst_unused:UNUSED_PAD src0_sel:WORD_0 src1_sel:DWORD
	v_mul_u32_u24_sdwa v54, v54, s15 dst_sel:DWORD dst_unused:UNUSED_PAD src0_sel:WORD_1 src1_sel:DWORD
	v_pk_fma_f16 v68, v4, v81, v68
	v_pk_fma_f16 v69, v4, v54, v69
	;; [unrolled: 1-line block ×16, first 2 shown]
	ds_read2_b64 v[4:7], v43 offset0:128 offset1:160
	ds_read2_b64 v[8:11], v43 offset0:192 offset1:224
	v_mul_u32_u24_sdwa v80, v55, s15 dst_sel:DWORD dst_unused:UNUSED_PAD src0_sel:WORD_0 src1_sel:DWORD
	v_mul_u32_u24_sdwa v55, v55, s15 dst_sel:DWORD dst_unused:UNUSED_PAD src0_sel:WORD_1 src1_sel:DWORD
	s_waitcnt lgkmcnt(1)
	v_pk_fma_f16 v68, v4, v80, v68
	v_pk_fma_f16 v69, v4, v55, v69
	v_pk_fma_f16 v70, v5, v80, v70
	v_pk_fma_f16 v71, v5, v55, v71
	v_pk_fma_f16 v72, v6, v80, v72
	v_pk_fma_f16 v53, v6, v55, v53
	v_pk_fma_f16 v73, v7, v80, v73
	v_pk_fma_f16 v74, v7, v55, v74
	s_waitcnt lgkmcnt(0)
	v_pk_fma_f16 v75, v8, v80, v75
	v_pk_fma_f16 v76, v8, v55, v76
	v_pk_fma_f16 v77, v9, v80, v77
	v_pk_fma_f16 v78, v9, v55, v78
	v_pk_fma_f16 v66, v10, v80, v66
	v_pk_fma_f16 v67, v10, v55, v67
	v_pk_fma_f16 v79, v11, v80, v79
	v_pk_fma_f16 v54, v11, v55, v54
	ds_read2_b64 v[4:7], v46 offset1:32
	ds_read2_b64 v[8:11], v46 offset0:64 offset1:96
	v_mul_u32_u24_sdwa v55, v56, s15 dst_sel:DWORD dst_unused:UNUSED_PAD src0_sel:WORD_0 src1_sel:DWORD
	v_mul_u32_u24_sdwa v56, v56, s15 dst_sel:DWORD dst_unused:UNUSED_PAD src0_sel:WORD_1 src1_sel:DWORD
	s_waitcnt lgkmcnt(1)
	v_pk_fma_f16 v68, v4, v55, v68
	v_pk_fma_f16 v69, v4, v56, v69
	v_pk_fma_f16 v70, v5, v55, v70
	v_pk_fma_f16 v71, v5, v56, v71
	v_pk_fma_f16 v72, v6, v55, v72
	v_pk_fma_f16 v53, v6, v56, v53
	v_pk_fma_f16 v73, v7, v55, v73
	v_pk_fma_f16 v74, v7, v56, v74
	s_waitcnt lgkmcnt(0)
	v_pk_fma_f16 v75, v8, v55, v75
	v_pk_fma_f16 v76, v8, v56, v76
	v_pk_fma_f16 v77, v9, v55, v77
	v_pk_fma_f16 v78, v9, v56, v78
	v_pk_fma_f16 v66, v10, v55, v66
	v_pk_fma_f16 v67, v10, v56, v67
	v_pk_fma_f16 v55, v11, v55, v79
	v_pk_fma_f16 v54, v11, v56, v54
	ds_read2_b64 v[4:7], v46 offset0:128 offset1:160
	ds_read2_b64 v[8:11], v46 offset0:192 offset1:224
	v_mul_u32_u24_sdwa v56, v57, s15 dst_sel:DWORD dst_unused:UNUSED_PAD src0_sel:WORD_0 src1_sel:DWORD
	v_mul_u32_u24_sdwa v57, v57, s15 dst_sel:DWORD dst_unused:UNUSED_PAD src0_sel:WORD_1 src1_sel:DWORD
	s_waitcnt lgkmcnt(1)
	v_pk_fma_f16 v68, v4, v56, v68
	v_pk_fma_f16 v69, v4, v57, v69
	v_pk_fma_f16 v70, v5, v56, v70
	v_pk_fma_f16 v71, v5, v57, v71
	v_pk_fma_f16 v72, v6, v56, v72
	v_pk_fma_f16 v53, v6, v57, v53
	v_pk_fma_f16 v73, v7, v56, v73
	v_pk_fma_f16 v74, v7, v57, v74
	s_waitcnt lgkmcnt(0)
	v_pk_fma_f16 v75, v8, v56, v75
	v_pk_fma_f16 v76, v8, v57, v76
	v_pk_fma_f16 v77, v9, v56, v77
	v_pk_fma_f16 v78, v9, v57, v78
	v_pk_fma_f16 v66, v10, v56, v66
	v_pk_fma_f16 v67, v10, v57, v67
	v_pk_fma_f16 v55, v11, v56, v55
	v_pk_fma_f16 v54, v11, v57, v54
	ds_read2_b64 v[4:7], v47 offset1:32
	ds_read2_b64 v[8:11], v47 offset0:64 offset1:96
	v_mul_u32_u24_sdwa v56, v58, s15 dst_sel:DWORD dst_unused:UNUSED_PAD src0_sel:WORD_0 src1_sel:DWORD
	v_mul_u32_u24_sdwa v57, v58, s15 dst_sel:DWORD dst_unused:UNUSED_PAD src0_sel:WORD_1 src1_sel:DWORD
	s_waitcnt lgkmcnt(1)
	v_pk_fma_f16 v58, v4, v56, v68
	v_pk_fma_f16 v68, v4, v57, v69
	v_pk_fma_f16 v69, v5, v56, v70
	v_pk_fma_f16 v70, v5, v57, v71
	v_pk_fma_f16 v71, v6, v56, v72
	v_pk_fma_f16 v53, v6, v57, v53
	v_pk_fma_f16 v72, v7, v56, v73
	v_pk_fma_f16 v73, v7, v57, v74
	s_waitcnt lgkmcnt(0)
	v_pk_fma_f16 v74, v8, v56, v75
	v_pk_fma_f16 v75, v8, v57, v76
	v_pk_fma_f16 v76, v9, v56, v77
	v_pk_fma_f16 v77, v9, v57, v78
	v_pk_fma_f16 v66, v10, v56, v66
	v_pk_fma_f16 v67, v10, v57, v67
	v_pk_fma_f16 v55, v11, v56, v55
	v_pk_fma_f16 v54, v11, v57, v54
	;; [unrolled: 44-line block ×7, first 2 shown]
	ds_read2_b64 v[4:7], v52 offset0:128 offset1:160
	ds_read2_b64 v[8:11], v52 offset0:192 offset1:224
	v_mul_u32_u24_sdwa v2, v3, s15 dst_sel:DWORD dst_unused:UNUSED_PAD src0_sel:WORD_0 src1_sel:DWORD
	v_mul_u32_u24_sdwa v3, v3, s15 dst_sel:DWORD dst_unused:UNUSED_PAD src0_sel:WORD_1 src1_sel:DWORD
	s_waitcnt lgkmcnt(0)
	v_pk_fma_f16 v68, v4, v2, v55
	v_pk_fma_f16 v69, v4, v3, v56
	;; [unrolled: 1-line block ×4, first 2 shown]
	v_lshl_add_u64 v[4:5], s[20:21], 2, v[24:25]
	v_pk_fma_f16 v72, v6, v2, v59
	v_pk_fma_f16 v53, v6, v3, v53
	;; [unrolled: 1-line block ×12, first 2 shown]
	s_barrier
	global_load_dwordx4 v[0:3], v[4:5], off
	s_or_b32 s20, s2, 0x70
	s_mul_hi_i32 s21, s20, s10
	s_mul_i32 s20, s20, s10
	s_waitcnt vmcnt(0)
	ds_write_b128 v41, v[0:3]
	global_load_dwordx4 v[0:3], v[4:5], off offset:512
	s_waitcnt vmcnt(0)
	ds_write_b128 v42, v[0:3]
	s_waitcnt lgkmcnt(0)
	s_barrier
	ds_read2_b64 v[4:7], v43 offset1:32
	ds_read2_b64 v[8:11], v43 offset0:64 offset1:96
	ds_read_b128 v[54:57], v40 offset:384
	ds_read_b128 v[58:61], v40 offset:400
	;; [unrolled: 1-line block ×4, first 2 shown]
	s_waitcnt lgkmcnt(3)
	v_mul_u32_u24_sdwa v81, v54, s15 dst_sel:DWORD dst_unused:UNUSED_PAD src0_sel:WORD_0 src1_sel:DWORD
	v_mul_u32_u24_sdwa v54, v54, s15 dst_sel:DWORD dst_unused:UNUSED_PAD src0_sel:WORD_1 src1_sel:DWORD
	v_pk_fma_f16 v68, v4, v81, v68
	v_pk_fma_f16 v69, v4, v54, v69
	;; [unrolled: 1-line block ×16, first 2 shown]
	ds_read2_b64 v[4:7], v43 offset0:128 offset1:160
	ds_read2_b64 v[8:11], v43 offset0:192 offset1:224
	v_mul_u32_u24_sdwa v80, v55, s15 dst_sel:DWORD dst_unused:UNUSED_PAD src0_sel:WORD_0 src1_sel:DWORD
	v_mul_u32_u24_sdwa v55, v55, s15 dst_sel:DWORD dst_unused:UNUSED_PAD src0_sel:WORD_1 src1_sel:DWORD
	s_waitcnt lgkmcnt(1)
	v_pk_fma_f16 v68, v4, v80, v68
	v_pk_fma_f16 v69, v4, v55, v69
	v_pk_fma_f16 v70, v5, v80, v70
	v_pk_fma_f16 v71, v5, v55, v71
	v_pk_fma_f16 v72, v6, v80, v72
	v_pk_fma_f16 v53, v6, v55, v53
	v_pk_fma_f16 v73, v7, v80, v73
	v_pk_fma_f16 v74, v7, v55, v74
	s_waitcnt lgkmcnt(0)
	v_pk_fma_f16 v75, v8, v80, v75
	v_pk_fma_f16 v76, v8, v55, v76
	v_pk_fma_f16 v77, v9, v80, v77
	v_pk_fma_f16 v78, v9, v55, v78
	v_pk_fma_f16 v66, v10, v80, v66
	v_pk_fma_f16 v67, v10, v55, v67
	v_pk_fma_f16 v79, v11, v80, v79
	v_pk_fma_f16 v54, v11, v55, v54
	ds_read2_b64 v[4:7], v46 offset1:32
	ds_read2_b64 v[8:11], v46 offset0:64 offset1:96
	v_mul_u32_u24_sdwa v55, v56, s15 dst_sel:DWORD dst_unused:UNUSED_PAD src0_sel:WORD_0 src1_sel:DWORD
	v_mul_u32_u24_sdwa v56, v56, s15 dst_sel:DWORD dst_unused:UNUSED_PAD src0_sel:WORD_1 src1_sel:DWORD
	s_waitcnt lgkmcnt(1)
	v_pk_fma_f16 v68, v4, v55, v68
	v_pk_fma_f16 v69, v4, v56, v69
	v_pk_fma_f16 v70, v5, v55, v70
	v_pk_fma_f16 v71, v5, v56, v71
	v_pk_fma_f16 v72, v6, v55, v72
	v_pk_fma_f16 v53, v6, v56, v53
	v_pk_fma_f16 v73, v7, v55, v73
	v_pk_fma_f16 v74, v7, v56, v74
	s_waitcnt lgkmcnt(0)
	v_pk_fma_f16 v75, v8, v55, v75
	v_pk_fma_f16 v76, v8, v56, v76
	v_pk_fma_f16 v77, v9, v55, v77
	v_pk_fma_f16 v78, v9, v56, v78
	v_pk_fma_f16 v66, v10, v55, v66
	v_pk_fma_f16 v67, v10, v56, v67
	v_pk_fma_f16 v55, v11, v55, v79
	v_pk_fma_f16 v54, v11, v56, v54
	ds_read2_b64 v[4:7], v46 offset0:128 offset1:160
	ds_read2_b64 v[8:11], v46 offset0:192 offset1:224
	v_mul_u32_u24_sdwa v56, v57, s15 dst_sel:DWORD dst_unused:UNUSED_PAD src0_sel:WORD_0 src1_sel:DWORD
	v_mul_u32_u24_sdwa v57, v57, s15 dst_sel:DWORD dst_unused:UNUSED_PAD src0_sel:WORD_1 src1_sel:DWORD
	s_waitcnt lgkmcnt(1)
	v_pk_fma_f16 v68, v4, v56, v68
	v_pk_fma_f16 v69, v4, v57, v69
	v_pk_fma_f16 v70, v5, v56, v70
	v_pk_fma_f16 v71, v5, v57, v71
	v_pk_fma_f16 v72, v6, v56, v72
	v_pk_fma_f16 v53, v6, v57, v53
	v_pk_fma_f16 v73, v7, v56, v73
	v_pk_fma_f16 v74, v7, v57, v74
	s_waitcnt lgkmcnt(0)
	v_pk_fma_f16 v75, v8, v56, v75
	v_pk_fma_f16 v76, v8, v57, v76
	v_pk_fma_f16 v77, v9, v56, v77
	v_pk_fma_f16 v78, v9, v57, v78
	v_pk_fma_f16 v66, v10, v56, v66
	v_pk_fma_f16 v67, v10, v57, v67
	v_pk_fma_f16 v55, v11, v56, v55
	v_pk_fma_f16 v54, v11, v57, v54
	ds_read2_b64 v[4:7], v47 offset1:32
	ds_read2_b64 v[8:11], v47 offset0:64 offset1:96
	v_mul_u32_u24_sdwa v56, v58, s15 dst_sel:DWORD dst_unused:UNUSED_PAD src0_sel:WORD_0 src1_sel:DWORD
	v_mul_u32_u24_sdwa v57, v58, s15 dst_sel:DWORD dst_unused:UNUSED_PAD src0_sel:WORD_1 src1_sel:DWORD
	s_waitcnt lgkmcnt(1)
	v_pk_fma_f16 v58, v4, v56, v68
	v_pk_fma_f16 v68, v4, v57, v69
	v_pk_fma_f16 v69, v5, v56, v70
	v_pk_fma_f16 v70, v5, v57, v71
	v_pk_fma_f16 v71, v6, v56, v72
	v_pk_fma_f16 v53, v6, v57, v53
	v_pk_fma_f16 v72, v7, v56, v73
	v_pk_fma_f16 v73, v7, v57, v74
	s_waitcnt lgkmcnt(0)
	v_pk_fma_f16 v74, v8, v56, v75
	v_pk_fma_f16 v75, v8, v57, v76
	v_pk_fma_f16 v76, v9, v56, v77
	v_pk_fma_f16 v77, v9, v57, v78
	v_pk_fma_f16 v66, v10, v56, v66
	v_pk_fma_f16 v67, v10, v57, v67
	v_pk_fma_f16 v55, v11, v56, v55
	v_pk_fma_f16 v54, v11, v57, v54
	;; [unrolled: 44-line block ×7, first 2 shown]
	ds_read2_b64 v[4:7], v52 offset0:128 offset1:160
	ds_read2_b64 v[8:11], v52 offset0:192 offset1:224
	v_mul_u32_u24_sdwa v2, v3, s15 dst_sel:DWORD dst_unused:UNUSED_PAD src0_sel:WORD_0 src1_sel:DWORD
	v_mul_u32_u24_sdwa v3, v3, s15 dst_sel:DWORD dst_unused:UNUSED_PAD src0_sel:WORD_1 src1_sel:DWORD
	s_waitcnt lgkmcnt(0)
	v_pk_fma_f16 v53, v4, v2, v55
	v_pk_fma_f16 v54, v4, v3, v56
	;; [unrolled: 1-line block ×16, first 2 shown]
	v_lshl_add_u64 v[0:1], s[20:21], 2, v[24:25]
	s_barrier
	global_load_dwordx4 v[2:5], v[0:1], off
	s_waitcnt vmcnt(0)
	ds_write_b128 v41, v[2:5]
	global_load_dwordx4 v[0:3], v[0:1], off offset:512
	s_waitcnt vmcnt(0)
	ds_write_b128 v42, v[0:3]
	s_waitcnt lgkmcnt(0)
	s_barrier
	ds_read2_b64 v[70:73], v43 offset1:32
	ds_read2_b64 v[74:77], v43 offset0:64 offset1:96
	ds_read_b128 v[78:81], v40 offset:448
	ds_read_b128 v[8:11], v40 offset:464
	;; [unrolled: 1-line block ×4, first 2 shown]
	s_waitcnt lgkmcnt(3)
	v_mul_u32_u24_sdwa v69, v78, s15 dst_sel:DWORD dst_unused:UNUSED_PAD src0_sel:WORD_0 src1_sel:DWORD
	v_mul_u32_u24_sdwa v78, v78, s15 dst_sel:DWORD dst_unused:UNUSED_PAD src0_sel:WORD_1 src1_sel:DWORD
	v_pk_fma_f16 v53, v70, v69, v53
	v_pk_fma_f16 v70, v70, v78, v54
	;; [unrolled: 1-line block ×9, first 2 shown]
	ds_read2_b64 v[54:57], v43 offset0:128 offset1:160
	ds_read2_b64 v[58:61], v43 offset0:192 offset1:224
	v_pk_fma_f16 v62, v74, v78, v62
	v_pk_fma_f16 v63, v75, v69, v63
	;; [unrolled: 1-line block ×7, first 2 shown]
	v_mul_u32_u24_sdwa v69, v79, s15 dst_sel:DWORD dst_unused:UNUSED_PAD src0_sel:WORD_0 src1_sel:DWORD
	v_mul_u32_u24_sdwa v74, v79, s15 dst_sel:DWORD dst_unused:UNUSED_PAD src0_sel:WORD_1 src1_sel:DWORD
	s_waitcnt lgkmcnt(1)
	v_pk_fma_f16 v53, v54, v69, v53
	v_pk_fma_f16 v70, v54, v74, v70
	v_pk_fma_f16 v75, v55, v69, v82
	v_pk_fma_f16 v71, v55, v74, v71
	v_pk_fma_f16 v76, v56, v69, v83
	v_pk_fma_f16 v72, v56, v74, v72
	v_pk_fma_f16 v77, v57, v69, v84
	v_pk_fma_f16 v73, v57, v74, v73
	s_waitcnt lgkmcnt(0)
	v_pk_fma_f16 v78, v58, v69, v85
	v_pk_fma_f16 v62, v58, v74, v62
	v_pk_fma_f16 v63, v59, v69, v63
	v_pk_fma_f16 v64, v59, v74, v64
	v_pk_fma_f16 v65, v60, v69, v65
	v_pk_fma_f16 v66, v60, v74, v66
	v_pk_fma_f16 v67, v61, v69, v67
	v_pk_fma_f16 v68, v61, v74, v68
	ds_read2_b64 v[54:57], v46 offset1:32
	ds_read2_b64 v[58:61], v46 offset0:64 offset1:96
	v_mul_u32_u24_sdwa v69, v80, s15 dst_sel:DWORD dst_unused:UNUSED_PAD src0_sel:WORD_0 src1_sel:DWORD
	v_mul_u32_u24_sdwa v74, v80, s15 dst_sel:DWORD dst_unused:UNUSED_PAD src0_sel:WORD_1 src1_sel:DWORD
	s_waitcnt lgkmcnt(1)
	v_pk_fma_f16 v53, v54, v69, v53
	v_pk_fma_f16 v70, v54, v74, v70
	v_pk_fma_f16 v75, v55, v69, v75
	v_pk_fma_f16 v71, v55, v74, v71
	v_pk_fma_f16 v76, v56, v69, v76
	v_pk_fma_f16 v72, v56, v74, v72
	v_pk_fma_f16 v77, v57, v69, v77
	v_pk_fma_f16 v73, v57, v74, v73
	s_waitcnt lgkmcnt(0)
	v_pk_fma_f16 v78, v58, v69, v78
	v_pk_fma_f16 v62, v58, v74, v62
	v_pk_fma_f16 v63, v59, v69, v63
	v_pk_fma_f16 v64, v59, v74, v64
	v_pk_fma_f16 v65, v60, v69, v65
	v_pk_fma_f16 v66, v60, v74, v66
	v_pk_fma_f16 v67, v61, v69, v67
	v_pk_fma_f16 v68, v61, v74, v68
	ds_read2_b64 v[54:57], v46 offset0:128 offset1:160
	ds_read2_b64 v[58:61], v46 offset0:192 offset1:224
	v_mul_u32_u24_sdwa v69, v81, s15 dst_sel:DWORD dst_unused:UNUSED_PAD src0_sel:WORD_0 src1_sel:DWORD
	v_mul_u32_u24_sdwa v74, v81, s15 dst_sel:DWORD dst_unused:UNUSED_PAD src0_sel:WORD_1 src1_sel:DWORD
	s_waitcnt lgkmcnt(1)
	v_pk_fma_f16 v53, v54, v69, v53
	v_pk_fma_f16 v70, v54, v74, v70
	v_pk_fma_f16 v75, v55, v69, v75
	v_pk_fma_f16 v71, v55, v74, v71
	v_pk_fma_f16 v76, v56, v69, v76
	v_pk_fma_f16 v72, v56, v74, v72
	v_pk_fma_f16 v77, v57, v69, v77
	v_pk_fma_f16 v73, v57, v74, v73
	s_waitcnt lgkmcnt(0)
	v_pk_fma_f16 v78, v58, v69, v78
	v_pk_fma_f16 v62, v58, v74, v62
	v_pk_fma_f16 v63, v59, v69, v63
	v_pk_fma_f16 v64, v59, v74, v64
	v_pk_fma_f16 v65, v60, v69, v65
	v_pk_fma_f16 v66, v60, v74, v66
	v_pk_fma_f16 v67, v61, v69, v67
	v_pk_fma_f16 v68, v61, v74, v68
	ds_read2_b64 v[54:57], v47 offset1:32
	ds_read2_b64 v[58:61], v47 offset0:64 offset1:96
	v_mul_u32_u24_sdwa v69, v8, s15 dst_sel:DWORD dst_unused:UNUSED_PAD src0_sel:WORD_0 src1_sel:DWORD
	v_mul_u32_u24_sdwa v8, v8, s15 dst_sel:DWORD dst_unused:UNUSED_PAD src0_sel:WORD_1 src1_sel:DWORD
	s_waitcnt lgkmcnt(1)
	v_pk_fma_f16 v53, v54, v69, v53
	v_pk_fma_f16 v70, v54, v8, v70
	v_pk_fma_f16 v74, v55, v69, v75
	v_pk_fma_f16 v71, v55, v8, v71
	v_pk_fma_f16 v75, v56, v69, v76
	v_pk_fma_f16 v72, v56, v8, v72
	v_pk_fma_f16 v76, v57, v69, v77
	v_pk_fma_f16 v73, v57, v8, v73
	s_waitcnt lgkmcnt(0)
	v_pk_fma_f16 v77, v58, v69, v78
	v_pk_fma_f16 v62, v58, v8, v62
	v_pk_fma_f16 v63, v59, v69, v63
	v_pk_fma_f16 v64, v59, v8, v64
	v_pk_fma_f16 v65, v60, v69, v65
	v_pk_fma_f16 v66, v60, v8, v66
	v_pk_fma_f16 v67, v61, v69, v67
	v_pk_fma_f16 v8, v61, v8, v68
	ds_read2_b64 v[54:57], v47 offset0:128 offset1:160
	ds_read2_b64 v[58:61], v47 offset0:192 offset1:224
	;; [unrolled: 44-line block ×6, first 2 shown]
	v_mul_u32_u24_sdwa v57, v1, s15 dst_sel:DWORD dst_unused:UNUSED_PAD src0_sel:WORD_0 src1_sel:DWORD
	v_mul_u32_u24_sdwa v1, v1, s15 dst_sel:DWORD dst_unused:UNUSED_PAD src0_sel:WORD_1 src1_sel:DWORD
	s_waitcnt lgkmcnt(1)
	v_pk_fma_f16 v53, v4, v57, v53
	v_pk_fma_f16 v61, v4, v1, v61
	;; [unrolled: 1-line block ×8, first 2 shown]
	s_waitcnt lgkmcnt(0)
	v_pk_fma_f16 v68, v8, v57, v69
	v_pk_fma_f16 v54, v8, v1, v54
	;; [unrolled: 1-line block ×8, first 2 shown]
	ds_read2_b64 v[4:7], v52 offset1:32
	ds_read2_b64 v[8:11], v52 offset0:64 offset1:96
	v_mul_u32_u24_sdwa v1, v2, s15 dst_sel:DWORD dst_unused:UNUSED_PAD src0_sel:WORD_0 src1_sel:DWORD
	v_mul_u32_u24_sdwa v2, v2, s15 dst_sel:DWORD dst_unused:UNUSED_PAD src0_sel:WORD_1 src1_sel:DWORD
	s_waitcnt lgkmcnt(1)
	v_pk_fma_f16 v53, v4, v1, v53
	v_pk_fma_f16 v60, v5, v1, v62
	;; [unrolled: 1-line block ×7, first 2 shown]
	s_waitcnt lgkmcnt(0)
	v_pk_fma_f16 v67, v8, v1, v68
	v_pk_fma_f16 v68, v8, v2, v54
	;; [unrolled: 1-line block ×8, first 2 shown]
	ds_read2_b64 v[8:11], v52 offset0:128 offset1:160
	ds_read2_b64 v[62:65], v52 offset0:192 offset1:224
	s_waitcnt lgkmcnt(0)
	s_barrier
	s_load_dword s20, s[4:5], 0x4
	v_pk_fma_f16 v4, v4, v2, v61
	v_mul_u32_u24_sdwa v2, v3, s15 dst_sel:DWORD dst_unused:UNUSED_PAD src0_sel:WORD_0 src1_sel:DWORD
	v_mul_u32_u24_sdwa v3, v3, s15 dst_sel:DWORD dst_unused:UNUSED_PAD src0_sel:WORD_1 src1_sel:DWORD
	v_pk_fma_f16 v6, v8, v2, v53
	s_waitcnt lgkmcnt(0)
	s_lshl_b32 s20, s20, 7
	s_add_i32 s2, s20, s2
	v_pk_fma_f16 v5, v8, v3, v4
	v_pk_fma_f16 v61, v9, v2, v60
	;; [unrolled: 1-line block ×15, first 2 shown]
	s_cmp_ge_i32 s2, s24
	s_cbranch_scc0 .LBB0_9
.LBB0_10:
	v_cmp_lt_i32_e32 vcc, v36, v31
	s_cmp_lg_u64 s[12:13], 0
	s_cselect_b64 s[4:5], -1, 0
	v_cndmask_b32_e32 v0, v23, v36, vcc
	v_lshlrev_b32_e32 v1, 2, v0
	ds_bpermute_b32 v0, v1, v14
	ds_bpermute_b32 v1, v1, v15
	v_cmp_lt_i32_e32 vcc, v35, v31
	s_cmp_eq_u32 s3, 0
	s_cselect_b64 s[6:7], -1, 0
	v_cndmask_b32_e32 v2, v23, v35, vcc
	v_lshlrev_b32_e32 v3, 2, v2
	s_waitcnt lgkmcnt(0)
	v_pk_add_f32 v[0:1], v[14:15], v[0:1]
	ds_bpermute_b32 v2, v3, v0
	ds_bpermute_b32 v3, v3, v1
	v_cmp_lt_i32_e32 vcc, v34, v31
	s_and_b64 s[4:5], s[6:7], s[4:5]
	s_waitcnt lgkmcnt(0)
	v_pk_add_f32 v[0:1], v[0:1], v[2:3]
	v_cndmask_b32_e32 v4, v23, v34, vcc
	v_lshlrev_b32_e32 v4, 2, v4
	ds_bpermute_b32 v2, v4, v0
	ds_bpermute_b32 v3, v4, v1
	v_cmp_lt_i32_e32 vcc, v33, v31
	s_waitcnt lgkmcnt(0)
	v_pk_add_f32 v[0:1], v[0:1], v[2:3]
	v_cndmask_b32_e32 v4, v23, v33, vcc
	v_lshlrev_b32_e32 v4, 2, v4
	ds_bpermute_b32 v2, v4, v0
	ds_bpermute_b32 v3, v4, v1
	v_cmp_lt_i32_e32 vcc, v32, v31
	s_waitcnt lgkmcnt(0)
	v_pk_add_f32 v[0:1], v[0:1], v[2:3]
	v_cndmask_b32_e32 v4, v23, v32, vcc
	v_lshlrev_b32_e32 v4, 2, v4
	ds_bpermute_b32 v2, v4, v0
	ds_bpermute_b32 v3, v4, v1
	s_and_b64 vcc, exec, s[4:5]
	s_waitcnt lgkmcnt(0)
	v_pk_add_f32 v[0:1], v[0:1], v[2:3]
	s_cbranch_vccz .LBB0_12
; %bb.11:
	v_add_u32_e32 v2, s25, v28
	v_ashrrev_i32_e32 v3, 31, v2
	v_lshl_add_u64 v[2:3], v[2:3], 2, s[12:13]
	global_load_dwordx2 v[2:3], v[2:3], off
	v_max_f32_e32 v4, v26, v26
	v_max_f32_e32 v15, v27, v27
	s_mov_b32 s2, 0x3fb8aa3b
	s_mov_b32 s4, 0xc2ce8ed0
	;; [unrolled: 1-line block ×3, first 2 shown]
	v_mov_b32_e32 v17, 0x7f800000
	s_waitcnt vmcnt(0)
	v_max_f32_e32 v14, v2, v2
	v_max_f32_e32 v14, v4, v14
	;; [unrolled: 1-line block ×3, first 2 shown]
	v_sub_f32_e32 v4, v26, v14
	v_max_f32_e32 v15, v15, v16
	v_sub_f32_e32 v16, v2, v14
	v_mul_f32_e32 v2, 0x3fb8aa3b, v4
	v_sub_f32_e32 v18, v27, v15
	v_sub_f32_e32 v19, v3, v15
	v_mul_f32_e32 v3, 0x3fb8aa3b, v16
	v_fma_f32 v22, v4, s2, -v2
	v_rndne_f32_e32 v23, v2
	v_mul_f32_e32 v20, 0x3fb8aa3b, v18
	v_fma_f32 v24, v16, s2, -v3
	v_rndne_f32_e32 v25, v3
	v_fmac_f32_e32 v22, 0x32a5705f, v4
	v_sub_f32_e32 v2, v2, v23
	v_mul_f32_e32 v21, 0x3fb8aa3b, v19
	v_fma_f32 v26, v18, s2, -v20
	v_rndne_f32_e32 v27, v20
	v_fmac_f32_e32 v24, 0x32a5705f, v16
	v_sub_f32_e32 v3, v3, v25
	v_add_f32_e32 v2, v2, v22
	v_fma_f32 v30, v19, s2, -v21
	v_rndne_f32_e32 v31, v21
	v_cvt_i32_f32_e32 v23, v23
	v_fmac_f32_e32 v26, 0x32a5705f, v18
	v_sub_f32_e32 v20, v20, v27
	v_add_f32_e32 v3, v3, v24
	v_exp_f32_e32 v2, v2
	v_cvt_i32_f32_e32 v25, v25
	v_fmac_f32_e32 v30, 0x32a5705f, v19
	v_sub_f32_e32 v21, v21, v31
	v_add_f32_e32 v20, v20, v26
	v_exp_f32_e32 v3, v3
	v_cvt_i32_f32_e32 v27, v27
	v_add_f32_e32 v21, v21, v30
	v_exp_f32_e32 v20, v20
	v_cvt_i32_f32_e32 v31, v31
	v_exp_f32_e32 v21, v21
	v_ldexp_f32 v2, v2, v23
	v_cmp_ngt_f32_e32 vcc, s4, v4
	v_ldexp_f32 v3, v3, v25
	v_ldexp_f32 v20, v20, v27
	v_cndmask_b32_e32 v2, 0, v2, vcc
	v_cmp_ngt_f32_e32 vcc, s4, v16
	v_ldexp_f32 v21, v21, v31
	v_mov_b64_e32 v[26:27], v[14:15]
	v_cndmask_b32_e32 v3, 0, v3, vcc
	v_cmp_ngt_f32_e32 vcc, s4, v18
	s_nop 1
	v_cndmask_b32_e32 v20, 0, v20, vcc
	v_cmp_ngt_f32_e32 vcc, s4, v19
	s_nop 1
	v_cndmask_b32_e32 v21, 0, v21, vcc
	v_cmp_nlt_f32_e32 vcc, s5, v4
	s_nop 1
	v_cndmask_b32_e32 v2, v17, v2, vcc
	v_cmp_nlt_f32_e32 vcc, s5, v16
	v_cvt_f16_f32_e32 v4, v2
	s_nop 0
	v_cndmask_b32_e32 v16, v17, v3, vcc
	v_cmp_nlt_f32_e32 vcc, s5, v18
	s_nop 1
	v_cndmask_b32_e32 v3, v17, v20, vcc
	v_cvt_f16_f32_e32 v18, v3
	v_cmp_nlt_f32_e32 vcc, s5, v19
	s_nop 1
	v_cndmask_b32_e32 v17, v17, v21, vcc
	v_pk_fma_f32 v[0:1], v[0:1], v[2:3], v[16:17]
	v_mul_u32_u24_e32 v2, 0x10001, v4
	v_mul_u32_u24_e32 v3, 0x10001, v18
	v_pk_mul_f16 v6, v6, v2
	v_pk_mul_f16 v61, v61, v2
	;; [unrolled: 1-line block ×16, first 2 shown]
.LBB0_12:
	v_cmp_gt_i32_e32 vcc, s22, v13
	s_and_saveexec_b64 s[4:5], vcc
	s_cbranch_execz .LBB0_21
; %bb.13:
	s_load_dword s6, s[0:1], 0xd4
	v_mov_b32_e32 v4, 1.0
	s_waitcnt lgkmcnt(0)
	s_cmp_lg_u32 s6, 1
	s_cselect_b64 s[0:1], -1, 0
	s_cmp_eq_u32 s6, 1
	s_cselect_b64 s[4:5], -1, 0
	s_and_b64 vcc, exec, s[0:1]
	s_cbranch_vccnz .LBB0_15
; %bb.14:
	v_div_scale_f32 v2, s[8:9], v0, v0, 1.0
	v_rcp_f32_e32 v3, v2
	v_div_scale_f32 v4, vcc, 1.0, v0, 1.0
	v_fma_f32 v14, -v2, v3, 1.0
	v_fmac_f32_e32 v3, v14, v3
	v_mul_f32_e32 v14, v4, v3
	v_fma_f32 v15, -v2, v14, v4
	v_fmac_f32_e32 v14, v15, v3
	v_fma_f32 v2, -v2, v14, v4
	v_div_fmas_f32 v2, v2, v3, v14
	v_div_fixup_f32 v4, v2, v0, 1.0
.LBB0_15:
	s_mul_i32 s30, s30, s22
	v_add_u32_e32 v2, s30, v13
	v_mul_lo_u32 v2, v2, s23
	v_add3_u32 v2, s25, v28, v2
	v_cmp_eq_u32_e32 vcc, 0, v12
	v_cvt_f32_f16_sdwa v13, v6 dst_sel:DWORD dst_unused:UNUSED_PAD src0_sel:WORD_1
	v_cvt_f32_f16_e32 v12, v6
	v_cvt_f32_f16_sdwa v15, v61 dst_sel:DWORD dst_unused:UNUSED_PAD src0_sel:WORD_1
	v_cvt_f32_f16_e32 v14, v61
	v_mul_lo_u32 v2, s6, v2
	v_add_u32_e32 v2, s3, v2
	v_lshl_add_u32 v16, v2, 9, v29
	v_mov_b32_e32 v17, 0
	v_lshl_add_u64 v[18:19], v[16:17], 2, s[16:17]
	v_pk_mul_f32 v[12:13], v[4:5], v[12:13] op_sel_hi:[0,1]
	v_pk_mul_f32 v[14:15], v[4:5], v[14:15] op_sel_hi:[0,1]
	global_store_dwordx4 v[18:19], v[12:15], off
	v_cvt_f32_f16_sdwa v19, v59 dst_sel:DWORD dst_unused:UNUSED_PAD src0_sel:WORD_1
	v_cvt_f32_f16_e32 v18, v59
	v_cvt_f32_f16_sdwa v15, v60 dst_sel:DWORD dst_unused:UNUSED_PAD src0_sel:WORD_1
	v_cvt_f32_f16_e32 v14, v60
	v_add_u32_e32 v12, 0x80, v16
	v_mov_b32_e32 v13, v17
	v_lshl_add_u64 v[20:21], v[12:13], 2, s[16:17]
	v_pk_mul_f32 v[12:13], v[4:5], v[14:15] op_sel_hi:[0,1]
	v_pk_mul_f32 v[14:15], v[4:5], v[18:19] op_sel_hi:[0,1]
	global_store_dwordx4 v[20:21], v[12:15], off
	v_cvt_f32_f16_sdwa v19, v57 dst_sel:DWORD dst_unused:UNUSED_PAD src0_sel:WORD_1
	v_cvt_f32_f16_e32 v18, v57
	v_cvt_f32_f16_sdwa v15, v58 dst_sel:DWORD dst_unused:UNUSED_PAD src0_sel:WORD_1
	v_cvt_f32_f16_e32 v14, v58
	v_add_u32_e32 v12, 0x100, v16
	v_mov_b32_e32 v13, v17
	v_lshl_add_u64 v[20:21], v[12:13], 2, s[16:17]
	v_pk_mul_f32 v[12:13], v[4:5], v[14:15] op_sel_hi:[0,1]
	v_pk_mul_f32 v[14:15], v[4:5], v[18:19] op_sel_hi:[0,1]
	global_store_dwordx4 v[20:21], v[12:15], off
	v_add_u32_e32 v16, 0x180, v16
	s_and_b64 s[0:1], vcc, s[0:1]
	v_cvt_f32_f16_sdwa v13, v56 dst_sel:DWORD dst_unused:UNUSED_PAD src0_sel:WORD_1
	v_cvt_f32_f16_e32 v12, v56
	v_cvt_f32_f16_sdwa v15, v55 dst_sel:DWORD dst_unused:UNUSED_PAD src0_sel:WORD_1
	v_cvt_f32_f16_e32 v14, v55
	v_lshl_add_u64 v[16:17], v[16:17], 2, s[16:17]
	v_pk_mul_f32 v[12:13], v[4:5], v[12:13] op_sel_hi:[0,1]
	v_pk_mul_f32 v[14:15], v[4:5], v[14:15] op_sel_hi:[0,1]
	global_store_dwordx4 v[16:17], v[12:15], off
	s_and_saveexec_b64 s[2:3], s[0:1]
	s_cbranch_execz .LBB0_17
; %bb.16:
	v_ashrrev_i32_e32 v3, 31, v2
	v_lshl_add_u64 v[12:13], v[2:3], 3, s[18:19]
	v_mov_b32_e32 v14, v26
	v_mov_b32_e32 v15, v0
	global_store_dwordx2 v[12:13], v[14:15], off
.LBB0_17:
	s_or_b64 exec, exec, s[2:3]
	s_andn2_b64 vcc, exec, s[4:5]
	v_mov_b32_e32 v0, 1.0
	s_cbranch_vccnz .LBB0_19
; %bb.18:
	v_div_scale_f32 v0, s[2:3], v1, v1, 1.0
	v_rcp_f32_e32 v3, v0
	v_div_scale_f32 v4, vcc, 1.0, v1, 1.0
	v_fma_f32 v6, -v0, v3, 1.0
	v_fmac_f32_e32 v3, v6, v3
	v_mul_f32_e32 v6, v4, v3
	v_fma_f32 v12, -v0, v6, v4
	v_fmac_f32_e32 v6, v12, v3
	v_fma_f32 v0, -v0, v6, v4
	v_div_fmas_f32 v0, v0, v3, v6
	v_div_fixup_f32 v0, v0, v1, 1.0
.LBB0_19:
	v_cvt_f32_f16_sdwa v13, v5 dst_sel:DWORD dst_unused:UNUSED_PAD src0_sel:WORD_1
	v_cvt_f32_f16_e32 v12, v5
	v_cvt_f32_f16_sdwa v15, v54 dst_sel:DWORD dst_unused:UNUSED_PAD src0_sel:WORD_1
	v_cvt_f32_f16_e32 v14, v54
	v_add_u32_e32 v2, s6, v2
	v_lshl_add_u32 v4, v2, 9, v29
	v_mov_b32_e32 v5, 0
	v_lshl_add_u64 v[16:17], v[4:5], 2, s[16:17]
	v_pk_mul_f32 v[12:13], v[0:1], v[12:13] op_sel_hi:[0,1]
	v_pk_mul_f32 v[14:15], v[0:1], v[14:15] op_sel_hi:[0,1]
	global_store_dwordx4 v[16:17], v[12:15], off
	v_cvt_f32_f16_sdwa v17, v11 dst_sel:DWORD dst_unused:UNUSED_PAD src0_sel:WORD_1
	v_cvt_f32_f16_e32 v16, v11
	v_cvt_f32_f16_sdwa v15, v53 dst_sel:DWORD dst_unused:UNUSED_PAD src0_sel:WORD_1
	v_cvt_f32_f16_e32 v14, v53
	v_add_u32_e32 v12, 0x80, v4
	v_mov_b32_e32 v13, v5
	v_lshl_add_u64 v[18:19], v[12:13], 2, s[16:17]
	v_pk_mul_f32 v[12:13], v[0:1], v[14:15] op_sel_hi:[0,1]
	v_pk_mul_f32 v[14:15], v[0:1], v[16:17] op_sel_hi:[0,1]
	global_store_dwordx4 v[18:19], v[12:15], off
	v_cvt_f32_f16_sdwa v11, v10 dst_sel:DWORD dst_unused:UNUSED_PAD src0_sel:WORD_1
	v_cvt_f32_f16_e32 v10, v10
	v_cvt_f32_f16_sdwa v15, v9 dst_sel:DWORD dst_unused:UNUSED_PAD src0_sel:WORD_1
	v_cvt_f32_f16_e32 v14, v9
	v_add_u32_e32 v12, 0x100, v4
	;; [unrolled: 10-line block ×3, first 2 shown]
	v_lshl_add_u64 v[12:13], v[4:5], 2, s[16:17]
	v_pk_mul_f32 v[4:5], v[0:1], v[8:9] op_sel_hi:[0,1]
	v_pk_mul_f32 v[6:7], v[0:1], v[10:11] op_sel_hi:[0,1]
	global_store_dwordx4 v[12:13], v[4:7], off
	s_and_b64 exec, exec, s[0:1]
	s_cbranch_execz .LBB0_21
; %bb.20:
	v_ashrrev_i32_e32 v3, 31, v2
	v_lshl_add_u64 v[2:3], v[2:3], 3, s[18:19]
	v_mov_b32_e32 v0, v27
	global_store_dwordx2 v[2:3], v[0:1], off
.LBB0_21:
	s_endpgm
	.section	.rodata,"a",@progbits
	.p2align	6, 0x0
	.amdhsa_kernel _ZL15flash_attn_tileILi512ELi512ELi4ELi8ELb0EEvPKcS1_S1_S1_S1_PKiPfP15HIP_vector_typeIfLj2EEffffjfiS5_IjLj3EEiiiiiiiiiiiliiliiiiil
		.amdhsa_group_segment_fixed_size 59392
		.amdhsa_private_segment_fixed_size 0
		.amdhsa_kernarg_size 464
		.amdhsa_user_sgpr_count 2
		.amdhsa_user_sgpr_dispatch_ptr 0
		.amdhsa_user_sgpr_queue_ptr 0
		.amdhsa_user_sgpr_kernarg_segment_ptr 1
		.amdhsa_user_sgpr_dispatch_id 0
		.amdhsa_user_sgpr_kernarg_preload_length 0
		.amdhsa_user_sgpr_kernarg_preload_offset 0
		.amdhsa_user_sgpr_private_segment_size 0
		.amdhsa_uses_dynamic_stack 0
		.amdhsa_enable_private_segment 0
		.amdhsa_system_sgpr_workgroup_id_x 1
		.amdhsa_system_sgpr_workgroup_id_y 1
		.amdhsa_system_sgpr_workgroup_id_z 1
		.amdhsa_system_sgpr_workgroup_info 0
		.amdhsa_system_vgpr_workitem_id 1
		.amdhsa_next_free_vgpr 97
		.amdhsa_next_free_sgpr 96
		.amdhsa_accum_offset 96
		.amdhsa_reserve_vcc 1
		.amdhsa_float_round_mode_32 0
		.amdhsa_float_round_mode_16_64 0
		.amdhsa_float_denorm_mode_32 3
		.amdhsa_float_denorm_mode_16_64 3
		.amdhsa_dx10_clamp 1
		.amdhsa_ieee_mode 1
		.amdhsa_fp16_overflow 0
		.amdhsa_tg_split 0
		.amdhsa_exception_fp_ieee_invalid_op 0
		.amdhsa_exception_fp_denorm_src 0
		.amdhsa_exception_fp_ieee_div_zero 0
		.amdhsa_exception_fp_ieee_overflow 0
		.amdhsa_exception_fp_ieee_underflow 0
		.amdhsa_exception_fp_ieee_inexact 0
		.amdhsa_exception_int_div_zero 0
	.end_amdhsa_kernel
	.section	.text._ZL15flash_attn_tileILi512ELi512ELi4ELi8ELb0EEvPKcS1_S1_S1_S1_PKiPfP15HIP_vector_typeIfLj2EEffffjfiS5_IjLj3EEiiiiiiiiiiiliiliiiiil,"axG",@progbits,_ZL15flash_attn_tileILi512ELi512ELi4ELi8ELb0EEvPKcS1_S1_S1_S1_PKiPfP15HIP_vector_typeIfLj2EEffffjfiS5_IjLj3EEiiiiiiiiiiiliiliiiiil,comdat
.Lfunc_end0:
	.size	_ZL15flash_attn_tileILi512ELi512ELi4ELi8ELb0EEvPKcS1_S1_S1_S1_PKiPfP15HIP_vector_typeIfLj2EEffffjfiS5_IjLj3EEiiiiiiiiiiiliiliiiiil, .Lfunc_end0-_ZL15flash_attn_tileILi512ELi512ELi4ELi8ELb0EEvPKcS1_S1_S1_S1_PKiPfP15HIP_vector_typeIfLj2EEffffjfiS5_IjLj3EEiiiiiiiiiiiliiliiiiil
                                        ; -- End function
	.set _ZL15flash_attn_tileILi512ELi512ELi4ELi8ELb0EEvPKcS1_S1_S1_S1_PKiPfP15HIP_vector_typeIfLj2EEffffjfiS5_IjLj3EEiiiiiiiiiiiliiliiiiil.num_vgpr, 94
	.set _ZL15flash_attn_tileILi512ELi512ELi4ELi8ELb0EEvPKcS1_S1_S1_S1_PKiPfP15HIP_vector_typeIfLj2EEffffjfiS5_IjLj3EEiiiiiiiiiiiliiliiiiil.num_agpr, 0
	.set _ZL15flash_attn_tileILi512ELi512ELi4ELi8ELb0EEvPKcS1_S1_S1_S1_PKiPfP15HIP_vector_typeIfLj2EEffffjfiS5_IjLj3EEiiiiiiiiiiiliiliiiiil.numbered_sgpr, 40
	.set _ZL15flash_attn_tileILi512ELi512ELi4ELi8ELb0EEvPKcS1_S1_S1_S1_PKiPfP15HIP_vector_typeIfLj2EEffffjfiS5_IjLj3EEiiiiiiiiiiiliiliiiiil.num_named_barrier, 0
	.set _ZL15flash_attn_tileILi512ELi512ELi4ELi8ELb0EEvPKcS1_S1_S1_S1_PKiPfP15HIP_vector_typeIfLj2EEffffjfiS5_IjLj3EEiiiiiiiiiiiliiliiiiil.private_seg_size, 0
	.set _ZL15flash_attn_tileILi512ELi512ELi4ELi8ELb0EEvPKcS1_S1_S1_S1_PKiPfP15HIP_vector_typeIfLj2EEffffjfiS5_IjLj3EEiiiiiiiiiiiliiliiiiil.uses_vcc, 1
	.set _ZL15flash_attn_tileILi512ELi512ELi4ELi8ELb0EEvPKcS1_S1_S1_S1_PKiPfP15HIP_vector_typeIfLj2EEffffjfiS5_IjLj3EEiiiiiiiiiiiliiliiiiil.uses_flat_scratch, 0
	.set _ZL15flash_attn_tileILi512ELi512ELi4ELi8ELb0EEvPKcS1_S1_S1_S1_PKiPfP15HIP_vector_typeIfLj2EEffffjfiS5_IjLj3EEiiiiiiiiiiiliiliiiiil.has_dyn_sized_stack, 0
	.set _ZL15flash_attn_tileILi512ELi512ELi4ELi8ELb0EEvPKcS1_S1_S1_S1_PKiPfP15HIP_vector_typeIfLj2EEffffjfiS5_IjLj3EEiiiiiiiiiiiliiliiiiil.has_recursion, 0
	.set _ZL15flash_attn_tileILi512ELi512ELi4ELi8ELb0EEvPKcS1_S1_S1_S1_PKiPfP15HIP_vector_typeIfLj2EEffffjfiS5_IjLj3EEiiiiiiiiiiiliiliiiiil.has_indirect_call, 0
	.section	.AMDGPU.csdata,"",@progbits
; Kernel info:
; codeLenInByte = 70712
; TotalNumSgprs: 46
; NumVgprs: 94
; NumAgprs: 0
; TotalNumVgprs: 94
; ScratchSize: 0
; MemoryBound: 0
; FloatMode: 240
; IeeeMode: 1
; LDSByteSize: 59392 bytes/workgroup (compile time only)
; SGPRBlocks: 12
; VGPRBlocks: 12
; NumSGPRsForWavesPerEU: 102
; NumVGPRsForWavesPerEU: 97
; AccumOffset: 96
; Occupancy: 4
; WaveLimiterHint : 1
; COMPUTE_PGM_RSRC2:SCRATCH_EN: 0
; COMPUTE_PGM_RSRC2:USER_SGPR: 2
; COMPUTE_PGM_RSRC2:TRAP_HANDLER: 0
; COMPUTE_PGM_RSRC2:TGID_X_EN: 1
; COMPUTE_PGM_RSRC2:TGID_Y_EN: 1
; COMPUTE_PGM_RSRC2:TGID_Z_EN: 1
; COMPUTE_PGM_RSRC2:TIDIG_COMP_CNT: 1
; COMPUTE_PGM_RSRC3_GFX90A:ACCUM_OFFSET: 23
; COMPUTE_PGM_RSRC3_GFX90A:TG_SPLIT: 0
	.section	.text._ZL25flash_attn_mask_to_KV_maxILi4EEvPK7__half2Piiii,"axG",@progbits,_ZL25flash_attn_mask_to_KV_maxILi4EEvPK7__half2Piiii,comdat
	.globl	_ZL25flash_attn_mask_to_KV_maxILi4EEvPK7__half2Piiii ; -- Begin function _ZL25flash_attn_mask_to_KV_maxILi4EEvPK7__half2Piiii
	.p2align	8
	.type	_ZL25flash_attn_mask_to_KV_maxILi4EEvPK7__half2Piiii,@function
_ZL25flash_attn_mask_to_KV_maxILi4EEvPK7__half2Piiii: ; @_ZL25flash_attn_mask_to_KV_maxILi4EEvPK7__half2Piiii
; %bb.0:
	s_load_dwordx4 s[4:7], s[0:1], 0x0
	v_cmp_gt_u32_e32 vcc, 32, v0
	s_and_saveexec_b64 s[8:9], vcc
; %bb.1:
	v_lshlrev_b32_e32 v1, 2, v0
	v_mov_b32_e32 v2, 1
	ds_write_b32 v1, v2
; %bb.2:
	s_or_b64 exec, exec, s[8:9]
	s_load_dwordx4 s[8:11], s[0:1], 0x10
	s_load_dword s24, s[0:1], 0x20
	v_and_b32_e32 v2, 31, v0
	v_lshlrev_b32_e32 v6, 2, v2
	v_lshrrev_b32_e32 v1, 3, v0
	s_waitcnt lgkmcnt(0)
	s_mul_i32 s1, s2, s9
	s_mul_i32 s0, s10, s3
	s_lshl_b32 s1, s1, 2
	s_add_i32 s0, s0, s1
	s_ashr_i32 s1, s0, 31
	s_lshl_b64 s[0:1], s[0:1], 2
	s_add_u32 s10, s4, s0
	s_addc_u32 s11, s5, s1
	v_cmp_eq_u32_e64 s[0:1], 0, v2
	v_mbcnt_lo_u32_b32 v2, -1, 0
	v_mbcnt_hi_u32_b32 v7, -1, v2
	v_and_b32_e32 v2, 0x60, v7
	s_lshl_b32 s8, s8, 8
	s_mov_b64 s[12:13], 0
	v_mov_b32_e32 v3, 0
	s_movk_i32 s25, 0x204
	v_add_u32_e32 v8, 32, v2
	v_xor_b32_e32 v9, 16, v7
	v_xor_b32_e32 v10, 8, v7
	;; [unrolled: 1-line block ×5, first 2 shown]
	s_barrier
                                        ; implicit-def: $sgpr4_sgpr5
	s_branch .LBB1_5
.LBB1_3:                                ;   in Loop: Header=BB1_5 Depth=1
	s_or_b64 exec, exec, s[14:15]
	s_waitcnt lgkmcnt(0)
	s_barrier
	ds_read_b32 v16, v6
	s_waitcnt lgkmcnt(0)
	s_barrier
	ds_bpermute_b32 v2, v2, v16
	v_cmp_ne_u32_e32 vcc, 0, v16
	s_waitcnt lgkmcnt(0)
	v_cmp_ne_u32_e64 s[4:5], 0, v2
	s_and_b64 s[4:5], vcc, s[4:5]
	s_nop 0
	v_cndmask_b32_e64 v2, 0, 1, s[4:5]
	ds_bpermute_b32 v2, v4, v2
	s_waitcnt lgkmcnt(0)
	v_cmp_ne_u32_e32 vcc, 0, v2
	s_and_b64 s[4:5], vcc, s[4:5]
	v_cndmask_b32_e64 v2, 0, 1, s[4:5]
	ds_bpermute_b32 v2, v5, v2
	s_waitcnt lgkmcnt(0)
	v_cmp_ne_u32_e32 vcc, 0, v2
	s_and_b64 s[4:5], vcc, s[4:5]
	;; [unrolled: 5-line block ×3, first 2 shown]
	v_cndmask_b32_e64 v2, 0, 1, s[4:5]
	ds_bpermute_b32 v2, v15, v2
	s_xor_b64 s[4:5], s[4:5], -1
	s_waitcnt lgkmcnt(0)
	v_cmp_eq_u32_e32 vcc, 0, v2
	s_or_b64 s[4:5], vcc, s[4:5]
.LBB1_4:                                ;   in Loop: Header=BB1_5 Depth=1
	s_and_b64 s[14:15], exec, s[4:5]
	s_or_b64 s[12:13], s[14:15], s[12:13]
	v_mov_b32_e32 v2, s8
	s_mov_b32 s8, s26
	s_andn2_b64 exec, exec, s[12:13]
	s_cbranch_execz .LBB1_20
.LBB1_5:                                ; =>This Inner Loop Header: Depth=1
	s_add_i32 s26, s8, 0xffffff00
	s_or_b64 s[4:5], s[4:5], exec
	s_cmp_lt_i32 s26, 0
	s_cbranch_scc1 .LBB1_4
; %bb.6:                                ;   in Loop: Header=BB1_5 Depth=1
	s_lshr_b32 s4, s26, 1
	v_add_u32_e32 v2, s4, v0
	v_lshl_add_u64 v[4:5], v[2:3], 2, s[10:11]
	global_load_dword v4, v[4:5], off
	v_mov_b32_e32 v5, 0
	s_waitcnt vmcnt(0)
	v_cmp_class_f16_e64 s[4:5], v4, s25
	v_cmp_class_f16_sdwa s[14:15], v4, s25 src0_sel:WORD_1 src1_sel:DWORD
	s_and_b64 s[14:15], s[4:5], s[14:15]
	s_and_saveexec_b64 s[4:5], s[14:15]
	s_cbranch_execz .LBB1_18
; %bb.7:                                ;   in Loop: Header=BB1_5 Depth=1
	v_add_u32_e32 v4, s9, v2
	v_ashrrev_i32_e32 v5, 31, v4
	v_lshl_add_u64 v[14:15], v[4:5], 2, s[10:11]
	global_load_dword v2, v[14:15], off
	v_mov_b32_e32 v5, 0
	s_waitcnt vmcnt(0)
	v_cmp_class_f16_e64 s[16:17], v2, s25
	s_and_saveexec_b64 s[14:15], s[16:17]
	s_cbranch_execz .LBB1_17
; %bb.8:                                ;   in Loop: Header=BB1_5 Depth=1
	v_cmp_class_f16_sdwa s[18:19], v2, s25 src0_sel:WORD_1 src1_sel:DWORD
	v_mov_b32_e32 v5, 0
	s_and_saveexec_b64 s[16:17], s[18:19]
	s_cbranch_execz .LBB1_16
; %bb.9:                                ;   in Loop: Header=BB1_5 Depth=1
	v_add_u32_e32 v4, s9, v4
	v_ashrrev_i32_e32 v5, 31, v4
	v_lshl_add_u64 v[14:15], v[4:5], 2, s[10:11]
	global_load_dword v2, v[14:15], off
	v_mov_b32_e32 v5, 0
	s_waitcnt vmcnt(0)
	v_cmp_class_f16_e64 s[20:21], v2, s25
	s_and_saveexec_b64 s[18:19], s[20:21]
	s_cbranch_execz .LBB1_15
; %bb.10:                               ;   in Loop: Header=BB1_5 Depth=1
	v_cmp_class_f16_sdwa s[22:23], v2, s25 src0_sel:WORD_1 src1_sel:DWORD
	v_mov_b32_e32 v5, 0
	s_and_saveexec_b64 s[20:21], s[22:23]
	s_cbranch_execz .LBB1_14
; %bb.11:                               ;   in Loop: Header=BB1_5 Depth=1
	v_add_u32_e32 v4, s9, v4
	v_ashrrev_i32_e32 v5, 31, v4
	v_lshl_add_u64 v[4:5], v[4:5], 2, s[10:11]
	global_load_dword v2, v[4:5], off
	v_mov_b32_e32 v5, 0
	s_waitcnt vmcnt(0)
	v_cmp_class_f16_e64 s[28:29], v2, s25
	s_and_saveexec_b64 s[22:23], s[28:29]
; %bb.12:                               ;   in Loop: Header=BB1_5 Depth=1
	v_cmp_class_f16_sdwa s[28:29], v2, s25 src0_sel:WORD_1 src1_sel:DWORD
	s_nop 1
	v_cndmask_b32_e64 v5, 0, 1, s[28:29]
; %bb.13:                               ;   in Loop: Header=BB1_5 Depth=1
	s_or_b64 exec, exec, s[22:23]
.LBB1_14:                               ;   in Loop: Header=BB1_5 Depth=1
	s_or_b64 exec, exec, s[20:21]
.LBB1_15:                               ;   in Loop: Header=BB1_5 Depth=1
	s_or_b64 exec, exec, s[18:19]
.LBB1_16:                               ;   in Loop: Header=BB1_5 Depth=1
	s_or_b64 exec, exec, s[16:17]
.LBB1_17:                               ;   in Loop: Header=BB1_5 Depth=1
	s_or_b64 exec, exec, s[14:15]
.LBB1_18:                               ;   in Loop: Header=BB1_5 Depth=1
	s_or_b64 exec, exec, s[4:5]
	v_cmp_lt_i32_e32 vcc, v9, v8
	s_nop 1
	v_cndmask_b32_e32 v2, v7, v9, vcc
	v_lshlrev_b32_e32 v2, 2, v2
	ds_bpermute_b32 v4, v2, v5
	v_cmp_ne_u32_e32 vcc, 0, v5
	s_waitcnt lgkmcnt(0)
	v_cmp_ne_u32_e64 s[4:5], 0, v4
	s_and_b64 s[4:5], vcc, s[4:5]
	v_cmp_lt_i32_e32 vcc, v10, v8
	v_cndmask_b32_e64 v5, 0, 1, s[4:5]
	s_nop 0
	v_cndmask_b32_e32 v4, v7, v10, vcc
	v_lshlrev_b32_e32 v4, 2, v4
	ds_bpermute_b32 v5, v4, v5
	s_waitcnt lgkmcnt(0)
	v_cmp_ne_u32_e32 vcc, 0, v5
	s_and_b64 s[4:5], vcc, s[4:5]
	v_cmp_lt_i32_e32 vcc, v11, v8
	v_cndmask_b32_e64 v14, 0, 1, s[4:5]
	s_nop 0
	v_cndmask_b32_e32 v5, v7, v11, vcc
	v_lshlrev_b32_e32 v5, 2, v5
	ds_bpermute_b32 v14, v5, v14
	s_waitcnt lgkmcnt(0)
	v_cmp_ne_u32_e32 vcc, 0, v14
	;; [unrolled: 9-line block ×3, first 2 shown]
	s_and_b64 s[4:5], vcc, s[4:5]
	v_cmp_lt_i32_e32 vcc, v13, v8
	v_cndmask_b32_e64 v16, 0, 1, s[4:5]
	s_nop 0
	v_cndmask_b32_e32 v15, v7, v13, vcc
	v_lshlrev_b32_e32 v15, 2, v15
	ds_bpermute_b32 v16, v15, v16
	s_and_saveexec_b64 s[14:15], s[0:1]
	s_cbranch_execz .LBB1_3
; %bb.19:                               ;   in Loop: Header=BB1_5 Depth=1
	s_waitcnt lgkmcnt(0)
	v_cmp_ne_u32_e32 vcc, 0, v16
	s_and_b64 s[4:5], vcc, s[4:5]
	v_cndmask_b32_e64 v16, 0, 1, s[4:5]
	ds_write_b32 v1, v16
	s_branch .LBB1_3
.LBB1_20:
	s_or_b64 exec, exec, s[12:13]
	v_cmp_eq_u32_e32 vcc, 0, v0
	s_and_saveexec_b64 s[0:1], vcc
	s_cbranch_execz .LBB1_22
; %bb.21:
	s_mul_i32 s0, s24, s3
	s_add_i32 s0, s0, s2
	s_ashr_i32 s1, s0, 31
	s_lshl_b64 s[0:1], s[0:1], 2
	s_add_u32 s0, s6, s0
	s_addc_u32 s1, s7, s1
	v_mov_b32_e32 v0, 0
	global_store_dword v0, v2, s[0:1]
.LBB1_22:
	s_endpgm
	.section	.rodata,"a",@progbits
	.p2align	6, 0x0
	.amdhsa_kernel _ZL25flash_attn_mask_to_KV_maxILi4EEvPK7__half2Piiii
		.amdhsa_group_segment_fixed_size 128
		.amdhsa_private_segment_fixed_size 0
		.amdhsa_kernarg_size 288
		.amdhsa_user_sgpr_count 2
		.amdhsa_user_sgpr_dispatch_ptr 0
		.amdhsa_user_sgpr_queue_ptr 0
		.amdhsa_user_sgpr_kernarg_segment_ptr 1
		.amdhsa_user_sgpr_dispatch_id 0
		.amdhsa_user_sgpr_kernarg_preload_length 0
		.amdhsa_user_sgpr_kernarg_preload_offset 0
		.amdhsa_user_sgpr_private_segment_size 0
		.amdhsa_uses_dynamic_stack 0
		.amdhsa_enable_private_segment 0
		.amdhsa_system_sgpr_workgroup_id_x 1
		.amdhsa_system_sgpr_workgroup_id_y 1
		.amdhsa_system_sgpr_workgroup_id_z 0
		.amdhsa_system_sgpr_workgroup_info 0
		.amdhsa_system_vgpr_workitem_id 0
		.amdhsa_next_free_vgpr 17
		.amdhsa_next_free_sgpr 30
		.amdhsa_accum_offset 20
		.amdhsa_reserve_vcc 1
		.amdhsa_float_round_mode_32 0
		.amdhsa_float_round_mode_16_64 0
		.amdhsa_float_denorm_mode_32 3
		.amdhsa_float_denorm_mode_16_64 3
		.amdhsa_dx10_clamp 1
		.amdhsa_ieee_mode 1
		.amdhsa_fp16_overflow 0
		.amdhsa_tg_split 0
		.amdhsa_exception_fp_ieee_invalid_op 0
		.amdhsa_exception_fp_denorm_src 0
		.amdhsa_exception_fp_ieee_div_zero 0
		.amdhsa_exception_fp_ieee_overflow 0
		.amdhsa_exception_fp_ieee_underflow 0
		.amdhsa_exception_fp_ieee_inexact 0
		.amdhsa_exception_int_div_zero 0
	.end_amdhsa_kernel
	.section	.text._ZL25flash_attn_mask_to_KV_maxILi4EEvPK7__half2Piiii,"axG",@progbits,_ZL25flash_attn_mask_to_KV_maxILi4EEvPK7__half2Piiii,comdat
.Lfunc_end1:
	.size	_ZL25flash_attn_mask_to_KV_maxILi4EEvPK7__half2Piiii, .Lfunc_end1-_ZL25flash_attn_mask_to_KV_maxILi4EEvPK7__half2Piiii
                                        ; -- End function
	.set _ZL25flash_attn_mask_to_KV_maxILi4EEvPK7__half2Piiii.num_vgpr, 17
	.set _ZL25flash_attn_mask_to_KV_maxILi4EEvPK7__half2Piiii.num_agpr, 0
	.set _ZL25flash_attn_mask_to_KV_maxILi4EEvPK7__half2Piiii.numbered_sgpr, 30
	.set _ZL25flash_attn_mask_to_KV_maxILi4EEvPK7__half2Piiii.num_named_barrier, 0
	.set _ZL25flash_attn_mask_to_KV_maxILi4EEvPK7__half2Piiii.private_seg_size, 0
	.set _ZL25flash_attn_mask_to_KV_maxILi4EEvPK7__half2Piiii.uses_vcc, 1
	.set _ZL25flash_attn_mask_to_KV_maxILi4EEvPK7__half2Piiii.uses_flat_scratch, 0
	.set _ZL25flash_attn_mask_to_KV_maxILi4EEvPK7__half2Piiii.has_dyn_sized_stack, 0
	.set _ZL25flash_attn_mask_to_KV_maxILi4EEvPK7__half2Piiii.has_recursion, 0
	.set _ZL25flash_attn_mask_to_KV_maxILi4EEvPK7__half2Piiii.has_indirect_call, 0
	.section	.AMDGPU.csdata,"",@progbits
; Kernel info:
; codeLenInByte = 988
; TotalNumSgprs: 36
; NumVgprs: 17
; NumAgprs: 0
; TotalNumVgprs: 17
; ScratchSize: 0
; MemoryBound: 0
; FloatMode: 240
; IeeeMode: 1
; LDSByteSize: 128 bytes/workgroup (compile time only)
; SGPRBlocks: 4
; VGPRBlocks: 2
; NumSGPRsForWavesPerEU: 36
; NumVGPRsForWavesPerEU: 17
; AccumOffset: 20
; Occupancy: 8
; WaveLimiterHint : 0
; COMPUTE_PGM_RSRC2:SCRATCH_EN: 0
; COMPUTE_PGM_RSRC2:USER_SGPR: 2
; COMPUTE_PGM_RSRC2:TRAP_HANDLER: 0
; COMPUTE_PGM_RSRC2:TGID_X_EN: 1
; COMPUTE_PGM_RSRC2:TGID_Y_EN: 1
; COMPUTE_PGM_RSRC2:TGID_Z_EN: 0
; COMPUTE_PGM_RSRC2:TIDIG_COMP_CNT: 0
; COMPUTE_PGM_RSRC3_GFX90A:ACCUM_OFFSET: 4
; COMPUTE_PGM_RSRC3_GFX90A:TG_SPLIT: 0
	.section	.text._ZL33flash_attn_stream_k_fixup_uniformILi512ELi4ELi8EEvPfPK15HIP_vector_typeIfLj2EEiiiiiiS1_IjLj3EES5_S5_,"axG",@progbits,_ZL33flash_attn_stream_k_fixup_uniformILi512ELi4ELi8EEvPfPK15HIP_vector_typeIfLj2EEiiiiiiS1_IjLj3EES5_S5_,comdat
	.globl	_ZL33flash_attn_stream_k_fixup_uniformILi512ELi4ELi8EEvPfPK15HIP_vector_typeIfLj2EEiiiiiiS1_IjLj3EES5_S5_ ; -- Begin function _ZL33flash_attn_stream_k_fixup_uniformILi512ELi4ELi8EEvPfPK15HIP_vector_typeIfLj2EEiiiiiiS1_IjLj3EES5_S5_
	.p2align	8
	.type	_ZL33flash_attn_stream_k_fixup_uniformILi512ELi4ELi8EEvPfPK15HIP_vector_typeIfLj2EEiiiiiiS1_IjLj3EES5_S5_,@function
_ZL33flash_attn_stream_k_fixup_uniformILi512ELi4ELi8EEvPfPK15HIP_vector_typeIfLj2EEiiiiiiS1_IjLj3EES5_S5_: ; @_ZL33flash_attn_stream_k_fixup_uniformILi512ELi4ELi8EEvPfPK15HIP_vector_typeIfLj2EEiiiiiiS1_IjLj3EES5_S5_
; %bb.0:
	s_load_dwordx8 s[8:15], s[0:1], 0x1c
	s_load_dwordx2 s[6:7], s[0:1], 0x10
	s_load_dwordx4 s[20:23], s[0:1], 0x3c
	s_waitcnt lgkmcnt(0)
	s_mul_hi_u32 s5, s11, s2
	s_add_i32 s5, s2, s5
	s_lshr_b32 s5, s5, s12
	s_mul_i32 s11, s5, s13
	s_sub_i32 s11, s2, s11
	s_mul_hi_u32 s12, s11, s14
	s_add_i32 s12, s11, s12
	s_lshr_b32 s16, s12, s15
	s_mul_i32 s12, s16, s20
	s_sub_i32 s11, s11, s12
	s_mul_hi_u32 s12, s11, s21
	s_add_i32 s12, s11, s12
	s_lshr_b32 s12, s12, s22
	s_mul_i32 s13, s12, s23
	s_sub_i32 s17, s11, s13
	s_lshl_b32 s11, s12, 3
	s_lshl_b32 s12, s17, 2
	s_add_i32 s12, s12, s3
	s_cmp_lt_i32 s12, s6
	s_cselect_b64 s[12:13], -1, 0
	s_add_i32 s14, s11, s4
	s_cmp_lt_i32 s14, s9
	s_cselect_b64 s[14:15], -1, 0
	s_and_b64 s[12:13], s[12:13], s[14:15]
	s_andn2_b64 vcc, exec, s[12:13]
	s_cbranch_vccnz .LBB2_6
; %bb.1:
	s_load_dwordx4 s[12:15], s[0:1], 0x0
	s_mul_i32 s0, s5, s6
	s_add_i32 s0, s0, s3
	s_mul_i32 s0, s0, s7
	s_mul_i32 s16, s16, s9
	s_add_i32 s0, s0, s4
	s_add_i32 s0, s0, s16
	s_mul_i32 s1, s7, s17
	s_add_i32 s0, s0, s11
	s_lshl_b32 s1, s1, 11
	s_lshl_b32 s0, s0, 9
	s_add_i32 s1, s1, s0
	v_or_b32_e32 v4, s1, v0
	s_waitcnt lgkmcnt(0)
	v_mov_b32_e32 v2, s12
	v_mov_b32_e32 v3, s13
	v_ashrrev_i32_e32 v5, 31, v4
	v_lshl_add_u64 v[2:3], v[4:5], 2, v[2:3]
	global_load_dword v5, v[2:3], off
	s_mul_i32 s5, s10, s2
	s_lshl_b32 s11, s3, 3
	s_add_i32 s9, s5, s10
	s_add_i32 s0, s11, s4
	s_lshl_b32 s1, s9, 5
	s_add_i32 s0, s0, s1
	s_sub_i32 s0, s0, 32
	s_ashr_i32 s1, s0, 31
	s_lshl_b64 s[0:1], s[0:1], 3
	s_add_u32 s0, s14, s0
	s_addc_u32 s1, s15, s1
	s_load_dword s12, s[0:1], 0x4
	s_add_i32 s6, s9, -2
	s_cmp_lt_i32 s6, s5
	s_cbranch_scc1 .LBB2_4
; %bb.2:
	s_lshl_b32 s6, s8, 7
	s_ashr_i32 s7, s6, 31
	s_lshl_b64 s[6:7], s[6:7], 2
	s_add_u32 s6, s14, s6
	s_addc_u32 s7, s15, s7
	s_add_i32 s2, s2, 1
	s_load_dword s0, s[0:1], 0x0
	s_mul_i32 s1, s10, s2
	s_lshl_b32 s3, s3, 12
	s_lshl_b32 s10, s4, 9
	;; [unrolled: 1-line block ×3, first 2 shown]
	s_add_i32 s3, s10, s3
	s_lshl_b32 s1, s1, 5
	s_add_i32 s3, s3, s2
	s_add_i32 s1, s4, s1
	s_lshl_b32 s2, s8, 5
	s_add_i32 s1, s1, s2
	v_or_b32_e32 v0, s3, v0
	s_add_i32 s1, s1, s11
	s_add_i32 s9, s9, -1
	v_add_u32_e32 v0, 0xffff8000, v0
	s_sub_i32 s2, s1, 64
	s_waitcnt lgkmcnt(0)
	v_mov_b32_e32 v7, s0
	v_mov_b32_e32 v4, s12
	s_mov_b32 s4, 0x3fb8aa3b
	s_mov_b32 s8, 0xc2ce8ed0
	;; [unrolled: 1-line block ×3, first 2 shown]
	v_mov_b32_e32 v6, 0x7f800000
	s_mov_b32 s11, 0xc1a00000
.LBB2_3:                                ; =>This Inner Loop Header: Depth=1
	v_ashrrev_i32_e32 v1, 31, v0
	v_lshl_add_u64 v[8:9], v[0:1], 2, s[6:7]
	global_load_dword v9, v[8:9], off
	s_ashr_i32 s3, s2, 31
	s_lshl_b64 s[0:1], s[2:3], 3
	s_add_u32 s0, s14, s0
	s_addc_u32 s1, s15, s1
	s_load_dwordx2 s[0:1], s[0:1], 0x0
	v_max_f32_e32 v1, v7, v7
	s_add_i32 s9, s9, -1
	s_sub_i32 s2, s2, 32
	v_add_u32_e32 v0, 0xffffc000, v0
	s_waitcnt lgkmcnt(0)
	v_max_f32_e64 v10, s0, s0
	v_max_f32_e32 v1, v1, v10
	v_sub_f32_e32 v11, s0, v1
	v_sub_f32_e32 v10, v7, v1
	v_mul_f32_e32 v12, 0x3fb8aa3b, v11
	v_mov_b32_e32 v7, v1
	v_mul_f32_e32 v1, 0x3fb8aa3b, v10
	v_fma_f32 v15, v11, s4, -v12
	v_rndne_f32_e32 v16, v12
	v_fma_f32 v13, v10, s4, -v1
	v_rndne_f32_e32 v14, v1
	v_fmac_f32_e32 v15, 0x32a5705f, v11
	v_sub_f32_e32 v12, v12, v16
	v_fmac_f32_e32 v13, 0x32a5705f, v10
	v_sub_f32_e32 v1, v1, v14
	v_add_f32_e32 v12, v12, v15
	v_cvt_i32_f32_e32 v16, v16
	v_add_f32_e32 v1, v1, v13
	v_exp_f32_e32 v12, v12
	v_cvt_i32_f32_e32 v14, v14
	v_exp_f32_e32 v1, v1
	v_cmp_ngt_f32_e32 vcc, s8, v11
	v_ldexp_f32 v12, v12, v16
	v_mov_b32_e32 v8, s1
	v_ldexp_f32 v1, v1, v14
	v_cmp_ngt_f32_e64 s[0:1], s8, v10
	v_cndmask_b32_e32 v12, 0, v12, vcc
	v_cmp_nlt_f32_e32 vcc, s10, v11
	v_cndmask_b32_e64 v1, 0, v1, s[0:1]
	v_cmp_nlt_f32_e64 s[0:1], s10, v10
	v_cndmask_b32_e32 v12, v6, v12, vcc
	v_cmp_le_f32_e32 vcc, s11, v11
	v_cndmask_b32_e64 v1, v6, v1, s[0:1]
	v_cmp_le_f32_e64 s[0:1], s11, v10
	v_cndmask_b32_e32 v12, 0, v12, vcc
	s_cmp_le_i32 s9, s5
	v_cndmask_b32_e64 v10, 0, v1, s[0:1]
	s_waitcnt vmcnt(0)
	v_pk_mul_f32 v[8:9], v[8:9], v[12:13] op_sel_hi:[1,0]
	s_nop 0
	v_pk_fma_f32 v[4:5], v[4:5], v[10:11], v[8:9] op_sel_hi:[1,0,1]
	s_cbranch_scc0 .LBB2_3
	s_branch .LBB2_5
.LBB2_4:
	s_waitcnt lgkmcnt(0)
	v_mov_b32_e32 v4, s12
.LBB2_5:
	s_waitcnt vmcnt(0)
	v_div_scale_f32 v0, s[0:1], v4, v4, v5
	v_rcp_f32_e32 v1, v0
	v_div_scale_f32 v6, vcc, v5, v4, v5
	v_fma_f32 v7, -v0, v1, 1.0
	v_fmac_f32_e32 v1, v7, v1
	v_mul_f32_e32 v7, v6, v1
	v_fma_f32 v8, -v0, v7, v6
	v_fmac_f32_e32 v7, v8, v1
	v_fma_f32 v0, -v0, v7, v6
	v_div_fmas_f32 v0, v0, v1, v7
	v_div_fixup_f32 v0, v0, v4, v5
	global_store_dword v[2:3], v0, off
.LBB2_6:
	s_endpgm
	.section	.rodata,"a",@progbits
	.p2align	6, 0x0
	.amdhsa_kernel _ZL33flash_attn_stream_k_fixup_uniformILi512ELi4ELi8EEvPfPK15HIP_vector_typeIfLj2EEiiiiiiS1_IjLj3EES5_S5_
		.amdhsa_group_segment_fixed_size 0
		.amdhsa_private_segment_fixed_size 0
		.amdhsa_kernarg_size 76
		.amdhsa_user_sgpr_count 2
		.amdhsa_user_sgpr_dispatch_ptr 0
		.amdhsa_user_sgpr_queue_ptr 0
		.amdhsa_user_sgpr_kernarg_segment_ptr 1
		.amdhsa_user_sgpr_dispatch_id 0
		.amdhsa_user_sgpr_kernarg_preload_length 0
		.amdhsa_user_sgpr_kernarg_preload_offset 0
		.amdhsa_user_sgpr_private_segment_size 0
		.amdhsa_uses_dynamic_stack 0
		.amdhsa_enable_private_segment 0
		.amdhsa_system_sgpr_workgroup_id_x 1
		.amdhsa_system_sgpr_workgroup_id_y 1
		.amdhsa_system_sgpr_workgroup_id_z 1
		.amdhsa_system_sgpr_workgroup_info 0
		.amdhsa_system_vgpr_workitem_id 0
		.amdhsa_next_free_vgpr 17
		.amdhsa_next_free_sgpr 24
		.amdhsa_accum_offset 20
		.amdhsa_reserve_vcc 1
		.amdhsa_float_round_mode_32 0
		.amdhsa_float_round_mode_16_64 0
		.amdhsa_float_denorm_mode_32 3
		.amdhsa_float_denorm_mode_16_64 3
		.amdhsa_dx10_clamp 1
		.amdhsa_ieee_mode 1
		.amdhsa_fp16_overflow 0
		.amdhsa_tg_split 0
		.amdhsa_exception_fp_ieee_invalid_op 0
		.amdhsa_exception_fp_denorm_src 0
		.amdhsa_exception_fp_ieee_div_zero 0
		.amdhsa_exception_fp_ieee_overflow 0
		.amdhsa_exception_fp_ieee_underflow 0
		.amdhsa_exception_fp_ieee_inexact 0
		.amdhsa_exception_int_div_zero 0
	.end_amdhsa_kernel
	.section	.text._ZL33flash_attn_stream_k_fixup_uniformILi512ELi4ELi8EEvPfPK15HIP_vector_typeIfLj2EEiiiiiiS1_IjLj3EES5_S5_,"axG",@progbits,_ZL33flash_attn_stream_k_fixup_uniformILi512ELi4ELi8EEvPfPK15HIP_vector_typeIfLj2EEiiiiiiS1_IjLj3EES5_S5_,comdat
.Lfunc_end2:
	.size	_ZL33flash_attn_stream_k_fixup_uniformILi512ELi4ELi8EEvPfPK15HIP_vector_typeIfLj2EEiiiiiiS1_IjLj3EES5_S5_, .Lfunc_end2-_ZL33flash_attn_stream_k_fixup_uniformILi512ELi4ELi8EEvPfPK15HIP_vector_typeIfLj2EEiiiiiiS1_IjLj3EES5_S5_
                                        ; -- End function
	.set _ZL33flash_attn_stream_k_fixup_uniformILi512ELi4ELi8EEvPfPK15HIP_vector_typeIfLj2EEiiiiiiS1_IjLj3EES5_S5_.num_vgpr, 17
	.set _ZL33flash_attn_stream_k_fixup_uniformILi512ELi4ELi8EEvPfPK15HIP_vector_typeIfLj2EEiiiiiiS1_IjLj3EES5_S5_.num_agpr, 0
	.set _ZL33flash_attn_stream_k_fixup_uniformILi512ELi4ELi8EEvPfPK15HIP_vector_typeIfLj2EEiiiiiiS1_IjLj3EES5_S5_.numbered_sgpr, 24
	.set _ZL33flash_attn_stream_k_fixup_uniformILi512ELi4ELi8EEvPfPK15HIP_vector_typeIfLj2EEiiiiiiS1_IjLj3EES5_S5_.num_named_barrier, 0
	.set _ZL33flash_attn_stream_k_fixup_uniformILi512ELi4ELi8EEvPfPK15HIP_vector_typeIfLj2EEiiiiiiS1_IjLj3EES5_S5_.private_seg_size, 0
	.set _ZL33flash_attn_stream_k_fixup_uniformILi512ELi4ELi8EEvPfPK15HIP_vector_typeIfLj2EEiiiiiiS1_IjLj3EES5_S5_.uses_vcc, 1
	.set _ZL33flash_attn_stream_k_fixup_uniformILi512ELi4ELi8EEvPfPK15HIP_vector_typeIfLj2EEiiiiiiS1_IjLj3EES5_S5_.uses_flat_scratch, 0
	.set _ZL33flash_attn_stream_k_fixup_uniformILi512ELi4ELi8EEvPfPK15HIP_vector_typeIfLj2EEiiiiiiS1_IjLj3EES5_S5_.has_dyn_sized_stack, 0
	.set _ZL33flash_attn_stream_k_fixup_uniformILi512ELi4ELi8EEvPfPK15HIP_vector_typeIfLj2EEiiiiiiS1_IjLj3EES5_S5_.has_recursion, 0
	.set _ZL33flash_attn_stream_k_fixup_uniformILi512ELi4ELi8EEvPfPK15HIP_vector_typeIfLj2EEiiiiiiS1_IjLj3EES5_S5_.has_indirect_call, 0
	.section	.AMDGPU.csdata,"",@progbits
; Kernel info:
; codeLenInByte = 836
; TotalNumSgprs: 30
; NumVgprs: 17
; NumAgprs: 0
; TotalNumVgprs: 17
; ScratchSize: 0
; MemoryBound: 0
; FloatMode: 240
; IeeeMode: 1
; LDSByteSize: 0 bytes/workgroup (compile time only)
; SGPRBlocks: 3
; VGPRBlocks: 2
; NumSGPRsForWavesPerEU: 30
; NumVGPRsForWavesPerEU: 17
; AccumOffset: 20
; Occupancy: 8
; WaveLimiterHint : 0
; COMPUTE_PGM_RSRC2:SCRATCH_EN: 0
; COMPUTE_PGM_RSRC2:USER_SGPR: 2
; COMPUTE_PGM_RSRC2:TRAP_HANDLER: 0
; COMPUTE_PGM_RSRC2:TGID_X_EN: 1
; COMPUTE_PGM_RSRC2:TGID_Y_EN: 1
; COMPUTE_PGM_RSRC2:TGID_Z_EN: 1
; COMPUTE_PGM_RSRC2:TIDIG_COMP_CNT: 0
; COMPUTE_PGM_RSRC3_GFX90A:ACCUM_OFFSET: 4
; COMPUTE_PGM_RSRC3_GFX90A:TG_SPLIT: 0
	.section	.text._ZL33flash_attn_stream_k_fixup_generalILi512ELi4ELi8EEvPfPK15HIP_vector_typeIfLj2EEiiiiS1_IjLj3EES5_S5_S5_,"axG",@progbits,_ZL33flash_attn_stream_k_fixup_generalILi512ELi4ELi8EEvPfPK15HIP_vector_typeIfLj2EEiiiiS1_IjLj3EES5_S5_S5_,comdat
	.globl	_ZL33flash_attn_stream_k_fixup_generalILi512ELi4ELi8EEvPfPK15HIP_vector_typeIfLj2EEiiiiS1_IjLj3EES5_S5_S5_ ; -- Begin function _ZL33flash_attn_stream_k_fixup_generalILi512ELi4ELi8EEvPfPK15HIP_vector_typeIfLj2EEiiiiS1_IjLj3EES5_S5_S5_
	.p2align	8
	.type	_ZL33flash_attn_stream_k_fixup_generalILi512ELi4ELi8EEvPfPK15HIP_vector_typeIfLj2EEiiiiS1_IjLj3EES5_S5_S5_,@function
_ZL33flash_attn_stream_k_fixup_generalILi512ELi4ELi8EEvPfPK15HIP_vector_typeIfLj2EEiiiiS1_IjLj3EES5_S5_S5_: ; @_ZL33flash_attn_stream_k_fixup_generalILi512ELi4ELi8EEvPfPK15HIP_vector_typeIfLj2EEiiiiS1_IjLj3EES5_S5_S5_
; %bb.0:
	s_load_dwordx4 s[8:11], s[0:1], 0x10
	s_load_dword s22, s[0:1], 0x50
	s_mov_b32 s12, 0
	s_waitcnt lgkmcnt(0)
	s_mul_hi_i32 s13, s11, s2
	s_cmp_lg_u64 s[12:13], 0
	s_mul_i32 s5, s11, s2
	s_cbranch_scc0 .LBB3_20
; %bb.1:
	s_add_u32 s6, s22, 0
	s_addc_u32 s7, 0, 0
	s_xor_b64 s[6:7], s[6:7], 0
	v_cvt_f32_u32_e32 v1, s6
	v_cvt_f32_u32_e32 v2, s7
	s_sub_u32 s12, 0, s6
	s_subb_u32 s18, 0, s7
	v_fmamk_f32 v1, v2, 0x4f800000, v1
	v_rcp_f32_e32 v1, v1
	s_nop 0
	v_mul_f32_e32 v1, 0x5f7ffffc, v1
	v_mul_f32_e32 v2, 0x2f800000, v1
	v_trunc_f32_e32 v2, v2
	v_fmamk_f32 v1, v2, 0xcf800000, v1
	v_cvt_u32_f32_e32 v2, v2
	v_cvt_u32_f32_e32 v1, v1
	v_readfirstlane_b32 s19, v2
	v_readfirstlane_b32 s14, v1
	s_mul_i32 s15, s12, s19
	s_mul_hi_u32 s21, s12, s14
	s_mul_i32 s20, s18, s14
	s_add_i32 s15, s21, s15
	s_add_i32 s15, s15, s20
	s_mul_i32 s23, s12, s14
	s_mul_i32 s21, s14, s15
	s_mul_hi_u32 s24, s14, s23
	s_mul_hi_u32 s20, s14, s15
	s_add_u32 s21, s24, s21
	s_addc_u32 s20, 0, s20
	s_mul_hi_u32 s25, s19, s23
	s_mul_i32 s23, s19, s23
	s_add_u32 s21, s21, s23
	s_mul_hi_u32 s24, s19, s15
	s_addc_u32 s20, s20, s25
	s_addc_u32 s21, s24, 0
	s_mul_i32 s15, s19, s15
	s_add_u32 s15, s20, s15
	s_addc_u32 s20, 0, s21
	s_add_u32 s21, s14, s15
	s_cselect_b64 s[14:15], -1, 0
	s_cmp_lg_u64 s[14:15], 0
	s_addc_u32 s19, s19, s20
	s_mul_i32 s14, s12, s19
	s_mul_hi_u32 s15, s12, s21
	s_add_i32 s14, s15, s14
	s_mul_i32 s18, s18, s21
	s_add_i32 s14, s14, s18
	s_mul_i32 s12, s12, s21
	s_mul_hi_u32 s18, s19, s12
	s_mul_i32 s20, s19, s12
	s_mul_i32 s24, s21, s14
	s_mul_hi_u32 s12, s21, s12
	s_mul_hi_u32 s23, s21, s14
	s_add_u32 s12, s12, s24
	s_addc_u32 s23, 0, s23
	s_add_u32 s12, s12, s20
	s_mul_hi_u32 s15, s19, s14
	s_addc_u32 s12, s23, s18
	s_addc_u32 s15, s15, 0
	s_mul_i32 s14, s19, s14
	s_add_u32 s12, s12, s14
	s_addc_u32 s18, 0, s15
	s_add_u32 s20, s21, s12
	s_cselect_b64 s[14:15], -1, 0
	s_cmp_lg_u64 s[14:15], 0
	s_addc_u32 s18, s19, s18
	s_ashr_i32 s14, s13, 31
	s_add_u32 s12, s5, s14
	s_mov_b32 s15, s14
	s_addc_u32 s13, s13, s14
	s_xor_b64 s[12:13], s[12:13], s[14:15]
	s_mul_i32 s21, s12, s18
	s_mul_hi_u32 s23, s12, s20
	s_mul_hi_u32 s19, s12, s18
	s_add_u32 s21, s23, s21
	s_addc_u32 s19, 0, s19
	s_mul_hi_u32 s24, s13, s20
	s_mul_i32 s20, s13, s20
	s_add_u32 s20, s21, s20
	s_mul_hi_u32 s23, s13, s18
	s_addc_u32 s19, s19, s24
	s_addc_u32 s20, s23, 0
	s_mul_i32 s18, s13, s18
	s_add_u32 s23, s19, s18
	s_addc_u32 s24, 0, s20
	s_mul_i32 s18, s6, s24
	s_mul_hi_u32 s19, s6, s23
	s_add_i32 s18, s19, s18
	s_mul_i32 s19, s7, s23
	s_add_i32 s25, s18, s19
	s_sub_i32 s20, s13, s25
	s_mul_i32 s18, s6, s23
	s_sub_u32 s12, s12, s18
	s_cselect_b64 s[18:19], -1, 0
	s_cmp_lg_u64 s[18:19], 0
	s_subb_u32 s26, s20, s7
	s_sub_u32 s27, s12, s6
	s_cselect_b64 s[20:21], -1, 0
	s_cmp_lg_u64 s[20:21], 0
	s_subb_u32 s20, s26, 0
	s_cmp_ge_u32 s20, s7
	s_cselect_b32 s21, -1, 0
	s_cmp_ge_u32 s27, s6
	s_cselect_b32 s26, -1, 0
	s_cmp_eq_u32 s20, s7
	s_cselect_b32 s20, s26, s21
	s_add_u32 s21, s23, 1
	s_addc_u32 s26, s24, 0
	s_add_u32 s27, s23, 2
	s_addc_u32 s28, s24, 0
	s_cmp_lg_u32 s20, 0
	s_cselect_b32 s20, s27, s21
	s_cselect_b32 s21, s28, s26
	s_cmp_lg_u64 s[18:19], 0
	s_subb_u32 s13, s13, s25
	s_cmp_ge_u32 s13, s7
	s_cselect_b32 s18, -1, 0
	s_cmp_ge_u32 s12, s6
	s_cselect_b32 s6, -1, 0
	s_cmp_eq_u32 s13, s7
	s_cselect_b32 s6, s6, s18
	s_cmp_lg_u32 s6, 0
	s_cselect_b32 s7, s21, s24
	s_cselect_b32 s6, s20, s23
	s_xor_b64 s[12:13], s[14:15], 0
	s_xor_b64 s[6:7], s[6:7], s[12:13]
	s_sub_u32 s6, s6, s12
	s_load_dwordx4 s[12:15], s[0:1], 0x44
	s_cbranch_execnz .LBB3_3
.LBB3_2:
	v_cvt_f32_u32_e32 v1, s22
	s_sub_i32 s6, 0, s22
	v_rcp_iflag_f32_e32 v1, v1
	s_nop 0
	v_mul_f32_e32 v1, 0x4f7ffffe, v1
	v_cvt_u32_f32_e32 v1, v1
	s_nop 0
	v_readfirstlane_b32 s7, v1
	s_mul_i32 s6, s6, s7
	s_mul_hi_u32 s6, s7, s6
	s_add_i32 s7, s7, s6
	s_mul_hi_u32 s6, s5, s7
	s_waitcnt lgkmcnt(0)
	s_mul_i32 s15, s6, s22
	s_sub_i32 s5, s5, s15
	s_add_i32 s7, s6, 1
	s_sub_i32 s15, s5, s22
	s_cmp_ge_u32 s5, s22
	s_cselect_b32 s6, s7, s6
	s_cselect_b32 s5, s15, s5
	s_add_i32 s7, s6, 1
	s_cmp_ge_u32 s5, s22
	s_cselect_b32 s6, s7, s6
.LBB3_3:
	s_add_i32 s5, s2, 1
	s_mul_hi_i32 s21, s11, s5
	s_mov_b32 s20, 0
	s_cmp_lg_u64 s[20:21], 0
	s_mul_i32 s5, s11, s5
	s_cbranch_scc0 .LBB3_21
; %bb.4:
	s_add_u32 s16, s22, 0
	s_addc_u32 s17, 0, 0
	s_xor_b64 s[18:19], s[16:17], 0
	v_cvt_f32_u32_e32 v1, s18
	v_cvt_f32_u32_e32 v2, s19
	s_sub_u32 s7, 0, s18
	s_waitcnt lgkmcnt(0)
	s_subb_u32 s15, 0, s19
	v_fmamk_f32 v1, v2, 0x4f800000, v1
	v_rcp_f32_e32 v1, v1
	s_nop 0
	v_mul_f32_e32 v1, 0x5f7ffffc, v1
	v_mul_f32_e32 v2, 0x2f800000, v1
	v_trunc_f32_e32 v2, v2
	v_fmamk_f32 v1, v2, 0xcf800000, v1
	v_cvt_u32_f32_e32 v2, v2
	v_cvt_u32_f32_e32 v1, v1
	v_readfirstlane_b32 s20, v2
	v_readfirstlane_b32 s23, v1
	s_mul_i32 s24, s7, s20
	s_mul_hi_u32 s26, s7, s23
	s_mul_i32 s25, s15, s23
	s_add_i32 s24, s26, s24
	s_add_i32 s24, s24, s25
	s_mul_i32 s27, s7, s23
	s_mul_i32 s26, s23, s24
	s_mul_hi_u32 s28, s23, s27
	s_mul_hi_u32 s25, s23, s24
	s_add_u32 s26, s28, s26
	s_addc_u32 s25, 0, s25
	s_mul_hi_u32 s29, s20, s27
	s_mul_i32 s27, s20, s27
	s_add_u32 s26, s26, s27
	s_mul_hi_u32 s28, s20, s24
	s_addc_u32 s25, s25, s29
	s_addc_u32 s26, s28, 0
	s_mul_i32 s24, s20, s24
	s_add_u32 s24, s25, s24
	s_addc_u32 s26, 0, s26
	s_add_u32 s23, s23, s24
	s_cselect_b64 s[24:25], -1, 0
	s_cmp_lg_u64 s[24:25], 0
	s_addc_u32 s20, s20, s26
	s_mul_i32 s24, s7, s20
	s_mul_hi_u32 s25, s7, s23
	s_add_i32 s24, s25, s24
	s_mul_i32 s15, s15, s23
	s_add_i32 s24, s24, s15
	s_mul_i32 s7, s7, s23
	s_mul_hi_u32 s25, s20, s7
	s_mul_i32 s26, s20, s7
	s_mul_i32 s28, s23, s24
	s_mul_hi_u32 s7, s23, s7
	s_mul_hi_u32 s27, s23, s24
	s_add_u32 s7, s7, s28
	s_addc_u32 s27, 0, s27
	s_add_u32 s7, s7, s26
	s_mul_hi_u32 s15, s20, s24
	s_addc_u32 s7, s27, s25
	s_addc_u32 s15, s15, 0
	s_mul_i32 s24, s20, s24
	s_add_u32 s7, s7, s24
	s_addc_u32 s15, 0, s15
	s_add_u32 s7, s23, s7
	s_cselect_b64 s[24:25], -1, 0
	s_cmp_lg_u64 s[24:25], 0
	s_addc_u32 s15, s20, s15
	s_ashr_i32 s24, s21, 31
	s_add_u32 s20, s5, s24
	s_mov_b32 s25, s24
	s_addc_u32 s21, s21, s24
	s_xor_b64 s[20:21], s[20:21], s[24:25]
	s_mul_i32 s26, s20, s15
	s_mul_hi_u32 s27, s20, s7
	s_mul_hi_u32 s23, s20, s15
	s_add_u32 s26, s27, s26
	s_addc_u32 s23, 0, s23
	s_mul_hi_u32 s28, s21, s7
	s_mul_i32 s7, s21, s7
	s_add_u32 s7, s26, s7
	s_mul_hi_u32 s27, s21, s15
	s_addc_u32 s7, s23, s28
	s_addc_u32 s23, s27, 0
	s_mul_i32 s15, s21, s15
	s_add_u32 s7, s7, s15
	s_addc_u32 s15, 0, s23
	s_mul_i32 s23, s18, s15
	s_mul_hi_u32 s26, s18, s7
	s_add_i32 s23, s26, s23
	s_mul_i32 s26, s19, s7
	s_add_i32 s23, s23, s26
	s_sub_i32 s28, s21, s23
	s_mul_i32 s26, s18, s7
	s_sub_u32 s20, s20, s26
	s_cselect_b64 s[26:27], -1, 0
	s_cmp_lg_u64 s[26:27], 0
	s_subb_u32 s30, s28, s19
	s_sub_u32 s31, s20, s18
	s_cselect_b64 s[28:29], -1, 0
	s_cmp_lg_u64 s[28:29], 0
	s_subb_u32 s28, s30, 0
	s_cmp_ge_u32 s28, s19
	s_cselect_b32 s29, -1, 0
	s_cmp_ge_u32 s31, s18
	s_cselect_b32 s30, -1, 0
	s_cmp_eq_u32 s28, s19
	s_cselect_b32 s28, s30, s29
	s_add_u32 s29, s7, 1
	s_addc_u32 s30, s15, 0
	s_add_u32 s31, s7, 2
	s_addc_u32 s33, s15, 0
	s_cmp_lg_u32 s28, 0
	s_cselect_b32 s28, s31, s29
	s_cselect_b32 s29, s33, s30
	s_cmp_lg_u64 s[26:27], 0
	s_subb_u32 s21, s21, s23
	s_cmp_ge_u32 s21, s19
	s_cselect_b32 s23, -1, 0
	s_cmp_ge_u32 s20, s18
	s_cselect_b32 s18, -1, 0
	s_cmp_eq_u32 s21, s19
	s_cselect_b32 s18, s18, s23
	s_cmp_lg_u32 s18, 0
	s_cselect_b32 s19, s29, s15
	s_cselect_b32 s18, s28, s7
	s_xor_b64 s[20:21], s[24:25], 0
	s_xor_b64 s[18:19], s[18:19], s[20:21]
	s_sub_u32 s18, s18, s20
	s_cbranch_execnz .LBB3_6
.LBB3_5:
	v_cvt_f32_u32_e32 v1, s22
	s_sub_i32 s7, 0, s22
	v_rcp_iflag_f32_e32 v1, v1
	s_nop 0
	v_mul_f32_e32 v1, 0x4f7ffffe, v1
	v_cvt_u32_f32_e32 v1, v1
	s_waitcnt lgkmcnt(0)
	v_readfirstlane_b32 s15, v1
	s_mul_i32 s7, s7, s15
	s_mul_hi_u32 s7, s15, s7
	s_add_i32 s15, s15, s7
	s_mul_hi_u32 s7, s5, s15
	s_mul_i32 s16, s7, s22
	s_sub_i32 s5, s5, s16
	s_add_i32 s15, s7, 1
	s_sub_i32 s16, s5, s22
	s_cmp_ge_u32 s5, s22
	s_cselect_b32 s7, s15, s7
	s_cselect_b32 s5, s16, s5
	s_add_i32 s15, s7, 1
	s_cmp_ge_u32 s5, s22
	s_cselect_b32 s18, s15, s7
.LBB3_6:
	s_cmp_eq_u32 s6, s18
	s_waitcnt lgkmcnt(0)
	s_mul_hi_u32 s5, s6, s12
	s_cselect_b64 s[16:17], -1, 0
	s_add_i32 s5, s5, s6
	s_lshr_b32 s7, s5, s13
	s_mul_i32 s5, s7, s14
	s_cmp_eq_u32 s5, s6
	s_mul_hi_u32 s5, s18, s12
	s_cselect_b64 s[20:21], -1, 0
	s_add_i32 s5, s5, s18
	s_lshr_b32 s5, s5, s13
	s_cmp_eq_u32 s7, s5
	s_mul_i32 s5, s5, s14
	s_cselect_b64 s[24:25], -1, 0
	s_cmp_lg_u32 s5, s18
	s_cselect_b64 s[18:19], -1, 0
	s_and_b64 s[18:19], s[24:25], s[18:19]
	s_or_b64 s[16:17], s[16:17], s[20:21]
	s_or_b64 s[16:17], s[16:17], s[18:19]
	s_and_b64 vcc, exec, s[16:17]
	s_cbranch_vccnz .LBB3_23
; %bb.7:
	s_load_dwordx8 s[24:31], s[0:1], 0x20
	s_load_dword s15, s[0:1], 0x40
	s_waitcnt lgkmcnt(0)
	s_mul_hi_u32 s5, s6, s24
	s_add_i32 s5, s5, s6
	s_lshr_b32 s5, s5, s25
	s_mul_i32 s16, s5, s26
	s_sub_i32 s16, s6, s16
	s_mul_hi_u32 s17, s16, s27
	s_add_i32 s17, s16, s17
	s_lshr_b32 s20, s17, s28
	s_mul_i32 s17, s20, s29
	s_sub_i32 s16, s16, s17
	;; [unrolled: 5-line block ×3, first 2 shown]
	s_mul_hi_u32 s16, s15, s12
	s_add_i32 s15, s15, s16
	s_lshr_b32 s23, s15, s13
	s_lshl_b32 s15, s23, 2
	s_lshl_b32 s21, s17, 3
	s_add_i32 s15, s15, s3
	s_cmp_lt_i32 s15, s8
	s_cselect_b64 s[16:17], -1, 0
	s_add_i32 s15, s21, s4
	s_cmp_lt_i32 s15, s10
	s_cselect_b64 s[18:19], -1, 0
	s_and_b64 s[16:17], s[16:17], s[18:19]
	s_andn2_b64 vcc, exec, s[16:17]
	s_cbranch_vccnz .LBB3_23
; %bb.8:
	s_load_dwordx4 s[16:19], s[0:1], 0x0
	s_mov_b32 s0, 0
	s_lshl_b32 s15, s3, 3
	s_lshl_b32 s24, s22, 7
	s_mov_b32 s25, s0
	s_add_i32 s15, s15, s4
	s_waitcnt lgkmcnt(0)
	v_mov_b32_e32 v2, s16
	v_mov_b32_e32 v3, s17
	s_lshl_b64 s[16:17], s[24:25], 2
	s_add_u32 s16, s18, s16
	s_mul_i32 s1, s5, s8
	s_addc_u32 s17, s19, s17
	s_add_i32 s1, s1, s3
	s_mul_i32 s1, s1, s9
	s_mul_i32 s20, s20, s10
	s_add_i32 s1, s1, s4
	s_add_i32 s1, s1, s20
	s_mul_i32 s5, s9, s23
	s_add_i32 s1, s1, s21
	s_lshl_b32 s5, s5, 11
	s_lshl_b32 s1, s1, 9
	s_add_i32 s5, s5, s1
	v_or_b32_e32 v4, s5, v0
	v_ashrrev_i32_e32 v5, 31, v4
	v_lshl_add_u64 v[2:3], v[4:5], 2, v[2:3]
	global_load_dword v1, v[2:3], off
	v_cvt_f32_u32_e32 v4, s22
	s_lshl_b32 s1, s2, 5
	s_add_i32 s4, s15, s1
	s_ashr_i32 s5, s4, 31
	s_lshl_b64 s[4:5], s[4:5], 3
	v_rcp_iflag_f32_e32 v4, v4
	s_add_u32 s4, s18, s4
	s_addc_u32 s5, s19, s5
	s_load_dwordx2 s[4:5], s[4:5], 0x0
	v_mul_f32_e32 v4, 0x4f7ffffe, v4
	v_cvt_u32_f32_e32 v7, v4
	s_add_i32 s24, s2, -1
	v_lshl_or_b32 v6, s15, 9, v0
	s_waitcnt lgkmcnt(0)
	v_mov_b32_e32 v0, s5
	v_mov_b32_e32 v9, s4
	s_mov_b32 s10, 0x3fb8aa3b
	s_mov_b32 s20, 0xc2ce8ed0
	;; [unrolled: 1-line block ×4, first 2 shown]
	v_mov_b32_e32 v8, 0x7f800000
	s_mul_hi_i32 s1, s24, s11
	s_cmp_lg_u64 s[0:1], 0
	s_mul_i32 s8, s24, s11
	s_cbranch_scc0 .LBB3_19
.LBB3_9:
	s_add_u32 s2, s22, 0
	s_addc_u32 s3, 0, 0
	s_xor_b64 s[2:3], s[2:3], 0
	v_cvt_f32_u32_e32 v4, s2
	v_cvt_f32_u32_e32 v5, s3
	s_sub_u32 s9, 0, s2
	s_subb_u32 s25, 0, s3
	v_fmac_f32_e32 v4, 0x4f800000, v5
	v_rcp_f32_e32 v4, v4
	s_nop 0
	v_mul_f32_e32 v4, 0x5f7ffffc, v4
	v_mul_f32_e32 v5, 0x2f800000, v4
	v_trunc_f32_e32 v5, v5
	v_fmac_f32_e32 v4, 0xcf800000, v5
	v_cvt_u32_f32_e32 v5, v5
	v_cvt_u32_f32_e32 v4, v4
	v_readfirstlane_b32 s26, v5
	v_readfirstlane_b32 s4, v4
	s_mul_i32 s5, s9, s26
	s_mul_hi_u32 s28, s9, s4
	s_mul_i32 s27, s25, s4
	s_add_i32 s5, s28, s5
	s_mul_i32 s29, s9, s4
	s_add_i32 s5, s5, s27
	s_mul_i32 s28, s4, s5
	s_mul_hi_u32 s30, s4, s29
	s_mul_hi_u32 s27, s4, s5
	s_add_u32 s28, s30, s28
	s_addc_u32 s27, 0, s27
	s_mul_hi_u32 s31, s26, s29
	s_mul_i32 s29, s26, s29
	s_add_u32 s28, s28, s29
	s_mul_hi_u32 s30, s26, s5
	s_addc_u32 s27, s27, s31
	s_addc_u32 s28, s30, 0
	s_mul_i32 s5, s26, s5
	s_add_u32 s5, s27, s5
	s_addc_u32 s27, 0, s28
	s_add_u32 s28, s4, s5
	s_cselect_b64 s[4:5], -1, 0
	s_cmp_lg_u64 s[4:5], 0
	s_addc_u32 s26, s26, s27
	s_mul_i32 s4, s9, s26
	s_mul_hi_u32 s5, s9, s28
	s_add_i32 s4, s5, s4
	s_mul_i32 s25, s25, s28
	s_add_i32 s4, s4, s25
	s_mul_i32 s9, s9, s28
	s_mul_hi_u32 s25, s26, s9
	s_mul_i32 s27, s26, s9
	s_mul_i32 s30, s28, s4
	s_mul_hi_u32 s9, s28, s9
	s_mul_hi_u32 s29, s28, s4
	s_add_u32 s9, s9, s30
	s_addc_u32 s29, 0, s29
	s_add_u32 s9, s9, s27
	s_mul_hi_u32 s5, s26, s4
	s_addc_u32 s9, s29, s25
	s_addc_u32 s5, s5, 0
	s_mul_i32 s4, s26, s4
	s_add_u32 s4, s9, s4
	s_addc_u32 s9, 0, s5
	s_add_u32 s25, s28, s4
	s_cselect_b64 s[4:5], -1, 0
	s_cmp_lg_u64 s[4:5], 0
	s_addc_u32 s9, s26, s9
	s_ashr_i32 s4, s1, 31
	s_add_u32 s26, s8, s4
	s_mov_b32 s5, s4
	s_addc_u32 s27, s1, s4
	s_xor_b64 s[26:27], s[26:27], s[4:5]
	s_mul_i32 s28, s26, s9
	s_mul_hi_u32 s29, s26, s25
	s_mul_hi_u32 s1, s26, s9
	s_add_u32 s28, s29, s28
	s_addc_u32 s1, 0, s1
	s_mul_hi_u32 s30, s27, s25
	s_mul_i32 s25, s27, s25
	s_add_u32 s25, s28, s25
	s_mul_hi_u32 s29, s27, s9
	s_addc_u32 s1, s1, s30
	s_addc_u32 s25, s29, 0
	s_mul_i32 s9, s27, s9
	s_add_u32 s1, s1, s9
	s_addc_u32 s9, 0, s25
	s_mul_i32 s25, s2, s9
	s_mul_hi_u32 s28, s2, s1
	s_add_i32 s25, s28, s25
	s_mul_i32 s28, s3, s1
	s_add_i32 s25, s25, s28
	s_sub_i32 s30, s27, s25
	s_mul_i32 s28, s2, s1
	s_sub_u32 s26, s26, s28
	s_cselect_b64 s[28:29], -1, 0
	s_cmp_lg_u64 s[28:29], 0
	s_subb_u32 s33, s30, s3
	s_sub_u32 s34, s26, s2
	s_cselect_b64 s[30:31], -1, 0
	s_cmp_lg_u64 s[30:31], 0
	s_subb_u32 s30, s33, 0
	s_cmp_ge_u32 s30, s3
	s_cselect_b32 s31, -1, 0
	s_cmp_ge_u32 s34, s2
	s_cselect_b32 s33, -1, 0
	s_cmp_eq_u32 s30, s3
	s_cselect_b32 s30, s33, s31
	s_add_u32 s31, s1, 1
	s_addc_u32 s33, s9, 0
	s_add_u32 s34, s1, 2
	s_addc_u32 s35, s9, 0
	s_cmp_lg_u32 s30, 0
	s_cselect_b32 s30, s34, s31
	s_cselect_b32 s31, s35, s33
	s_cmp_lg_u64 s[28:29], 0
	s_subb_u32 s25, s27, s25
	s_cmp_ge_u32 s25, s3
	s_cselect_b32 s27, -1, 0
	s_cmp_ge_u32 s26, s2
	s_cselect_b32 s2, -1, 0
	s_cmp_eq_u32 s25, s3
	s_cselect_b32 s2, s2, s27
	s_cmp_lg_u32 s2, 0
	s_cselect_b32 s3, s31, s9
	s_cselect_b32 s2, s30, s1
	s_xor_b64 s[4:5], s[4:5], 0
	s_xor_b64 s[2:3], s[2:3], s[4:5]
	s_sub_u32 s4, s2, s4
	s_cbranch_execnz .LBB3_11
.LBB3_10:
	s_sub_i32 s1, 0, s22
	v_readfirstlane_b32 s2, v7
	s_mul_i32 s1, s1, s2
	s_mul_hi_u32 s1, s2, s1
	s_add_i32 s2, s2, s1
	s_mul_hi_u32 s1, s8, s2
	s_mul_i32 s3, s1, s22
	s_sub_i32 s3, s8, s3
	s_add_i32 s2, s1, 1
	s_sub_i32 s4, s3, s22
	s_cmp_ge_u32 s3, s22
	s_cselect_b32 s1, s2, s1
	s_cselect_b32 s3, s4, s3
	s_add_i32 s2, s1, 1
	s_cmp_ge_u32 s3, s22
	s_cselect_b32 s4, s2, s1
.LBB3_11:
	s_cmp_lg_u32 s6, s4
	s_cbranch_scc0 .LBB3_15
; %bb.12:
	s_add_i32 s1, s24, s22
	s_lshl_b32 s1, s1, 5
	s_add_i32 s2, s1, s15
	s_mov_b32 s3, s0
	s_lshl_b64 s[2:3], s[2:3], 3
	s_add_u32 s8, s18, s2
	s_mul_hi_u32 s1, s4, s12
	s_addc_u32 s9, s19, s3
	s_add_i32 s1, s1, s4
	s_lshr_b32 s1, s1, s13
	s_mul_i32 s2, s1, s14
	s_cmp_eq_u32 s2, s4
	s_cselect_b64 s[2:3], -1, 0
	s_cmp_lt_u32 s1, s7
	s_cselect_b64 s[26:27], -1, 0
	s_or_b64 s[26:27], s[26:27], s[2:3]
	s_mov_b64 s[2:3], -1
	s_and_b64 vcc, exec, s[26:27]
	s_mov_b32 s1, s24
	s_mov_b32 s25, s6
	s_cbranch_vccnz .LBB3_14
; %bb.13:
	s_add_i32 s1, s24, -1
	s_mov_b64 s[2:3], 0
	s_mov_b32 s25, s4
.LBB3_14:
	v_lshl_add_u32 v4, s24, 14, v6
	v_ashrrev_i32_e32 v5, 31, v4
	v_lshl_add_u64 v[4:5], v[4:5], 2, s[16:17]
	global_load_dword v5, v[4:5], off
	s_load_dwordx2 s[4:5], s[8:9], 0x0
	v_max_f32_e32 v4, v9, v9
	s_waitcnt lgkmcnt(0)
	v_max_f32_e64 v10, s4, s4
	v_max_f32_e32 v10, v4, v10
	v_sub_f32_e32 v11, v9, v10
	v_sub_f32_e32 v13, s4, v10
	v_mul_f32_e32 v4, 0x3fb8aa3b, v11
	v_mul_f32_e32 v12, 0x3fb8aa3b, v13
	v_fma_f32 v14, v11, s10, -v4
	v_rndne_f32_e32 v15, v4
	v_fma_f32 v16, v13, s10, -v12
	v_rndne_f32_e32 v17, v12
	v_fmac_f32_e32 v14, 0x32a5705f, v11
	v_sub_f32_e32 v4, v4, v15
	v_fmac_f32_e32 v16, 0x32a5705f, v13
	v_sub_f32_e32 v12, v12, v17
	v_add_f32_e32 v4, v4, v14
	v_cvt_i32_f32_e32 v15, v15
	v_add_f32_e32 v12, v12, v16
	v_exp_f32_e32 v14, v4
	v_cvt_i32_f32_e32 v17, v17
	v_exp_f32_e32 v12, v12
	v_cmp_ngt_f32_e32 vcc, s20, v11
	v_ldexp_f32 v14, v14, v15
	v_mov_b32_e32 v4, s5
	v_ldexp_f32 v12, v12, v17
	v_cndmask_b32_e32 v14, 0, v14, vcc
	v_cmp_ngt_f32_e32 vcc, s20, v13
	s_nop 1
	v_cndmask_b32_e32 v12, 0, v12, vcc
	v_cmp_nlt_f32_e32 vcc, s21, v11
	s_nop 1
	v_cndmask_b32_e32 v14, v8, v14, vcc
	v_cmp_nlt_f32_e32 vcc, s21, v13
	s_nop 1
	v_cndmask_b32_e32 v15, v8, v12, vcc
	v_cmp_le_f32_e32 vcc, s23, v11
	s_nop 1
	v_cndmask_b32_e32 v12, 0, v14, vcc
	v_cmp_le_f32_e32 vcc, s23, v13
	s_nop 1
	v_cndmask_b32_e32 v14, 0, v15, vcc
	s_waitcnt vmcnt(0)
	v_pk_mul_f32 v[4:5], v[4:5], v[14:15] op_sel_hi:[1,0]
	s_nop 0
	v_pk_fma_f32 v[4:5], v[0:1], v[12:13], v[4:5] op_sel_hi:[1,0,1]
	s_cbranch_execz .LBB3_16
	s_branch .LBB3_17
.LBB3_15:
                                        ; implicit-def: $vgpr4_vgpr5
                                        ; implicit-def: $sgpr2_sgpr3
                                        ; implicit-def: $vgpr10
                                        ; implicit-def: $sgpr1
                                        ; implicit-def: $sgpr25
.LBB3_16:
	s_add_i32 s1, s24, -1
	s_mov_b64 s[2:3], 0
	s_mov_b32 s25, s6
	v_mov_b32_e32 v10, v9
	s_waitcnt vmcnt(0)
	v_mov_b64_e32 v[4:5], v[0:1]
.LBB3_17:
	s_andn2_b64 vcc, exec, s[2:3]
	s_cbranch_vccz .LBB3_22
; %bb.18:
	s_mov_b32 s6, s25
	s_mov_b32 s24, s1
	v_mov_b32_e32 v9, v10
	s_waitcnt vmcnt(0)
	v_mov_b64_e32 v[0:1], v[4:5]
	s_mul_hi_i32 s1, s24, s11
	s_cmp_lg_u64 s[0:1], 0
	s_mul_i32 s8, s24, s11
	s_cbranch_scc1 .LBB3_9
.LBB3_19:
                                        ; implicit-def: $sgpr4_sgpr5
	s_branch .LBB3_10
.LBB3_20:
                                        ; implicit-def: $sgpr6_sgpr7
	s_load_dwordx4 s[12:15], s[0:1], 0x44
	s_branch .LBB3_2
.LBB3_21:
                                        ; implicit-def: $sgpr18_sgpr19
	s_branch .LBB3_5
.LBB3_22:
	v_div_scale_f32 v0, s[0:1], v4, v4, v5
	s_waitcnt vmcnt(0)
	v_rcp_f32_e32 v1, v0
	v_div_scale_f32 v6, vcc, v5, v4, v5
	v_fma_f32 v7, -v0, v1, 1.0
	v_fmac_f32_e32 v1, v7, v1
	v_mul_f32_e32 v7, v6, v1
	v_fma_f32 v8, -v0, v7, v6
	v_fmac_f32_e32 v7, v8, v1
	v_fma_f32 v0, -v0, v7, v6
	v_div_fmas_f32 v0, v0, v1, v7
	v_div_fixup_f32 v0, v0, v4, v5
	global_store_dword v[2:3], v0, off
.LBB3_23:
	s_endpgm
	.section	.rodata,"a",@progbits
	.p2align	6, 0x0
	.amdhsa_kernel _ZL33flash_attn_stream_k_fixup_generalILi512ELi4ELi8EEvPfPK15HIP_vector_typeIfLj2EEiiiiS1_IjLj3EES5_S5_S5_
		.amdhsa_group_segment_fixed_size 0
		.amdhsa_private_segment_fixed_size 0
		.amdhsa_kernarg_size 336
		.amdhsa_user_sgpr_count 2
		.amdhsa_user_sgpr_dispatch_ptr 0
		.amdhsa_user_sgpr_queue_ptr 0
		.amdhsa_user_sgpr_kernarg_segment_ptr 1
		.amdhsa_user_sgpr_dispatch_id 0
		.amdhsa_user_sgpr_kernarg_preload_length 0
		.amdhsa_user_sgpr_kernarg_preload_offset 0
		.amdhsa_user_sgpr_private_segment_size 0
		.amdhsa_uses_dynamic_stack 0
		.amdhsa_enable_private_segment 0
		.amdhsa_system_sgpr_workgroup_id_x 1
		.amdhsa_system_sgpr_workgroup_id_y 1
		.amdhsa_system_sgpr_workgroup_id_z 1
		.amdhsa_system_sgpr_workgroup_info 0
		.amdhsa_system_vgpr_workitem_id 0
		.amdhsa_next_free_vgpr 18
		.amdhsa_next_free_sgpr 36
		.amdhsa_accum_offset 20
		.amdhsa_reserve_vcc 1
		.amdhsa_float_round_mode_32 0
		.amdhsa_float_round_mode_16_64 0
		.amdhsa_float_denorm_mode_32 3
		.amdhsa_float_denorm_mode_16_64 3
		.amdhsa_dx10_clamp 1
		.amdhsa_ieee_mode 1
		.amdhsa_fp16_overflow 0
		.amdhsa_tg_split 0
		.amdhsa_exception_fp_ieee_invalid_op 0
		.amdhsa_exception_fp_denorm_src 0
		.amdhsa_exception_fp_ieee_div_zero 0
		.amdhsa_exception_fp_ieee_overflow 0
		.amdhsa_exception_fp_ieee_underflow 0
		.amdhsa_exception_fp_ieee_inexact 0
		.amdhsa_exception_int_div_zero 0
	.end_amdhsa_kernel
	.section	.text._ZL33flash_attn_stream_k_fixup_generalILi512ELi4ELi8EEvPfPK15HIP_vector_typeIfLj2EEiiiiS1_IjLj3EES5_S5_S5_,"axG",@progbits,_ZL33flash_attn_stream_k_fixup_generalILi512ELi4ELi8EEvPfPK15HIP_vector_typeIfLj2EEiiiiS1_IjLj3EES5_S5_S5_,comdat
.Lfunc_end3:
	.size	_ZL33flash_attn_stream_k_fixup_generalILi512ELi4ELi8EEvPfPK15HIP_vector_typeIfLj2EEiiiiS1_IjLj3EES5_S5_S5_, .Lfunc_end3-_ZL33flash_attn_stream_k_fixup_generalILi512ELi4ELi8EEvPfPK15HIP_vector_typeIfLj2EEiiiiS1_IjLj3EES5_S5_S5_
                                        ; -- End function
	.set _ZL33flash_attn_stream_k_fixup_generalILi512ELi4ELi8EEvPfPK15HIP_vector_typeIfLj2EEiiiiS1_IjLj3EES5_S5_S5_.num_vgpr, 18
	.set _ZL33flash_attn_stream_k_fixup_generalILi512ELi4ELi8EEvPfPK15HIP_vector_typeIfLj2EEiiiiS1_IjLj3EES5_S5_S5_.num_agpr, 0
	.set _ZL33flash_attn_stream_k_fixup_generalILi512ELi4ELi8EEvPfPK15HIP_vector_typeIfLj2EEiiiiS1_IjLj3EES5_S5_S5_.numbered_sgpr, 36
	.set _ZL33flash_attn_stream_k_fixup_generalILi512ELi4ELi8EEvPfPK15HIP_vector_typeIfLj2EEiiiiS1_IjLj3EES5_S5_S5_.num_named_barrier, 0
	.set _ZL33flash_attn_stream_k_fixup_generalILi512ELi4ELi8EEvPfPK15HIP_vector_typeIfLj2EEiiiiS1_IjLj3EES5_S5_S5_.private_seg_size, 0
	.set _ZL33flash_attn_stream_k_fixup_generalILi512ELi4ELi8EEvPfPK15HIP_vector_typeIfLj2EEiiiiS1_IjLj3EES5_S5_S5_.uses_vcc, 1
	.set _ZL33flash_attn_stream_k_fixup_generalILi512ELi4ELi8EEvPfPK15HIP_vector_typeIfLj2EEiiiiS1_IjLj3EES5_S5_S5_.uses_flat_scratch, 0
	.set _ZL33flash_attn_stream_k_fixup_generalILi512ELi4ELi8EEvPfPK15HIP_vector_typeIfLj2EEiiiiS1_IjLj3EES5_S5_S5_.has_dyn_sized_stack, 0
	.set _ZL33flash_attn_stream_k_fixup_generalILi512ELi4ELi8EEvPfPK15HIP_vector_typeIfLj2EEiiiiS1_IjLj3EES5_S5_S5_.has_recursion, 0
	.set _ZL33flash_attn_stream_k_fixup_generalILi512ELi4ELi8EEvPfPK15HIP_vector_typeIfLj2EEiiiiS1_IjLj3EES5_S5_S5_.has_indirect_call, 0
	.section	.AMDGPU.csdata,"",@progbits
; Kernel info:
; codeLenInByte = 2940
; TotalNumSgprs: 42
; NumVgprs: 18
; NumAgprs: 0
; TotalNumVgprs: 18
; ScratchSize: 0
; MemoryBound: 0
; FloatMode: 240
; IeeeMode: 1
; LDSByteSize: 0 bytes/workgroup (compile time only)
; SGPRBlocks: 5
; VGPRBlocks: 2
; NumSGPRsForWavesPerEU: 42
; NumVGPRsForWavesPerEU: 18
; AccumOffset: 20
; Occupancy: 8
; WaveLimiterHint : 0
; COMPUTE_PGM_RSRC2:SCRATCH_EN: 0
; COMPUTE_PGM_RSRC2:USER_SGPR: 2
; COMPUTE_PGM_RSRC2:TRAP_HANDLER: 0
; COMPUTE_PGM_RSRC2:TGID_X_EN: 1
; COMPUTE_PGM_RSRC2:TGID_Y_EN: 1
; COMPUTE_PGM_RSRC2:TGID_Z_EN: 1
; COMPUTE_PGM_RSRC2:TIDIG_COMP_CNT: 0
; COMPUTE_PGM_RSRC3_GFX90A:ACCUM_OFFSET: 4
; COMPUTE_PGM_RSRC3_GFX90A:TG_SPLIT: 0
	.section	.text._ZL26flash_attn_combine_resultsILi512EEvPKfPK15HIP_vector_typeIfLj2EEPfi,"axG",@progbits,_ZL26flash_attn_combine_resultsILi512EEvPKfPK15HIP_vector_typeIfLj2EEPfi,comdat
	.globl	_ZL26flash_attn_combine_resultsILi512EEvPKfPK15HIP_vector_typeIfLj2EEPfi ; -- Begin function _ZL26flash_attn_combine_resultsILi512EEvPKfPK15HIP_vector_typeIfLj2EEPfi
	.p2align	8
	.type	_ZL26flash_attn_combine_resultsILi512EEvPKfPK15HIP_vector_typeIfLj2EEPfi,@function
_ZL26flash_attn_combine_resultsILi512EEvPKfPK15HIP_vector_typeIfLj2EEPfi: ; @_ZL26flash_attn_combine_resultsILi512EEvPKfPK15HIP_vector_typeIfLj2EEPfi
; %bb.0:
	s_load_dwordx2 s[6:7], s[0:1], 0x20
	s_load_dword s19, s[0:1], 0x18
	s_load_dwordx4 s[8:11], s[0:1], 0x0
	s_load_dwordx2 s[14:15], s[0:1], 0x10
	s_waitcnt lgkmcnt(0)
	s_mul_i32 s0, s6, s4
	s_add_i32 s0, s0, s2
	s_mul_i32 s18, s0, s7
	s_add_i32 s18, s18, s3
	s_lshl_b32 s20, s19, 1
	s_mul_i32 s2, s18, s19
	v_cmp_gt_i32_e32 vcc, s20, v0
	s_and_saveexec_b64 s[0:1], vcc
	s_cbranch_execz .LBB4_13
; %bb.1:
	v_xad_u32 v1, v0, -1, s20
	s_movk_i32 s4, 0x1ff
	s_ashr_i32 s3, s2, 31
	v_cmp_lt_u32_e32 vcc, s4, v1
	s_mov_b64 s[6:7], -1
	v_mov_b32_e32 v2, v0
	s_and_saveexec_b64 s[4:5], vcc
	s_cbranch_execz .LBB4_10
; %bb.2:
	v_lshrrev_b32_e32 v6, 9, v1
	s_lshl_b64 s[6:7], s[2:3], 3
	v_add_u32_e32 v2, -1, v6
	s_add_u32 s6, s10, s6
	v_or_b32_e32 v1, 0x200, v0
	v_lshrrev_b32_e32 v3, 1, v2
	s_addc_u32 s7, s11, s7
	s_mov_b32 s21, 0
	v_add_u32_e32 v7, 1, v3
	v_cmp_lt_u32_e32 vcc, 13, v2
	v_mov_b32_e32 v4, 0
	v_mov_b64_e32 v[2:3], v[0:1]
	s_and_saveexec_b64 s[12:13], vcc
	s_cbranch_execz .LBB4_6
; %bb.3:
	v_and_b32_e32 v8, -8, v7
	v_lshl_add_u32 v9, v0, 2, 0
	s_mov_b64 s[16:17], 0
	v_mov_b32_e32 v5, 0
	v_mov_b64_e32 v[2:3], v[0:1]
.LBB4_4:                                ; =>This Inner Loop Header: Depth=1
	v_mov_b32_e32 v4, v2
	v_lshl_add_u64 v[24:25], v[4:5], 2, s[6:7]
	v_mov_b32_e32 v4, v3
	v_add_u32_e32 v10, 0x400, v3
	v_mov_b32_e32 v11, v5
	v_lshl_add_u64 v[26:27], v[4:5], 2, s[6:7]
	v_add_u32_e32 v4, 0x400, v2
	v_lshl_add_u64 v[10:11], v[10:11], 2, s[6:7]
	global_load_dword v1, v[24:25], off
	v_lshl_add_u64 v[24:25], v[4:5], 2, s[6:7]
	v_add_u32_e32 v4, 0x800, v2
	global_load_dword v28, v[26:27], off
	global_load_dword v29, v[24:25], off
	global_load_dword v30, v[10:11], off
	v_lshl_add_u64 v[10:11], v[4:5], 2, s[6:7]
	v_add_u32_e32 v4, 0xc00, v2
	v_add_u32_e32 v12, 0x800, v3
	v_mov_b32_e32 v13, v5
	v_add_u32_e32 v14, 0xc00, v3
	v_mov_b32_e32 v15, v5
	v_lshl_add_u64 v[24:25], v[4:5], 2, s[6:7]
	v_add_u32_e32 v4, 0x1000, v2
	v_lshl_add_u64 v[12:13], v[12:13], 2, s[6:7]
	v_lshl_add_u64 v[14:15], v[14:15], 2, s[6:7]
	global_load_dword v26, v[10:11], off
	global_load_dword v27, v[12:13], off
	;; [unrolled: 1-line block ×4, first 2 shown]
	v_lshl_add_u64 v[10:11], v[4:5], 2, s[6:7]
	v_add_u32_e32 v4, 0x1400, v2
	v_add_u32_e32 v16, 0x1000, v3
	v_mov_b32_e32 v17, v5
	v_add_u32_e32 v18, 0x1400, v3
	v_mov_b32_e32 v19, v5
	v_lshl_add_u64 v[12:13], v[4:5], 2, s[6:7]
	v_add_u32_e32 v4, 0x1800, v2
	v_add_u32_e32 v20, 0x1800, v3
	v_mov_b32_e32 v21, v5
	v_add_u32_e32 v22, 0x1c00, v3
	v_mov_b32_e32 v23, v5
	v_lshl_add_u64 v[16:17], v[16:17], 2, s[6:7]
	v_lshl_add_u64 v[18:19], v[18:19], 2, s[6:7]
	global_load_dword v14, v[10:11], off
	global_load_dword v15, v[16:17], off
	;; [unrolled: 1-line block ×4, first 2 shown]
	v_lshl_add_u64 v[10:11], v[4:5], 2, s[6:7]
	v_add_u32_e32 v4, 0x1c00, v2
	v_lshl_add_u64 v[20:21], v[20:21], 2, s[6:7]
	v_lshl_add_u64 v[22:23], v[22:23], 2, s[6:7]
	;; [unrolled: 1-line block ×3, first 2 shown]
	global_load_dword v16, v[10:11], off
	global_load_dword v17, v[20:21], off
	;; [unrolled: 1-line block ×4, first 2 shown]
	v_add_u32_e32 v8, -8, v8
	s_add_i32 s21, s21, 16
	v_cmp_eq_u32_e32 vcc, 0, v8
	v_add_u32_e32 v3, 0x2000, v3
	v_mov_b32_e32 v4, s21
	s_or_b64 s[16:17], vcc, s[16:17]
	v_add_u32_e32 v2, 0x2000, v2
	s_waitcnt vmcnt(14)
	ds_write2st64_b32 v9, v1, v28 offset1:8
	s_waitcnt vmcnt(12)
	ds_write2st64_b32 v9, v29, v30 offset0:16 offset1:24
	s_waitcnt vmcnt(10)
	ds_write2st64_b32 v9, v26, v27 offset0:32 offset1:40
	;; [unrolled: 2-line block ×7, first 2 shown]
	v_add_u32_e32 v9, 0x8000, v9
	s_andn2_b64 exec, exec, s[16:17]
	s_cbranch_execnz .LBB4_4
; %bb.5:
	s_or_b64 exec, exec, s[16:17]
.LBB4_6:
	s_or_b64 exec, exec, s[12:13]
	v_and_b32_e32 v1, 7, v7
	v_cmp_ne_u32_e32 vcc, 0, v1
	s_and_saveexec_b64 s[12:13], vcc
	s_cbranch_execz .LBB4_9
; %bb.7:
	v_lshlrev_b32_e32 v5, 2, v0
	v_lshl_or_b32 v4, v4, 11, v5
	v_add_u32_e32 v7, 0, v4
	s_mov_b64 s[16:17], 0
	v_mov_b32_e32 v5, 0
.LBB4_8:                                ; =>This Inner Loop Header: Depth=1
	v_mov_b32_e32 v4, v2
	v_lshl_add_u64 v[8:9], v[4:5], 2, s[6:7]
	v_mov_b32_e32 v4, v3
	v_lshl_add_u64 v[10:11], v[4:5], 2, s[6:7]
	global_load_dword v4, v[8:9], off
	global_load_dword v12, v[10:11], off
	v_add_u32_e32 v1, -1, v1
	v_cmp_eq_u32_e32 vcc, 0, v1
	v_add_u32_e32 v2, 0x400, v2
	v_add_u32_e32 v3, 0x400, v3
	s_or_b64 s[16:17], vcc, s[16:17]
	s_waitcnt vmcnt(0)
	ds_write2st64_b32 v7, v4, v12 offset1:8
	v_add_u32_e32 v7, 0x1000, v7
	s_andn2_b64 exec, exec, s[16:17]
	s_cbranch_execnz .LBB4_8
.LBB4_9:
	s_or_b64 exec, exec, s[12:13]
	v_add_u32_e32 v1, 1, v6
	v_and_b32_e32 v3, 0xfffffe, v1
	v_cmp_ne_u32_e32 vcc, v1, v3
	v_lshl_or_b32 v2, v3, 9, v0
	s_orn2_b64 s[6:7], vcc, exec
.LBB4_10:
	s_or_b64 exec, exec, s[4:5]
	s_and_b64 exec, exec, s[6:7]
	s_cbranch_execz .LBB4_13
; %bb.11:
	s_lshl_b64 s[4:5], s[2:3], 3
	s_add_u32 s4, s10, s4
	v_mov_b32_e32 v3, 0
	s_addc_u32 s5, s11, s5
	v_lshl_add_u64 v[4:5], v[2:3], 2, s[4:5]
	v_lshl_add_u32 v1, v2, 2, 0
	s_mov_b64 s[4:5], 0
	s_mov_b64 s[6:7], 0x800
.LBB4_12:                               ; =>This Inner Loop Header: Depth=1
	global_load_dword v3, v[4:5], off
	v_add_u32_e32 v2, 0x200, v2
	v_cmp_le_i32_e32 vcc, s20, v2
	v_lshl_add_u64 v[4:5], v[4:5], 0, s[6:7]
	s_or_b64 s[4:5], vcc, s[4:5]
	s_waitcnt vmcnt(0)
	ds_write_b32 v1, v3
	v_add_u32_e32 v1, 0x800, v1
	s_andn2_b64 exec, exec, s[4:5]
	s_cbranch_execnz .LBB4_12
.LBB4_13:
	s_or_b64 exec, exec, s[0:1]
	v_mov_b32_e32 v1, 0
	s_waitcnt lgkmcnt(0)
	s_barrier
	ds_read_b32 v1, v1
	s_cmp_lt_i32 s19, 2
	s_cbranch_scc1 .LBB4_21
; %bb.14:
	s_cmp_eq_u32 s19, 2
	s_cbranch_scc1 .LBB4_18
; %bb.15:
	s_add_i32 s3, s19, -1
	s_and_b32 s4, s3, -2
	s_add_i32 s6, 0, 8
	s_mov_b32 s5, 2
	s_waitcnt lgkmcnt(0)
	v_mov_b32_e32 v4, v1
.LBB4_16:                               ; =>This Inner Loop Header: Depth=1
	v_mov_b32_e32 v2, v1
	v_mov_b32_e32 v1, s6
	;; [unrolled: 1-line block ×3, first 2 shown]
	ds_read2_b32 v[4:5], v1 offset1:2
	s_cmp_lg_u32 s4, s5
	s_cselect_b64 s[10:11], -1, 0
	v_max_f32_e32 v1, v3, v3
	v_max_f32_e32 v6, v2, v2
	s_waitcnt lgkmcnt(0)
	v_cmp_u_f32_e32 vcc, v5, v5
	v_max_f32_e32 v7, v5, v5
	v_max_f32_e32 v8, v4, v4
	v_cndmask_b32_e64 v5, 0, 1, vcc
	v_cmp_u_f32_e32 vcc, v4, v4
	v_readfirstlane_b32 s0, v5
	s_lshl_b32 s0, s0, 1
	v_cndmask_b32_e64 v9, 0, 1, vcc
	v_max_f32_e32 v4, v1, v7
	v_readfirstlane_b32 s1, v9
	s_or_b32 s0, s1, s0
	s_and_b32 s7, s0, 3
	s_cmp_lg_u32 s7, 0
	s_cselect_b64 s[0:1], -1, 0
	s_cmp_eq_u32 s7, 0
	s_cselect_b64 s[12:13], -1, 0
	s_and_b64 s[10:11], s[12:13], s[10:11]
	v_max_f32_e32 v1, v6, v8
	s_add_i32 s5, s5, 2
	s_add_i32 s6, s6, 16
	s_and_b64 vcc, exec, s[10:11]
	s_cbranch_vccnz .LBB4_16
; %bb.17:
	s_add_i32 s5, s5, -4
	s_and_b64 s[6:7], s[0:1], exec
	s_cselect_b32 s5, s5, s3
	s_or_b32 s5, s5, 1
	v_cndmask_b32_e64 v1, v1, v2, s[0:1]
	v_cndmask_b32_e64 v2, v4, v3, s[0:1]
	s_cmp_lg_u32 s3, s4
	v_max_f32_e32 v2, v2, v2
	v_max_f32_e32 v1, v1, v1
	s_cselect_b64 s[6:7], -1, 0
	v_max_f32_e32 v1, v1, v2
	s_or_b64 s[0:1], s[6:7], s[0:1]
	s_and_b64 vcc, exec, s[0:1]
	s_cbranch_vccnz .LBB4_19
	s_branch .LBB4_21
.LBB4_18:
	s_mov_b32 s5, 1
	s_cbranch_execz .LBB4_21
.LBB4_19:
	s_lshl_b32 s1, s5, 3
	s_sub_i32 s0, s19, s5
	s_add_i32 s1, s1, 0
.LBB4_20:                               ; =>This Inner Loop Header: Depth=1
	v_mov_b32_e32 v2, s1
	ds_read_b32 v2, v2
	s_waitcnt lgkmcnt(1)
	v_max_f32_e32 v1, v1, v1
	s_add_i32 s0, s0, -1
	s_add_i32 s1, s1, 8
	s_cmp_eq_u32 s0, 0
	s_waitcnt lgkmcnt(0)
	v_max_f32_e32 v2, v2, v2
	v_max_f32_e32 v1, v1, v2
	s_cbranch_scc0 .LBB4_20
.LBB4_21:
	s_cmp_lt_i32 s19, 1
	s_cbranch_scc1 .LBB4_26
; %bb.22:
	s_lshl_b32 s0, s2, 9
	s_ashr_i32 s1, s0, 31
	s_lshl_b64 s[0:1], s[0:1], 2
	s_add_u32 s16, s8, s0
	s_addc_u32 s17, s9, s1
	s_cmp_lt_u32 s19, 8
	s_cbranch_scc1 .LBB4_27
; %bb.23:
	v_mov_b32_e32 v7, 0
	s_and_b32 s20, s19, 0x7ffffff8
	v_or_b32_e32 v4, 0xe00, v0
	s_mov_b32 s21, 0
	s_mov_b32 s22, 0x3fb8aa3b
	;; [unrolled: 1-line block ×4, first 2 shown]
	v_mov_b32_e32 v8, 0x7f800000
	s_mov_b32 s25, 0
	v_mov_b32_e32 v2, v7
	v_mov_b32_e32 v3, v7
.LBB4_24:                               ; =>This Inner Loop Header: Depth=1
	v_add_u32_e32 v6, 0xfffff200, v4
	v_lshl_add_u64 v[26:27], v[6:7], 2, s[16:17]
	v_add_u32_e32 v6, 0xfffff400, v4
	v_mov_b32_e32 v9, s21
	v_lshl_add_u64 v[30:31], v[6:7], 2, s[16:17]
	v_add_u32_e32 v6, 0xfffff600, v4
	ds_read2_b64 v[10:13], v9 offset1:1
	ds_read2_b64 v[14:17], v9 offset0:2 offset1:3
	ds_read2_b64 v[18:21], v9 offset0:4 offset1:5
	;; [unrolled: 1-line block ×3, first 2 shown]
	global_load_dword v33, v[26:27], off
	global_load_dword v35, v[30:31], off
	v_lshl_add_u64 v[26:27], v[6:7], 2, s[16:17]
	v_add_u32_e32 v6, 0xfffff800, v4
	v_lshl_add_u64 v[30:31], v[6:7], 2, s[16:17]
	v_add_u32_e32 v6, 0xfffffa00, v4
	global_load_dword v37, v[26:27], off
	global_load_dword v39, v[30:31], off
	v_lshl_add_u64 v[26:27], v[6:7], 2, s[16:17]
	v_add_u32_e32 v6, 0xfffffc00, v4
	s_waitcnt lgkmcnt(3)
	v_mov_b32_e32 v32, v11
	v_sub_f32_e32 v9, v12, v1
	v_mov_b32_e32 v34, v13
	global_load_dword v11, v[26:27], off
	v_lshl_add_u64 v[12:13], v[6:7], 2, s[16:17]
	s_waitcnt lgkmcnt(2)
	v_mov_b32_e32 v36, v15
	v_add_u32_e32 v6, 0xfffffe00, v4
	global_load_dword v15, v[12:13], off
	v_mov_b32_e32 v5, v7
	v_lshl_add_u64 v[12:13], v[6:7], 2, s[16:17]
	v_lshl_add_u64 v[28:29], v[4:5], 2, s[16:17]
	v_sub_f32_e32 v5, v10, v1
	v_mov_b32_e32 v38, v17
	s_waitcnt lgkmcnt(1)
	v_mov_b32_e32 v10, v19
	global_load_dword v17, v[12:13], off
	global_load_dword v19, v[28:29], off
	v_sub_f32_e32 v30, v14, v1
	v_sub_f32_e32 v31, v16, v1
	;; [unrolled: 1-line block ×3, first 2 shown]
	v_mov_b32_e32 v14, v21
	s_waitcnt lgkmcnt(0)
	v_sub_f32_e32 v21, v22, v1
	v_mov_b32_e32 v16, v23
	v_sub_f32_e32 v22, v24, v1
	v_mul_f32_e32 v23, 0x3fb8aa3b, v5
	v_mov_b32_e32 v18, v25
	v_mul_f32_e32 v24, 0x3fb8aa3b, v9
	v_mul_f32_e32 v25, 0x3fb8aa3b, v30
	;; [unrolled: 1-line block ×5, first 2 shown]
	v_fma_f32 v43, v5, s22, -v23
	v_rndne_f32_e32 v44, v23
	v_sub_f32_e32 v20, v20, v1
	v_fma_f32 v45, v9, s22, -v24
	v_rndne_f32_e32 v46, v24
	v_fma_f32 v47, v30, s22, -v25
	v_rndne_f32_e32 v48, v25
	;; [unrolled: 2-line block ×5, first 2 shown]
	v_fmac_f32_e32 v43, 0x32a5705f, v5
	v_sub_f32_e32 v12, v23, v44
	v_mul_f32_e32 v26, 0x3fb8aa3b, v31
	v_mul_f32_e32 v41, 0x3fb8aa3b, v20
	v_fmac_f32_e32 v45, 0x32a5705f, v9
	v_sub_f32_e32 v23, v24, v46
	v_fmac_f32_e32 v47, 0x32a5705f, v30
	v_sub_f32_e32 v25, v25, v48
	;; [unrolled: 2-line block ×5, first 2 shown]
	v_add_f32_e32 v12, v12, v43
	v_fma_f32 v49, v31, s22, -v26
	v_rndne_f32_e32 v50, v26
	v_fma_f32 v53, v20, s22, -v41
	v_rndne_f32_e32 v54, v41
	v_cvt_i32_f32_e32 v13, v44
	v_add_f32_e32 v23, v23, v45
	v_add_f32_e32 v25, v25, v47
	;; [unrolled: 1-line block ×5, first 2 shown]
	v_exp_f32_e32 v12, v12
	v_cvt_i32_f32_e32 v24, v46
	v_cvt_i32_f32_e32 v28, v48
	v_fmac_f32_e32 v49, 0x32a5705f, v31
	v_sub_f32_e32 v26, v26, v50
	v_cvt_i32_f32_e32 v29, v50
	v_cvt_i32_f32_e32 v44, v52
	v_fmac_f32_e32 v53, 0x32a5705f, v20
	v_sub_f32_e32 v41, v41, v54
	v_cvt_i32_f32_e32 v48, v56
	v_cvt_i32_f32_e32 v50, v58
	v_exp_f32_e32 v23, v23
	v_exp_f32_e32 v25, v25
	;; [unrolled: 1-line block ×5, first 2 shown]
	v_add_f32_e32 v26, v26, v49
	v_add_f32_e32 v41, v41, v53
	v_cvt_i32_f32_e32 v46, v54
	v_exp_f32_e32 v26, v26
	v_exp_f32_e32 v41, v41
	v_ldexp_f32 v12, v12, v13
	v_cmp_ngt_f32_e64 s[12:13], s23, v5
	v_ldexp_f32 v13, v23, v24
	v_cmp_ngt_f32_e32 vcc, s23, v9
	v_ldexp_f32 v23, v25, v28
	v_ldexp_f32 v25, v27, v44
	;; [unrolled: 1-line block ×3, first 2 shown]
	v_cmp_ngt_f32_e64 s[8:9], s23, v21
	v_ldexp_f32 v6, v6, v50
	v_cmp_ngt_f32_e64 s[10:11], s23, v22
	v_cndmask_b32_e64 v12, 0, v12, s[12:13]
	v_cmp_nlt_f32_e64 s[12:13], s24, v5
	v_cmp_ngt_f32_e64 s[0:1], s23, v30
	v_cndmask_b32_e32 v13, 0, v13, vcc
	v_cmp_nlt_f32_e32 vcc, s24, v9
	v_cndmask_b32_e64 v27, 0, v27, s[8:9]
	v_cmp_nlt_f32_e64 s[8:9], s24, v21
	v_cndmask_b32_e64 v21, 0, v6, s[10:11]
	v_cndmask_b32_e64 v6, v8, v12, s[12:13]
	v_ldexp_f32 v24, v26, v29
	v_cmp_ngt_f32_e64 s[2:3], s23, v31
	v_cmp_ngt_f32_e64 s[4:5], s23, v40
	v_ldexp_f32 v26, v41, v46
	v_cmp_ngt_f32_e64 s[6:7], s23, v20
	v_cndmask_b32_e64 v9, 0, v23, s[0:1]
	v_cmp_nlt_f32_e64 s[0:1], s24, v30
	v_cndmask_b32_e32 v12, v8, v13, vcc
	s_waitcnt vmcnt(7)
	v_pk_fma_f32 v[2:3], v[6:7], v[32:33], v[2:3] op_sel_hi:[0,1,1]
	v_cndmask_b32_e64 v23, 0, v24, s[2:3]
	v_cmp_nlt_f32_e64 s[2:3], s24, v31
	v_cndmask_b32_e64 v24, 0, v25, s[4:5]
	v_cndmask_b32_e64 v25, 0, v26, s[6:7]
	v_cmp_nlt_f32_e64 s[6:7], s24, v20
	v_cndmask_b32_e64 v20, v8, v9, s[0:1]
	s_waitcnt vmcnt(6)
	v_pk_fma_f32 v[2:3], v[12:13], v[34:35], v[2:3] op_sel_hi:[0,1,1]
	v_cmp_nlt_f32_e64 s[4:5], s24, v40
	v_cmp_nlt_f32_e64 s[10:11], s24, v22
	v_cndmask_b32_e64 v22, v8, v23, s[2:3]
	s_waitcnt vmcnt(5)
	v_pk_fma_f32 v[2:3], v[20:21], v[36:37], v[2:3] op_sel_hi:[0,1,1]
	v_cndmask_b32_e64 v24, v8, v24, s[4:5]
	s_waitcnt vmcnt(4)
	v_pk_fma_f32 v[2:3], v[22:23], v[38:39], v[2:3] op_sel_hi:[0,1,1]
	;; [unrolled: 3-line block ×4, first 2 shown]
	s_add_i32 s25, s25, 8
	s_add_i32 s21, s21, 64
	v_cndmask_b32_e64 v30, v8, v21, s[10:11]
	s_waitcnt vmcnt(1)
	v_pk_fma_f32 v[2:3], v[28:29], v[16:17], v[2:3] op_sel_hi:[0,1,1]
	s_cmp_eq_u32 s20, s25
	v_add_u32_e32 v4, 0x1000, v4
	s_waitcnt vmcnt(0)
	v_pk_fma_f32 v[2:3], v[30:31], v[18:19], v[2:3] op_sel_hi:[0,1,1]
	s_cbranch_scc0 .LBB4_24
; %bb.25:
	s_and_b32 s0, s19, 7
	s_cmp_eq_u32 s0, 0
	s_cbranch_scc0 .LBB4_28
	s_branch .LBB4_30
.LBB4_26:
	s_waitcnt lgkmcnt(0)
	v_mov_b32_e32 v1, 0x7fc00000
	s_branch .LBB4_31
.LBB4_27:
	v_mov_b32_e32 v2, 0
	s_mov_b32 s20, 0
	v_mov_b32_e32 v3, v2
	s_and_b32 s0, s19, 7
	s_cmp_eq_u32 s0, 0
	s_cbranch_scc1 .LBB4_30
.LBB4_28:
	s_lshl_b32 s1, s20, 3
	v_lshl_or_b32 v4, s20, 9, v0
	s_add_i32 s1, s1, 0
	s_mov_b32 s2, 0x3fb8aa3b
	s_mov_b32 s3, 0xc2ce8ed0
	;; [unrolled: 1-line block ×3, first 2 shown]
	v_mov_b32_e32 v6, 0x7f800000
	v_mov_b32_e32 v5, 0
.LBB4_29:                               ; =>This Inner Loop Header: Depth=1
	v_lshl_add_u64 v[8:9], v[4:5], 2, s[16:17]
	global_load_dword v9, v[8:9], off
	v_mov_b32_e32 v7, s1
	ds_read_b64 v[10:11], v7
	s_add_i32 s1, s1, 8
	s_add_i32 s0, s0, -1
	v_add_u32_e32 v4, 0x200, v4
	s_cmp_lg_u32 s0, 0
	s_waitcnt lgkmcnt(0)
	v_sub_f32_e32 v7, v10, v1
	v_mul_f32_e32 v8, 0x3fb8aa3b, v7
	v_fma_f32 v10, v7, s2, -v8
	v_rndne_f32_e32 v12, v8
	v_fmac_f32_e32 v10, 0x32a5705f, v7
	v_sub_f32_e32 v8, v8, v12
	v_add_f32_e32 v8, v8, v10
	v_cvt_i32_f32_e32 v12, v12
	v_exp_f32_e32 v10, v8
	v_cmp_ngt_f32_e32 vcc, s3, v7
	v_mov_b32_e32 v8, v11
	v_ldexp_f32 v10, v10, v12
	v_cndmask_b32_e32 v10, 0, v10, vcc
	v_cmp_nlt_f32_e32 vcc, s4, v7
	s_nop 1
	v_cndmask_b32_e32 v10, v6, v10, vcc
	s_waitcnt vmcnt(0)
	v_pk_fma_f32 v[2:3], v[10:11], v[8:9], v[2:3] op_sel_hi:[0,1,1]
	s_cbranch_scc1 .LBB4_29
.LBB4_30:
	s_waitcnt lgkmcnt(0)
	v_div_scale_f32 v1, s[0:1], v2, v2, v3
	v_rcp_f32_e32 v4, v1
	v_div_scale_f32 v5, vcc, v3, v2, v3
	v_fma_f32 v6, -v1, v4, 1.0
	v_fmac_f32_e32 v4, v6, v4
	v_mul_f32_e32 v6, v5, v4
	v_fma_f32 v7, -v1, v6, v5
	v_fmac_f32_e32 v6, v7, v4
	v_fma_f32 v1, -v1, v6, v5
	v_div_fmas_f32 v1, v1, v4, v6
	v_div_fixup_f32 v1, v1, v2, v3
.LBB4_31:
	s_lshl_b32 s0, s18, 9
	s_ashr_i32 s1, s0, 31
	s_lshl_b64 s[0:1], s[0:1], 2
	s_add_u32 s0, s14, s0
	s_addc_u32 s1, s15, s1
	v_lshlrev_b32_e32 v0, 2, v0
	global_store_dword v0, v1, s[0:1]
	s_endpgm
	.section	.rodata,"a",@progbits
	.p2align	6, 0x0
	.amdhsa_kernel _ZL26flash_attn_combine_resultsILi512EEvPKfPK15HIP_vector_typeIfLj2EEPfi
		.amdhsa_group_segment_fixed_size 0
		.amdhsa_private_segment_fixed_size 0
		.amdhsa_kernarg_size 288
		.amdhsa_user_sgpr_count 2
		.amdhsa_user_sgpr_dispatch_ptr 0
		.amdhsa_user_sgpr_queue_ptr 0
		.amdhsa_user_sgpr_kernarg_segment_ptr 1
		.amdhsa_user_sgpr_dispatch_id 0
		.amdhsa_user_sgpr_kernarg_preload_length 0
		.amdhsa_user_sgpr_kernarg_preload_offset 0
		.amdhsa_user_sgpr_private_segment_size 0
		.amdhsa_uses_dynamic_stack 0
		.amdhsa_enable_private_segment 0
		.amdhsa_system_sgpr_workgroup_id_x 1
		.amdhsa_system_sgpr_workgroup_id_y 1
		.amdhsa_system_sgpr_workgroup_id_z 1
		.amdhsa_system_sgpr_workgroup_info 0
		.amdhsa_system_vgpr_workitem_id 0
		.amdhsa_next_free_vgpr 59
		.amdhsa_next_free_sgpr 26
		.amdhsa_accum_offset 60
		.amdhsa_reserve_vcc 1
		.amdhsa_float_round_mode_32 0
		.amdhsa_float_round_mode_16_64 0
		.amdhsa_float_denorm_mode_32 3
		.amdhsa_float_denorm_mode_16_64 3
		.amdhsa_dx10_clamp 1
		.amdhsa_ieee_mode 1
		.amdhsa_fp16_overflow 0
		.amdhsa_tg_split 0
		.amdhsa_exception_fp_ieee_invalid_op 0
		.amdhsa_exception_fp_denorm_src 0
		.amdhsa_exception_fp_ieee_div_zero 0
		.amdhsa_exception_fp_ieee_overflow 0
		.amdhsa_exception_fp_ieee_underflow 0
		.amdhsa_exception_fp_ieee_inexact 0
		.amdhsa_exception_int_div_zero 0
	.end_amdhsa_kernel
	.section	.text._ZL26flash_attn_combine_resultsILi512EEvPKfPK15HIP_vector_typeIfLj2EEPfi,"axG",@progbits,_ZL26flash_attn_combine_resultsILi512EEvPKfPK15HIP_vector_typeIfLj2EEPfi,comdat
.Lfunc_end4:
	.size	_ZL26flash_attn_combine_resultsILi512EEvPKfPK15HIP_vector_typeIfLj2EEPfi, .Lfunc_end4-_ZL26flash_attn_combine_resultsILi512EEvPKfPK15HIP_vector_typeIfLj2EEPfi
                                        ; -- End function
	.set _ZL26flash_attn_combine_resultsILi512EEvPKfPK15HIP_vector_typeIfLj2EEPfi.num_vgpr, 59
	.set _ZL26flash_attn_combine_resultsILi512EEvPKfPK15HIP_vector_typeIfLj2EEPfi.num_agpr, 0
	.set _ZL26flash_attn_combine_resultsILi512EEvPKfPK15HIP_vector_typeIfLj2EEPfi.numbered_sgpr, 26
	.set _ZL26flash_attn_combine_resultsILi512EEvPKfPK15HIP_vector_typeIfLj2EEPfi.num_named_barrier, 0
	.set _ZL26flash_attn_combine_resultsILi512EEvPKfPK15HIP_vector_typeIfLj2EEPfi.private_seg_size, 0
	.set _ZL26flash_attn_combine_resultsILi512EEvPKfPK15HIP_vector_typeIfLj2EEPfi.uses_vcc, 1
	.set _ZL26flash_attn_combine_resultsILi512EEvPKfPK15HIP_vector_typeIfLj2EEPfi.uses_flat_scratch, 0
	.set _ZL26flash_attn_combine_resultsILi512EEvPKfPK15HIP_vector_typeIfLj2EEPfi.has_dyn_sized_stack, 0
	.set _ZL26flash_attn_combine_resultsILi512EEvPKfPK15HIP_vector_typeIfLj2EEPfi.has_recursion, 0
	.set _ZL26flash_attn_combine_resultsILi512EEvPKfPK15HIP_vector_typeIfLj2EEPfi.has_indirect_call, 0
	.section	.AMDGPU.csdata,"",@progbits
; Kernel info:
; codeLenInByte = 2924
; TotalNumSgprs: 32
; NumVgprs: 59
; NumAgprs: 0
; TotalNumVgprs: 59
; ScratchSize: 0
; MemoryBound: 0
; FloatMode: 240
; IeeeMode: 1
; LDSByteSize: 0 bytes/workgroup (compile time only)
; SGPRBlocks: 3
; VGPRBlocks: 7
; NumSGPRsForWavesPerEU: 32
; NumVGPRsForWavesPerEU: 59
; AccumOffset: 60
; Occupancy: 8
; WaveLimiterHint : 0
; COMPUTE_PGM_RSRC2:SCRATCH_EN: 0
; COMPUTE_PGM_RSRC2:USER_SGPR: 2
; COMPUTE_PGM_RSRC2:TRAP_HANDLER: 0
; COMPUTE_PGM_RSRC2:TGID_X_EN: 1
; COMPUTE_PGM_RSRC2:TGID_Y_EN: 1
; COMPUTE_PGM_RSRC2:TGID_Z_EN: 1
; COMPUTE_PGM_RSRC2:TIDIG_COMP_CNT: 0
; COMPUTE_PGM_RSRC3_GFX90A:ACCUM_OFFSET: 14
; COMPUTE_PGM_RSRC3_GFX90A:TG_SPLIT: 0
	.section	.text._ZL15flash_attn_tileILi512ELi512ELi2ELi8ELb0EEvPKcS1_S1_S1_S1_PKiPfP15HIP_vector_typeIfLj2EEffffjfiS5_IjLj3EEiiiiiiiiiiiliiliiiiil,"axG",@progbits,_ZL15flash_attn_tileILi512ELi512ELi2ELi8ELb0EEvPKcS1_S1_S1_S1_PKiPfP15HIP_vector_typeIfLj2EEffffjfiS5_IjLj3EEiiiiiiiiiiiliiliiiiil,comdat
	.globl	_ZL15flash_attn_tileILi512ELi512ELi2ELi8ELb0EEvPKcS1_S1_S1_S1_PKiPfP15HIP_vector_typeIfLj2EEffffjfiS5_IjLj3EEiiiiiiiiiiiliiliiiiil ; -- Begin function _ZL15flash_attn_tileILi512ELi512ELi2ELi8ELb0EEvPKcS1_S1_S1_S1_PKiPfP15HIP_vector_typeIfLj2EEffffjfiS5_IjLj3EEiiiiiiiiiiiliiliiiiil
	.p2align	8
	.type	_ZL15flash_attn_tileILi512ELi512ELi2ELi8ELb0EEvPKcS1_S1_S1_S1_PKiPfP15HIP_vector_typeIfLj2EEffffjfiS5_IjLj3EEiiiiiiiiiiiliiliiiiil,@function
_ZL15flash_attn_tileILi512ELi512ELi2ELi8ELb0EEvPKcS1_S1_S1_S1_PKiPfP15HIP_vector_typeIfLj2EEffffjfiS5_IjLj3EEiiiiiiiiiiiliiliiiiil: ; @_ZL15flash_attn_tileILi512ELi512ELi2ELi8ELb0EEvPKcS1_S1_S1_S1_PKiPfP15HIP_vector_typeIfLj2EEffffjfiS5_IjLj3EEiiiiiiiiiiiliiliiiiil
; %bb.0:
	s_load_dwordx4 s[24:27], s[0:1], 0x5c
	s_load_dwordx2 s[28:29], s[0:1], 0x80
	s_load_dwordx16 s[36:51], s[0:1], 0x0
	s_mov_b64 s[30:31], 0
	s_waitcnt lgkmcnt(0)
	s_ashr_i32 s5, s27, 31
	s_lshr_b32 s5, s5, 29
	s_add_i32 s5, s27, s5
	s_ashr_i32 s5, s5, 3
	v_cvt_f32_u32_e32 v1, s5
	s_sub_i32 s6, 0, s5
	v_rcp_iflag_f32_e32 v1, v1
	s_nop 0
	v_mul_f32_e32 v1, 0x4f7ffffe, v1
	v_cvt_u32_f32_e32 v1, v1
	s_nop 0
	v_readfirstlane_b32 s7, v1
	s_mul_i32 s6, s6, s7
	s_mul_hi_u32 s6, s7, s6
	s_add_i32 s7, s7, s6
	s_mul_hi_u32 s6, s4, s7
	s_mul_i32 s7, s6, s5
	s_sub_i32 s7, s4, s7
	s_add_i32 s8, s6, 1
	s_sub_i32 s9, s7, s5
	s_cmp_ge_u32 s7, s5
	s_cselect_b32 s6, s8, s6
	s_cselect_b32 s7, s9, s7
	s_add_i32 s8, s6, 1
	s_cmp_ge_u32 s7, s5
	s_cselect_b32 s33, s8, s6
	s_abs_i32 s5, s29
	v_cvt_f32_u32_e32 v1, s5
	s_lshl_b32 s4, s4, 3
	s_mul_i32 s8, s33, s27
	s_xor_b32 s6, s27, s29
	v_rcp_iflag_f32_e32 v1, v1
	s_sub_i32 s9, 0, s5
	s_sub_i32 s29, s4, s8
	s_abs_i32 s7, s27
	v_mul_f32_e32 v1, 0x4f7ffffe, v1
	v_cvt_u32_f32_e32 v1, v1
	s_ashr_i32 s6, s6, 31
	v_readfirstlane_b32 s4, v1
	s_mul_i32 s9, s9, s4
	s_mul_hi_u32 s8, s4, s9
	s_add_i32 s4, s4, s8
	s_mul_hi_u32 s4, s7, s4
	s_mul_i32 s8, s4, s5
	s_sub_i32 s7, s7, s8
	s_add_i32 s9, s4, 1
	s_sub_i32 s8, s7, s5
	s_cmp_ge_u32 s7, s5
	s_cselect_b32 s4, s9, s4
	s_cselect_b32 s7, s8, s7
	s_add_i32 s8, s4, 1
	s_cmp_ge_u32 s7, s5
	s_cselect_b32 s4, s8, s4
	s_xor_b32 s4, s4, s6
	s_sub_i32 s9, s4, s6
	s_abs_i32 s8, s9
	v_cvt_f32_u32_e32 v1, s8
	s_load_dwordx2 s[4:5], s[0:1], 0xb8
	s_cmp_eq_u64 s[42:43], 0
	v_rcp_iflag_f32_e32 v1, v1
	s_nop 0
	v_mul_f32_e32 v1, 0x4f7ffffe, v1
	v_cvt_u32_f32_e32 v1, v1
	s_nop 0
	v_readfirstlane_b32 s10, v1
	s_cbranch_scc1 .LBB5_2
; %bb.1:
	s_waitcnt lgkmcnt(0)
	s_abs_i32 s4, s4
	v_cvt_f32_u32_e32 v1, s4
	s_sub_i32 s13, 0, s4
	s_abs_i32 s12, s33
	s_ashr_i32 s11, s33, 31
	v_rcp_iflag_f32_e32 v1, v1
	s_load_dwordx2 s[6:7], s[0:1], 0xc8
	v_mul_f32_e32 v1, 0x4f7ffffe, v1
	v_cvt_u32_f32_e32 v1, v1
	s_nop 0
	v_readfirstlane_b32 s14, v1
	s_mul_i32 s13, s13, s14
	s_mul_hi_u32 s13, s14, s13
	s_add_i32 s14, s14, s13
	s_mul_hi_u32 s13, s12, s14
	s_mul_i32 s13, s13, s4
	s_sub_i32 s12, s12, s13
	s_sub_i32 s13, s12, s4
	s_cmp_ge_u32 s12, s4
	s_cselect_b32 s12, s13, s12
	s_sub_i32 s13, s12, s4
	s_cmp_ge_u32 s12, s4
	s_cselect_b32 s4, s13, s12
	s_xor_b32 s4, s4, s11
	s_sub_i32 s4, s4, s11
	s_ashr_i32 s11, s4, 31
	s_waitcnt lgkmcnt(0)
	s_mul_hi_u32 s12, s6, s4
	s_mul_i32 s11, s6, s11
	s_mul_i32 s7, s7, s4
	s_add_i32 s11, s12, s11
	s_add_i32 s11, s11, s7
	s_mul_i32 s4, s6, s4
	s_add_u32 s30, s42, s4
	s_addc_u32 s31, s43, s11
.LBB5_2:
	s_load_dwordx4 s[12:15], s[0:1], 0x70
	v_lshrrev_b32_e32 v2, 10, v0
	v_bfe_u32 v2, v2, 2, 8
	v_lshl_add_u32 v5, s2, 1, v2
	v_mul_hi_u32 v2, s24, v5
	s_waitcnt lgkmcnt(0)
	s_mul_i32 s4, s33, s14
	s_ashr_i32 s7, s4, 31
	s_mul_i32 s6, s29, s13
	s_add_u32 s4, s36, s4
	s_addc_u32 s7, s37, s7
	s_ashr_i32 s11, s6, 31
	v_add_u32_e32 v2, v5, v2
	s_add_u32 s6, s4, s6
	v_lshrrev_b32_e32 v2, s25, v2
	s_addc_u32 s7, s7, s11
	s_ashr_i32 s15, s13, 31
	s_mov_b32 s14, s13
	v_mul_lo_u32 v2, v2, s26
	s_ashr_i32 s13, s12, 31
	v_sub_u32_e32 v2, v5, v2
	s_lshr_b64 s[18:19], s[12:13], 2
	v_mad_u64_u32 v[6:7], s[18:19], s18, v2, 0
	v_mov_b32_e32 v4, v7
	s_lshr_b32 s4, s13, 2
	v_bfe_u32 v1, v0, 10, 10
	v_mad_u64_u32 v[8:9], s[12:13], s4, v2, v[4:5]
	v_lshlrev_b32_e32 v3, 1, v1
	v_mov_b32_e32 v7, v8
	v_and_b32_e32 v4, 0x3ff, v0
	s_lshr_b64 s[16:17], s[14:15], 2
	v_mov_b32_e32 v9, 0
	v_lshl_add_u64 v[6:7], v[6:7], 2, s[6:7]
	v_lshlrev_b32_e32 v8, 4, v4
	v_and_b32_e32 v34, 6, v3
	v_lshl_add_u64 v[22:23], v[6:7], 0, v[8:9]
	v_mad_u64_u32 v[6:7], s[6:7], s16, v34, 0
	v_mov_b32_e32 v0, v7
	s_lshr_b32 s4, s15, 2
	v_mad_u64_u32 v[8:9], s[6:7], s4, v34, v[0:1]
	v_mov_b32_e32 v7, v8
	v_lshl_add_u64 v[24:25], v[6:7], 2, v[22:23]
	global_load_dwordx4 v[6:9], v[24:25], off
	global_load_dwordx4 v[10:13], v[24:25], off offset:512
	global_load_dwordx4 v[14:17], v[24:25], off offset:1024
	;; [unrolled: 1-line block ×3, first 2 shown]
	v_bitop3_b32 v26, v3, 7, 1 bitop3:0xc8
	v_mad_u64_u32 v[24:25], s[6:7], s16, v26, 0
	v_mov_b32_e32 v0, v25
	v_mad_u64_u32 v[26:27], s[6:7], s4, v26, v[0:1]
	v_mov_b32_e32 v25, v26
	v_lshl_add_u64 v[38:39], v[24:25], 2, v[22:23]
	global_load_dwordx4 v[22:25], v[38:39], off
	global_load_dwordx4 v[26:29], v[38:39], off offset:512
	global_load_dwordx4 v[30:33], v[38:39], off offset:1024
	s_load_dword s4, s[0:1], 0x40
	global_load_dwordx4 v[38:41], v[38:39], off offset:1536
	v_lshlrev_b32_e32 v0, 3, v4
	v_lshlrev_b32_e32 v36, 11, v1
	v_add_u32_e32 v35, v0, v36
	v_or_b32_e32 v3, 1, v3
	v_lshl_add_u32 v3, v3, 10, v0
	s_cmp_eq_u64 s[46:47], 0
	s_waitcnt vmcnt(7) lgkmcnt(0)
	v_fma_mixlo_f16 v6, s4, v6, 0
	v_fma_mixlo_f16 v7, s4, v7, 0
	;; [unrolled: 1-line block ×4, first 2 shown]
	s_waitcnt vmcnt(6)
	v_fma_mixlo_f16 v10, s4, v10, 0
	v_fma_mixlo_f16 v11, s4, v11, 0
	;; [unrolled: 1-line block ×4, first 2 shown]
	v_lshlrev_b32_e32 v7, 16, v7
	v_and_b32_e32 v6, 0xffff, v6
	v_lshlrev_b32_e32 v9, 16, v9
	v_and_b32_e32 v8, 0xffff, v8
	v_lshlrev_b32_e32 v11, 16, v11
	v_and_b32_e32 v10, 0xffff, v10
	v_lshlrev_b32_e32 v13, 16, v13
	v_and_b32_e32 v12, 0xffff, v12
	v_or_b32_e32 v6, v7, v6
	v_or3_b32 v7, v9, v8, 0
	v_or_b32_e32 v8, v11, v10
	s_waitcnt vmcnt(5)
	v_fma_mixlo_f16 v14, s4, v14, 0
	v_fma_mixlo_f16 v15, s4, v15, 0
	s_waitcnt vmcnt(4)
	v_fma_mixlo_f16 v18, s4, v18, 0
	v_fma_mixlo_f16 v19, s4, v19, 0
	v_or3_b32 v9, v13, v12, 0
	v_or3_b32 v6, 0, 0, v6
	;; [unrolled: 1-line block ×3, first 2 shown]
	v_fma_mixlo_f16 v16, s4, v16, 0
	v_fma_mixlo_f16 v17, s4, v17, 0
	v_lshlrev_b32_e32 v15, 16, v15
	v_and_b32_e32 v14, 0xffff, v14
	v_lshlrev_b32_e32 v19, 16, v19
	v_and_b32_e32 v18, 0xffff, v18
	ds_write2_b64 v35, v[6:7], v[8:9] offset1:32
	v_fma_mixlo_f16 v6, s4, v20, 0
	v_fma_mixlo_f16 v7, s4, v21, 0
	v_lshlrev_b32_e32 v17, 16, v17
	v_and_b32_e32 v16, 0xffff, v16
	v_or_b32_e32 v10, v15, v14
	v_or_b32_e32 v12, v19, v18
	v_lshlrev_b32_e32 v7, 16, v7
	v_and_b32_e32 v6, 0xffff, v6
	v_or3_b32 v11, v17, v16, 0
	v_or3_b32 v10, 0, 0, v10
	;; [unrolled: 1-line block ×4, first 2 shown]
	ds_write2_b64 v35, v[10:11], v[6:7] offset0:64 offset1:96
	s_waitcnt vmcnt(3)
	v_fma_mixlo_f16 v6, s4, v22, 0
	v_fma_mixlo_f16 v7, s4, v23, 0
	v_lshlrev_b32_e32 v7, 16, v7
	v_and_b32_e32 v6, 0xffff, v6
	v_or_b32_e32 v6, v7, v6
	v_fma_mixlo_f16 v7, s4, v24, 0
	v_fma_mixlo_f16 v8, s4, v25, 0
	v_lshlrev_b32_e32 v8, 16, v8
	v_and_b32_e32 v7, 0xffff, v7
	v_or3_b32 v7, v8, v7, 0
	s_waitcnt vmcnt(2)
	v_fma_mixlo_f16 v8, s4, v26, 0
	v_fma_mixlo_f16 v9, s4, v27, 0
	v_lshlrev_b32_e32 v9, 16, v9
	v_and_b32_e32 v8, 0xffff, v8
	v_or_b32_e32 v8, v9, v8
	v_fma_mixlo_f16 v9, s4, v28, 0
	v_fma_mixlo_f16 v10, s4, v29, 0
	v_lshlrev_b32_e32 v10, 16, v10
	v_and_b32_e32 v9, 0xffff, v9
	v_or3_b32 v6, 0, 0, v6
	v_or3_b32 v9, v10, v9, 0
	;; [unrolled: 1-line block ×3, first 2 shown]
	ds_write2_b64 v3, v[6:7], v[8:9] offset1:32
	s_waitcnt vmcnt(1)
	v_fma_mixlo_f16 v6, s4, v30, 0
	v_fma_mixlo_f16 v7, s4, v31, 0
	v_lshlrev_b32_e32 v7, 16, v7
	v_and_b32_e32 v6, 0xffff, v6
	v_or_b32_e32 v6, v7, v6
	v_fma_mixlo_f16 v7, s4, v32, 0
	v_fma_mixlo_f16 v8, s4, v33, 0
	v_lshlrev_b32_e32 v8, 16, v8
	v_and_b32_e32 v7, 0xffff, v7
	v_or3_b32 v7, v8, v7, 0
	s_waitcnt vmcnt(0)
	v_fma_mixlo_f16 v8, s4, v38, 0
	v_fma_mixlo_f16 v9, s4, v39, 0
	v_lshlrev_b32_e32 v9, 16, v9
	v_and_b32_e32 v8, 0xffff, v8
	v_or_b32_e32 v8, v9, v8
	v_fma_mixlo_f16 v9, s4, v40, 0
	v_fma_mixlo_f16 v10, s4, v41, 0
	v_lshlrev_b32_e32 v10, 16, v10
	v_and_b32_e32 v9, 0xffff, v9
	v_or3_b32 v6, 0, 0, v6
	v_or3_b32 v9, v10, v9, 0
	;; [unrolled: 1-line block ×3, first 2 shown]
	ds_write2_b64 v3, v[6:7], v[8:9] offset0:64 offset1:96
	s_waitcnt lgkmcnt(0)
	s_barrier
	s_cbranch_scc1 .LBB5_4
; %bb.3:
	s_load_dword s4, s[0:1], 0xd0
	s_mov_b32 s7, 0
	s_waitcnt lgkmcnt(0)
	s_mul_i32 s4, s4, s33
	s_add_i32 s6, s4, s2
	s_lshl_b64 s[6:7], s[6:7], 2
	s_add_u32 s6, s46, s6
	s_addc_u32 s7, s47, s7
	s_load_dword s28, s[6:7], 0x0
.LBB5_4:
	s_lshl_b32 s2, s3, 6
	v_lshlrev_b32_e32 v35, 2, v4
	s_waitcnt lgkmcnt(0)
	s_cmp_lt_i32 s2, s28
	v_mbcnt_lo_u32_b32 v3, -1, 0
	s_cbranch_scc1 .LBB5_7
; %bb.5:
	v_mbcnt_hi_u32_b32 v15, -1, v3
	v_and_b32_e32 v6, 0x60, v15
	v_add_u32_e32 v37, 32, v6
	v_xor_b32_e32 v42, 16, v15
	v_xor_b32_e32 v41, 8, v15
	;; [unrolled: 1-line block ×5, first 2 shown]
	s_cbranch_execz .LBB5_8
; %bb.6:
	v_mov_b32_e32 v7, 0
	v_mov_b32_e32 v19, 0xfeffffff
	;; [unrolled: 1-line block ×20, first 2 shown]
	s_branch .LBB5_10
.LBB5_7:
                                        ; implicit-def: $vgpr15
                                        ; implicit-def: $vgpr37
                                        ; implicit-def: $vgpr42
                                        ; implicit-def: $vgpr41
                                        ; implicit-def: $vgpr40
                                        ; implicit-def: $vgpr39
                                        ; implicit-def: $vgpr38
.LBB5_8:
	s_load_dwordx2 s[6:7], s[0:1], 0x8c
	s_load_dwordx4 s[12:15], s[0:1], 0x98
	s_sub_i32 s4, 0, s8
	s_mul_i32 s4, s4, s10
	s_mul_hi_u32 s4, s10, s4
	s_waitcnt lgkmcnt(0)
	s_ashr_i32 s37, s6, 2
	s_ashr_i32 s36, s14, 2
	;; [unrolled: 1-line block ×4, first 2 shown]
	s_mul_hi_u32 s6, s12, s33
	s_mul_i32 s18, s12, s5
	s_abs_i32 s16, s29
	s_add_i32 s10, s10, s4
	s_add_i32 s6, s6, s18
	s_mul_i32 s13, s13, s33
	s_mul_hi_u32 s4, s16, s10
	s_ashr_i32 s17, s29, 31
	s_ashr_i32 s9, s9, 31
	s_add_i32 s6, s6, s13
	s_mul_i32 s12, s12, s33
	s_add_u32 s12, s38, s12
	s_mul_i32 s13, s4, s8
	s_addc_u32 s6, s39, s6
	s_sub_i32 s13, s16, s13
	s_xor_b32 s9, s17, s9
	s_add_i32 s16, s4, 1
	s_sub_i32 s17, s13, s8
	s_cmp_ge_u32 s13, s8
	s_cselect_b32 s4, s16, s4
	s_cselect_b32 s13, s17, s13
	s_add_i32 s16, s4, 1
	s_cmp_ge_u32 s13, s8
	s_cselect_b32 s4, s16, s4
	s_load_dwordx2 s[10:11], s[0:1], 0xa8
	s_xor_b32 s4, s4, s9
	s_sub_i32 s4, s4, s9
	s_mul_i32 s7, s4, s7
	s_ashr_i32 s8, s7, 31
	s_add_u32 s38, s12, s7
	s_addc_u32 s39, s6, s8
	s_waitcnt lgkmcnt(0)
	s_mul_hi_u32 s6, s10, s33
	s_mul_i32 s5, s10, s5
	s_add_i32 s5, s6, s5
	s_mul_i32 s6, s11, s33
	s_add_i32 s5, s5, s6
	s_mul_i32 s6, s10, s33
	s_add_u32 s6, s40, s6
	s_mul_i32 s4, s4, s15
	v_lshrrev_b32_e32 v6, 3, v4
	s_addc_u32 s5, s41, s5
	s_ashr_i32 s7, s4, 31
	v_lshl_add_u32 v7, v1, 2, v6
	v_and_b32_e32 v6, 28, v35
	s_add_u32 s4, s6, s4
	v_lshlrev_b32_e32 v8, 2, v6
	s_movk_i32 s6, 0x90
	v_mad_u32_u24 v8, v7, s6, v8
	v_mul_lo_u32 v10, s37, v7
	v_mov_b32_e32 v7, 0x4000
	s_addc_u32 s5, s5, s7
	v_mad_u32_u24 v45, v4, s6, v7
	v_mad_u64_u32 v[14:15], s[6:7], v2, s14, v[4:5]
	v_mul_lo_u32 v16, s36, v1
	v_add_u32_e32 v43, 0x4000, v8
	v_add_u32_e32 v44, 0x5200, v8
	v_mov_b32_e32 v2, 0x6400
	v_lshlrev_b32_e32 v8, 2, v35
	v_ashrrev_i32_e32 v17, 31, v16
	v_mbcnt_hi_u32_b32 v15, -1, v3
	v_mov_b32_e32 v9, 0
	v_lshl_add_u32 v12, s37, 5, v10
	v_lshl_add_u32 v46, v1, 8, v2
	;; [unrolled: 1-line block ×3, first 2 shown]
	v_lshl_add_u64 v[16:17], v[16:17], 2, s[4:5]
	v_or_b32_e32 v49, 0x4000, v0
	s_add_u32 s34, s0, 0xd0
	v_mov_b32_e32 v18, 0xfeffffff
	v_and_b32_e32 v0, 0x60, v15
	v_ashrrev_i32_e32 v11, 31, v10
	v_ashrrev_i32_e32 v13, 31, v12
	v_add_u32_e32 v47, 0x4000, v2
	v_add_u32_e32 v48, 0x4200, v2
	s_addc_u32 s35, s1, 0
	v_lshl_add_u64 v[16:17], v[16:17], 0, v[8:9]
	v_lshlrev_b32_e32 v8, 2, v6
	v_add_u32_e32 v37, 32, v0
	v_xor_b32_e32 v42, 16, v15
	v_xor_b32_e32 v41, 8, v15
	;; [unrolled: 1-line block ×5, first 2 shown]
	s_mov_b32 s40, 0x3fb8aa3b
	s_mov_b32 s41, 0xc2ce8ed0
	s_mov_b32 s42, 0x42b17218
	v_mov_b32_e32 v50, 0x7f800000
	s_mov_b32 s43, 0x10001
	v_add_u32_e32 v51, v46, v35
	v_add_u32_e32 v52, 0x800, v49
	v_add_u32_e32 v53, 0x1000, v49
	v_add_u32_e32 v54, 0x1800, v49
	v_mov_b32_e32 v55, v9
	v_mov_b32_e32 v56, v9
	;; [unrolled: 1-line block ×19, first 2 shown]
.LBB5_9:                                ; =>This Inner Loop Header: Depth=1
	s_mul_hi_i32 s13, s2, s37
	s_mul_i32 s12, s2, s37
	v_cmp_lt_i32_e64 s[4:5], v40, v37
	v_cmp_lt_i32_e32 vcc, v42, v37
	v_cmp_lt_i32_e64 s[10:11], v41, v37
	v_cndmask_b32_e64 v20, v15, v40, s[4:5]
	s_lshl_b64 s[4:5], s[12:13], 2
	s_add_u32 s4, s38, s4
	v_mov_b32_e32 v71, v19
	v_mov_b32_e32 v72, v18
	v_cmp_lt_i32_e64 s[6:7], v39, v37
	v_cndmask_b32_e32 v18, v15, v42, vcc
	v_cndmask_b32_e64 v19, v15, v41, s[10:11]
	s_addc_u32 s5, s39, s5
	v_cmp_lt_i32_e64 s[8:9], v38, v37
	v_cndmask_b32_e64 v21, v15, v39, s[6:7]
	v_lshlrev_b32_e32 v81, 2, v18
	v_lshlrev_b32_e32 v80, 2, v19
	v_lshl_add_u64 v[18:19], v[10:11], 2, s[4:5]
	v_cndmask_b32_e64 v22, v15, v38, s[8:9]
	v_lshlrev_b32_e32 v79, 2, v20
	v_lshlrev_b32_e32 v78, 2, v21
	v_lshl_add_u64 v[20:21], v[12:13], 2, s[4:5]
	v_lshl_add_u64 v[18:19], v[18:19], 0, v[8:9]
	v_lshlrev_b32_e32 v77, 2, v22
	v_lshl_add_u64 v[22:23], v[20:21], 0, v[8:9]
	global_load_dwordx4 v[24:27], v[18:19], off
	global_load_dwordx4 v[28:31], v[22:23], off
	v_mov_b32_e32 v73, 0
	v_mov_b32_e32 v74, 0
	;; [unrolled: 1-line block ×4, first 2 shown]
	v_add_u32_e32 v2, s2, v14
	v_ashrrev_i32_e32 v3, 31, v2
	v_lshl_add_u64 v[2:3], v[2:3], 1, s[30:31]
	s_mul_hi_i32 s15, s2, s36
	s_mul_i32 s14, s2, s36
	v_lshl_add_u64 v[0:1], s[14:15], 2, v[16:17]
	s_or_b32 s7, s2, 16
	s_or_b32 s8, s2, 24
	s_mul_hi_i32 s13, s7, s36
	s_mul_i32 s12, s7, s36
	s_or_b32 s17, s2, 48
	s_mul_hi_i32 s15, s8, s36
	s_mul_i32 s14, s8, s36
	v_lshl_add_u64 v[32:33], s[12:13], 2, v[16:17]
	s_or_b32 s6, s2, 8
	s_or_b32 s10, s2, 32
	s_or_b32 s16, s2, 40
	s_or_b32 s20, s2, 56
	s_mul_hi_i32 s5, s17, s36
	s_mul_i32 s4, s17, s36
	s_mul_hi_i32 s19, s6, s36
	s_mul_i32 s18, s6, s36
	;; [unrolled: 2-line block ×5, first 2 shown]
	v_lshl_add_u64 v[20:21], s[18:19], 2, v[16:17]
	s_waitcnt vmcnt(1)
	ds_write_b128 v43, v[24:27]
	s_waitcnt vmcnt(0)
	ds_write_b128 v44, v[28:31]
	s_waitcnt lgkmcnt(0)
	s_barrier
	ds_read_b128 v[24:27], v36
	ds_read_b128 v[28:31], v45
	ds_read_b128 v[82:85], v45 offset:4608
	ds_read_b128 v[86:89], v36 offset:1024
	s_waitcnt lgkmcnt(2)
	;;#ASMSTART
	v_dot2_f32_f16 v73, v28, v24, v73
	;;#ASMEND
	s_nop 0
	;;#ASMSTART
	v_dot2_f32_f16 v73, v29, v25, v73
	;;#ASMEND
	s_nop 0
	;; [unrolled: 4-line block ×3, first 2 shown]
	;;#ASMSTART
	v_dot2_f32_f16 v73, v31, v27, v73
	;;#ASMEND
	s_waitcnt lgkmcnt(0)
	;;#ASMSTART
	v_dot2_f32_f16 v74, v28, v86, v74
	;;#ASMEND
	s_nop 0
	;;#ASMSTART
	v_dot2_f32_f16 v74, v29, v87, v74
	;;#ASMEND
	s_nop 0
	;;#ASMSTART
	v_dot2_f32_f16 v74, v30, v88, v74
	;;#ASMEND
	s_nop 0
	;;#ASMSTART
	v_dot2_f32_f16 v74, v31, v89, v74
	;;#ASMEND
	;;#ASMSTART
	v_dot2_f32_f16 v75, v82, v24, v75
	;;#ASMEND
	s_nop 0
	;;#ASMSTART
	v_dot2_f32_f16 v75, v83, v25, v75
	;;#ASMEND
	s_nop 0
	;;#ASMSTART
	v_dot2_f32_f16 v75, v84, v26, v75
	;;#ASMEND
	s_nop 0
	;;#ASMSTART
	v_dot2_f32_f16 v75, v85, v27, v75
	;;#ASMEND
	;; [unrolled: 15-line block ×3, first 2 shown]
	ds_read_b128 v[24:27], v36 offset:16
	ds_read_b128 v[28:31], v45 offset:16
	;; [unrolled: 1-line block ×4, first 2 shown]
	s_waitcnt lgkmcnt(2)
	;;#ASMSTART
	v_dot2_f32_f16 v73, v28, v24, v73
	;;#ASMEND
	s_nop 0
	;;#ASMSTART
	v_dot2_f32_f16 v73, v29, v25, v73
	;;#ASMEND
	s_nop 0
	;; [unrolled: 4-line block ×3, first 2 shown]
	;;#ASMSTART
	v_dot2_f32_f16 v73, v31, v27, v73
	;;#ASMEND
	s_waitcnt lgkmcnt(0)
	;;#ASMSTART
	v_dot2_f32_f16 v74, v28, v86, v74
	;;#ASMEND
	s_nop 0
	;;#ASMSTART
	v_dot2_f32_f16 v74, v29, v87, v74
	;;#ASMEND
	s_nop 0
	;;#ASMSTART
	v_dot2_f32_f16 v74, v30, v88, v74
	;;#ASMEND
	s_nop 0
	;;#ASMSTART
	v_dot2_f32_f16 v74, v31, v89, v74
	;;#ASMEND
	;;#ASMSTART
	v_dot2_f32_f16 v75, v82, v24, v75
	;;#ASMEND
	s_nop 0
	;;#ASMSTART
	v_dot2_f32_f16 v75, v83, v25, v75
	;;#ASMEND
	s_nop 0
	;;#ASMSTART
	v_dot2_f32_f16 v75, v84, v26, v75
	;;#ASMEND
	s_nop 0
	;;#ASMSTART
	v_dot2_f32_f16 v75, v85, v27, v75
	;;#ASMEND
	;; [unrolled: 15-line block ×3, first 2 shown]
	ds_read_b128 v[24:27], v36 offset:32
	ds_read_b128 v[28:31], v45 offset:32
	;; [unrolled: 1-line block ×4, first 2 shown]
	s_waitcnt lgkmcnt(2)
	;;#ASMSTART
	v_dot2_f32_f16 v73, v28, v24, v73
	;;#ASMEND
	s_nop 0
	;;#ASMSTART
	v_dot2_f32_f16 v73, v29, v25, v73
	;;#ASMEND
	s_nop 0
	;; [unrolled: 4-line block ×3, first 2 shown]
	;;#ASMSTART
	v_dot2_f32_f16 v73, v31, v27, v73
	;;#ASMEND
	s_waitcnt lgkmcnt(0)
	;;#ASMSTART
	v_dot2_f32_f16 v74, v28, v86, v74
	;;#ASMEND
	s_nop 0
	;;#ASMSTART
	v_dot2_f32_f16 v74, v29, v87, v74
	;;#ASMEND
	s_nop 0
	;;#ASMSTART
	v_dot2_f32_f16 v74, v30, v88, v74
	;;#ASMEND
	s_nop 0
	;;#ASMSTART
	v_dot2_f32_f16 v74, v31, v89, v74
	;;#ASMEND
	;;#ASMSTART
	v_dot2_f32_f16 v75, v82, v24, v75
	;;#ASMEND
	s_nop 0
	;;#ASMSTART
	v_dot2_f32_f16 v75, v83, v25, v75
	;;#ASMEND
	s_nop 0
	;;#ASMSTART
	v_dot2_f32_f16 v75, v84, v26, v75
	;;#ASMEND
	s_nop 0
	;;#ASMSTART
	v_dot2_f32_f16 v75, v85, v27, v75
	;;#ASMEND
	;; [unrolled: 15-line block ×3, first 2 shown]
	ds_read_b128 v[24:27], v36 offset:48
	ds_read_b128 v[28:31], v45 offset:48
	;; [unrolled: 1-line block ×4, first 2 shown]
	s_waitcnt lgkmcnt(2)
	;;#ASMSTART
	v_dot2_f32_f16 v73, v28, v24, v73
	;;#ASMEND
	s_nop 0
	;;#ASMSTART
	v_dot2_f32_f16 v73, v29, v25, v73
	;;#ASMEND
	s_nop 0
	;; [unrolled: 4-line block ×3, first 2 shown]
	;;#ASMSTART
	v_dot2_f32_f16 v73, v31, v27, v73
	;;#ASMEND
	s_waitcnt lgkmcnt(0)
	;;#ASMSTART
	v_dot2_f32_f16 v74, v28, v86, v74
	;;#ASMEND
	s_nop 0
	;;#ASMSTART
	v_dot2_f32_f16 v74, v29, v87, v74
	;;#ASMEND
	s_nop 0
	;;#ASMSTART
	v_dot2_f32_f16 v74, v30, v88, v74
	;;#ASMEND
	s_nop 0
	;;#ASMSTART
	v_dot2_f32_f16 v74, v31, v89, v74
	;;#ASMEND
	;;#ASMSTART
	v_dot2_f32_f16 v75, v82, v24, v75
	;;#ASMEND
	s_nop 0
	;;#ASMSTART
	v_dot2_f32_f16 v75, v83, v25, v75
	;;#ASMEND
	s_nop 0
	;;#ASMSTART
	v_dot2_f32_f16 v75, v84, v26, v75
	;;#ASMEND
	s_nop 0
	;;#ASMSTART
	v_dot2_f32_f16 v75, v85, v27, v75
	;;#ASMEND
	;; [unrolled: 15-line block ×3, first 2 shown]
	ds_read_b128 v[24:27], v36 offset:64
	ds_read_b128 v[28:31], v45 offset:64
	;; [unrolled: 1-line block ×4, first 2 shown]
	s_waitcnt lgkmcnt(2)
	;;#ASMSTART
	v_dot2_f32_f16 v73, v28, v24, v73
	;;#ASMEND
	s_nop 0
	;;#ASMSTART
	v_dot2_f32_f16 v73, v29, v25, v73
	;;#ASMEND
	s_nop 0
	;; [unrolled: 4-line block ×3, first 2 shown]
	;;#ASMSTART
	v_dot2_f32_f16 v73, v31, v27, v73
	;;#ASMEND
	s_waitcnt lgkmcnt(0)
	;;#ASMSTART
	v_dot2_f32_f16 v74, v28, v86, v74
	;;#ASMEND
	s_nop 0
	;;#ASMSTART
	v_dot2_f32_f16 v74, v29, v87, v74
	;;#ASMEND
	s_nop 0
	;;#ASMSTART
	v_dot2_f32_f16 v74, v30, v88, v74
	;;#ASMEND
	s_nop 0
	;;#ASMSTART
	v_dot2_f32_f16 v74, v31, v89, v74
	;;#ASMEND
	;;#ASMSTART
	v_dot2_f32_f16 v75, v82, v24, v75
	;;#ASMEND
	s_nop 0
	;;#ASMSTART
	v_dot2_f32_f16 v75, v83, v25, v75
	;;#ASMEND
	s_nop 0
	;;#ASMSTART
	v_dot2_f32_f16 v75, v84, v26, v75
	;;#ASMEND
	s_nop 0
	;;#ASMSTART
	v_dot2_f32_f16 v75, v85, v27, v75
	;;#ASMEND
	;; [unrolled: 15-line block ×3, first 2 shown]
	ds_read_b128 v[24:27], v36 offset:80
	ds_read_b128 v[28:31], v45 offset:80
	;; [unrolled: 1-line block ×4, first 2 shown]
	s_waitcnt lgkmcnt(2)
	;;#ASMSTART
	v_dot2_f32_f16 v73, v28, v24, v73
	;;#ASMEND
	s_nop 0
	;;#ASMSTART
	v_dot2_f32_f16 v73, v29, v25, v73
	;;#ASMEND
	s_nop 0
	;; [unrolled: 4-line block ×3, first 2 shown]
	;;#ASMSTART
	v_dot2_f32_f16 v73, v31, v27, v73
	;;#ASMEND
	s_waitcnt lgkmcnt(0)
	;;#ASMSTART
	v_dot2_f32_f16 v74, v28, v86, v74
	;;#ASMEND
	s_nop 0
	;;#ASMSTART
	v_dot2_f32_f16 v74, v29, v87, v74
	;;#ASMEND
	s_nop 0
	;;#ASMSTART
	v_dot2_f32_f16 v74, v30, v88, v74
	;;#ASMEND
	s_nop 0
	;;#ASMSTART
	v_dot2_f32_f16 v74, v31, v89, v74
	;;#ASMEND
	;;#ASMSTART
	v_dot2_f32_f16 v75, v82, v24, v75
	;;#ASMEND
	s_nop 0
	;;#ASMSTART
	v_dot2_f32_f16 v75, v83, v25, v75
	;;#ASMEND
	s_nop 0
	;;#ASMSTART
	v_dot2_f32_f16 v75, v84, v26, v75
	;;#ASMEND
	s_nop 0
	;;#ASMSTART
	v_dot2_f32_f16 v75, v85, v27, v75
	;;#ASMEND
	;; [unrolled: 15-line block ×3, first 2 shown]
	ds_read_b128 v[24:27], v36 offset:96
	ds_read_b128 v[28:31], v45 offset:96
	ds_read_b128 v[82:85], v45 offset:4704
	ds_read_b128 v[86:89], v36 offset:1120
	s_waitcnt lgkmcnt(2)
	;;#ASMSTART
	v_dot2_f32_f16 v73, v28, v24, v73
	;;#ASMEND
	s_nop 0
	;;#ASMSTART
	v_dot2_f32_f16 v73, v29, v25, v73
	;;#ASMEND
	s_nop 0
	;;#ASMSTART
	v_dot2_f32_f16 v73, v30, v26, v73
	;;#ASMEND
	s_nop 0
	;;#ASMSTART
	v_dot2_f32_f16 v73, v31, v27, v73
	;;#ASMEND
	s_waitcnt lgkmcnt(0)
	;;#ASMSTART
	v_dot2_f32_f16 v74, v28, v86, v74
	;;#ASMEND
	s_nop 0
	;;#ASMSTART
	v_dot2_f32_f16 v74, v29, v87, v74
	;;#ASMEND
	s_nop 0
	;;#ASMSTART
	v_dot2_f32_f16 v74, v30, v88, v74
	;;#ASMEND
	s_nop 0
	;;#ASMSTART
	v_dot2_f32_f16 v74, v31, v89, v74
	;;#ASMEND
	;;#ASMSTART
	v_dot2_f32_f16 v75, v82, v24, v75
	;;#ASMEND
	s_nop 0
	;;#ASMSTART
	v_dot2_f32_f16 v75, v83, v25, v75
	;;#ASMEND
	s_nop 0
	;;#ASMSTART
	v_dot2_f32_f16 v75, v84, v26, v75
	;;#ASMEND
	s_nop 0
	;;#ASMSTART
	v_dot2_f32_f16 v75, v85, v27, v75
	;;#ASMEND
	;; [unrolled: 15-line block ×3, first 2 shown]
	ds_read_b128 v[24:27], v36 offset:112
	ds_read_b128 v[28:31], v45 offset:112
	;; [unrolled: 1-line block ×4, first 2 shown]
	s_waitcnt lgkmcnt(2)
	;;#ASMSTART
	v_dot2_f32_f16 v73, v28, v24, v73
	;;#ASMEND
	s_nop 0
	;;#ASMSTART
	v_dot2_f32_f16 v73, v29, v25, v73
	;;#ASMEND
	s_nop 0
	;; [unrolled: 4-line block ×3, first 2 shown]
	;;#ASMSTART
	v_dot2_f32_f16 v73, v31, v27, v73
	;;#ASMEND
	s_waitcnt lgkmcnt(0)
	;;#ASMSTART
	v_dot2_f32_f16 v74, v28, v86, v74
	;;#ASMEND
	s_nop 0
	;;#ASMSTART
	v_dot2_f32_f16 v74, v29, v87, v74
	;;#ASMEND
	s_nop 0
	;;#ASMSTART
	v_dot2_f32_f16 v74, v30, v88, v74
	;;#ASMEND
	s_nop 0
	;;#ASMSTART
	v_dot2_f32_f16 v74, v31, v89, v74
	;;#ASMEND
	;;#ASMSTART
	v_dot2_f32_f16 v75, v82, v24, v75
	;;#ASMEND
	s_nop 0
	;;#ASMSTART
	v_dot2_f32_f16 v75, v83, v25, v75
	;;#ASMEND
	s_nop 0
	;;#ASMSTART
	v_dot2_f32_f16 v75, v84, v26, v75
	;;#ASMEND
	s_nop 0
	;;#ASMSTART
	v_dot2_f32_f16 v75, v85, v27, v75
	;;#ASMEND
	;; [unrolled: 15-line block ×3, first 2 shown]
	s_barrier
	global_load_dwordx4 v[24:27], v[18:19], off offset:128
	global_load_dwordx4 v[28:31], v[22:23], off offset:128
	s_waitcnt vmcnt(1)
	ds_write_b128 v43, v[24:27]
	s_waitcnt vmcnt(0)
	ds_write_b128 v44, v[28:31]
	s_waitcnt lgkmcnt(0)
	s_barrier
	ds_read_b128 v[24:27], v36 offset:128
	ds_read_b128 v[28:31], v45
	ds_read_b128 v[82:85], v45 offset:4608
	ds_read_b128 v[86:89], v36 offset:1152
	s_waitcnt lgkmcnt(2)
	;;#ASMSTART
	v_dot2_f32_f16 v73, v28, v24, v73
	;;#ASMEND
	s_nop 0
	;;#ASMSTART
	v_dot2_f32_f16 v73, v29, v25, v73
	;;#ASMEND
	s_nop 0
	;; [unrolled: 4-line block ×3, first 2 shown]
	;;#ASMSTART
	v_dot2_f32_f16 v73, v31, v27, v73
	;;#ASMEND
	s_waitcnt lgkmcnt(0)
	;;#ASMSTART
	v_dot2_f32_f16 v74, v28, v86, v74
	;;#ASMEND
	s_nop 0
	;;#ASMSTART
	v_dot2_f32_f16 v74, v29, v87, v74
	;;#ASMEND
	s_nop 0
	;;#ASMSTART
	v_dot2_f32_f16 v74, v30, v88, v74
	;;#ASMEND
	s_nop 0
	;;#ASMSTART
	v_dot2_f32_f16 v74, v31, v89, v74
	;;#ASMEND
	;;#ASMSTART
	v_dot2_f32_f16 v75, v82, v24, v75
	;;#ASMEND
	s_nop 0
	;;#ASMSTART
	v_dot2_f32_f16 v75, v83, v25, v75
	;;#ASMEND
	s_nop 0
	;;#ASMSTART
	v_dot2_f32_f16 v75, v84, v26, v75
	;;#ASMEND
	s_nop 0
	;;#ASMSTART
	v_dot2_f32_f16 v75, v85, v27, v75
	;;#ASMEND
	;; [unrolled: 15-line block ×3, first 2 shown]
	ds_read_b128 v[24:27], v36 offset:144
	ds_read_b128 v[28:31], v45 offset:16
	;; [unrolled: 1-line block ×4, first 2 shown]
	s_waitcnt lgkmcnt(2)
	;;#ASMSTART
	v_dot2_f32_f16 v73, v28, v24, v73
	;;#ASMEND
	s_nop 0
	;;#ASMSTART
	v_dot2_f32_f16 v73, v29, v25, v73
	;;#ASMEND
	s_nop 0
	;; [unrolled: 4-line block ×3, first 2 shown]
	;;#ASMSTART
	v_dot2_f32_f16 v73, v31, v27, v73
	;;#ASMEND
	s_waitcnt lgkmcnt(0)
	;;#ASMSTART
	v_dot2_f32_f16 v74, v28, v86, v74
	;;#ASMEND
	s_nop 0
	;;#ASMSTART
	v_dot2_f32_f16 v74, v29, v87, v74
	;;#ASMEND
	s_nop 0
	;;#ASMSTART
	v_dot2_f32_f16 v74, v30, v88, v74
	;;#ASMEND
	s_nop 0
	;;#ASMSTART
	v_dot2_f32_f16 v74, v31, v89, v74
	;;#ASMEND
	;;#ASMSTART
	v_dot2_f32_f16 v75, v82, v24, v75
	;;#ASMEND
	s_nop 0
	;;#ASMSTART
	v_dot2_f32_f16 v75, v83, v25, v75
	;;#ASMEND
	s_nop 0
	;;#ASMSTART
	v_dot2_f32_f16 v75, v84, v26, v75
	;;#ASMEND
	s_nop 0
	;;#ASMSTART
	v_dot2_f32_f16 v75, v85, v27, v75
	;;#ASMEND
	;; [unrolled: 15-line block ×3, first 2 shown]
	ds_read_b128 v[24:27], v36 offset:160
	ds_read_b128 v[28:31], v45 offset:32
	;; [unrolled: 1-line block ×4, first 2 shown]
	s_waitcnt lgkmcnt(2)
	;;#ASMSTART
	v_dot2_f32_f16 v73, v28, v24, v73
	;;#ASMEND
	s_nop 0
	;;#ASMSTART
	v_dot2_f32_f16 v73, v29, v25, v73
	;;#ASMEND
	s_nop 0
	;; [unrolled: 4-line block ×3, first 2 shown]
	;;#ASMSTART
	v_dot2_f32_f16 v73, v31, v27, v73
	;;#ASMEND
	s_waitcnt lgkmcnt(0)
	;;#ASMSTART
	v_dot2_f32_f16 v74, v28, v86, v74
	;;#ASMEND
	s_nop 0
	;;#ASMSTART
	v_dot2_f32_f16 v74, v29, v87, v74
	;;#ASMEND
	s_nop 0
	;;#ASMSTART
	v_dot2_f32_f16 v74, v30, v88, v74
	;;#ASMEND
	s_nop 0
	;;#ASMSTART
	v_dot2_f32_f16 v74, v31, v89, v74
	;;#ASMEND
	;;#ASMSTART
	v_dot2_f32_f16 v75, v82, v24, v75
	;;#ASMEND
	s_nop 0
	;;#ASMSTART
	v_dot2_f32_f16 v75, v83, v25, v75
	;;#ASMEND
	s_nop 0
	;;#ASMSTART
	v_dot2_f32_f16 v75, v84, v26, v75
	;;#ASMEND
	s_nop 0
	;;#ASMSTART
	v_dot2_f32_f16 v75, v85, v27, v75
	;;#ASMEND
	;; [unrolled: 15-line block ×3, first 2 shown]
	ds_read_b128 v[24:27], v36 offset:176
	ds_read_b128 v[28:31], v45 offset:48
	;; [unrolled: 1-line block ×4, first 2 shown]
	s_waitcnt lgkmcnt(2)
	;;#ASMSTART
	v_dot2_f32_f16 v73, v28, v24, v73
	;;#ASMEND
	s_nop 0
	;;#ASMSTART
	v_dot2_f32_f16 v73, v29, v25, v73
	;;#ASMEND
	s_nop 0
	;; [unrolled: 4-line block ×3, first 2 shown]
	;;#ASMSTART
	v_dot2_f32_f16 v73, v31, v27, v73
	;;#ASMEND
	s_waitcnt lgkmcnt(0)
	;;#ASMSTART
	v_dot2_f32_f16 v74, v28, v86, v74
	;;#ASMEND
	s_nop 0
	;;#ASMSTART
	v_dot2_f32_f16 v74, v29, v87, v74
	;;#ASMEND
	s_nop 0
	;;#ASMSTART
	v_dot2_f32_f16 v74, v30, v88, v74
	;;#ASMEND
	s_nop 0
	;;#ASMSTART
	v_dot2_f32_f16 v74, v31, v89, v74
	;;#ASMEND
	;;#ASMSTART
	v_dot2_f32_f16 v75, v82, v24, v75
	;;#ASMEND
	s_nop 0
	;;#ASMSTART
	v_dot2_f32_f16 v75, v83, v25, v75
	;;#ASMEND
	s_nop 0
	;;#ASMSTART
	v_dot2_f32_f16 v75, v84, v26, v75
	;;#ASMEND
	s_nop 0
	;;#ASMSTART
	v_dot2_f32_f16 v75, v85, v27, v75
	;;#ASMEND
	;;#ASMSTART
	v_dot2_f32_f16 v76, v82, v86, v76
	;;#ASMEND
	s_nop 0
	;;#ASMSTART
	v_dot2_f32_f16 v76, v83, v87, v76
	;;#ASMEND
	s_nop 0
	;;#ASMSTART
	v_dot2_f32_f16 v76, v84, v88, v76
	;;#ASMEND
	s_nop 0
	;;#ASMSTART
	v_dot2_f32_f16 v76, v85, v89, v76
	;;#ASMEND
	ds_read_b128 v[24:27], v36 offset:192
	ds_read_b128 v[28:31], v45 offset:64
	;; [unrolled: 1-line block ×4, first 2 shown]
	s_waitcnt lgkmcnt(2)
	;;#ASMSTART
	v_dot2_f32_f16 v73, v28, v24, v73
	;;#ASMEND
	s_nop 0
	;;#ASMSTART
	v_dot2_f32_f16 v73, v29, v25, v73
	;;#ASMEND
	s_nop 0
	;; [unrolled: 4-line block ×3, first 2 shown]
	;;#ASMSTART
	v_dot2_f32_f16 v73, v31, v27, v73
	;;#ASMEND
	s_waitcnt lgkmcnt(0)
	;;#ASMSTART
	v_dot2_f32_f16 v74, v28, v86, v74
	;;#ASMEND
	s_nop 0
	;;#ASMSTART
	v_dot2_f32_f16 v74, v29, v87, v74
	;;#ASMEND
	s_nop 0
	;;#ASMSTART
	v_dot2_f32_f16 v74, v30, v88, v74
	;;#ASMEND
	s_nop 0
	;;#ASMSTART
	v_dot2_f32_f16 v74, v31, v89, v74
	;;#ASMEND
	;;#ASMSTART
	v_dot2_f32_f16 v75, v82, v24, v75
	;;#ASMEND
	s_nop 0
	;;#ASMSTART
	v_dot2_f32_f16 v75, v83, v25, v75
	;;#ASMEND
	s_nop 0
	;;#ASMSTART
	v_dot2_f32_f16 v75, v84, v26, v75
	;;#ASMEND
	s_nop 0
	;;#ASMSTART
	v_dot2_f32_f16 v75, v85, v27, v75
	;;#ASMEND
	;; [unrolled: 15-line block ×3, first 2 shown]
	ds_read_b128 v[24:27], v36 offset:208
	ds_read_b128 v[28:31], v45 offset:80
	;; [unrolled: 1-line block ×4, first 2 shown]
	s_waitcnt lgkmcnt(2)
	;;#ASMSTART
	v_dot2_f32_f16 v73, v28, v24, v73
	;;#ASMEND
	s_nop 0
	;;#ASMSTART
	v_dot2_f32_f16 v73, v29, v25, v73
	;;#ASMEND
	s_nop 0
	;; [unrolled: 4-line block ×3, first 2 shown]
	;;#ASMSTART
	v_dot2_f32_f16 v73, v31, v27, v73
	;;#ASMEND
	s_waitcnt lgkmcnt(0)
	;;#ASMSTART
	v_dot2_f32_f16 v74, v28, v86, v74
	;;#ASMEND
	s_nop 0
	;;#ASMSTART
	v_dot2_f32_f16 v74, v29, v87, v74
	;;#ASMEND
	s_nop 0
	;;#ASMSTART
	v_dot2_f32_f16 v74, v30, v88, v74
	;;#ASMEND
	s_nop 0
	;;#ASMSTART
	v_dot2_f32_f16 v74, v31, v89, v74
	;;#ASMEND
	;;#ASMSTART
	v_dot2_f32_f16 v75, v82, v24, v75
	;;#ASMEND
	s_nop 0
	;;#ASMSTART
	v_dot2_f32_f16 v75, v83, v25, v75
	;;#ASMEND
	s_nop 0
	;;#ASMSTART
	v_dot2_f32_f16 v75, v84, v26, v75
	;;#ASMEND
	s_nop 0
	;;#ASMSTART
	v_dot2_f32_f16 v75, v85, v27, v75
	;;#ASMEND
	;; [unrolled: 15-line block ×3, first 2 shown]
	ds_read_b128 v[24:27], v36 offset:224
	ds_read_b128 v[28:31], v45 offset:96
	;; [unrolled: 1-line block ×4, first 2 shown]
	s_waitcnt lgkmcnt(2)
	;;#ASMSTART
	v_dot2_f32_f16 v73, v28, v24, v73
	;;#ASMEND
	s_nop 0
	;;#ASMSTART
	v_dot2_f32_f16 v73, v29, v25, v73
	;;#ASMEND
	s_nop 0
	;; [unrolled: 4-line block ×3, first 2 shown]
	;;#ASMSTART
	v_dot2_f32_f16 v73, v31, v27, v73
	;;#ASMEND
	s_waitcnt lgkmcnt(0)
	;;#ASMSTART
	v_dot2_f32_f16 v74, v28, v86, v74
	;;#ASMEND
	s_nop 0
	;;#ASMSTART
	v_dot2_f32_f16 v74, v29, v87, v74
	;;#ASMEND
	s_nop 0
	;;#ASMSTART
	v_dot2_f32_f16 v74, v30, v88, v74
	;;#ASMEND
	s_nop 0
	;;#ASMSTART
	v_dot2_f32_f16 v74, v31, v89, v74
	;;#ASMEND
	;;#ASMSTART
	v_dot2_f32_f16 v75, v82, v24, v75
	;;#ASMEND
	s_nop 0
	;;#ASMSTART
	v_dot2_f32_f16 v75, v83, v25, v75
	;;#ASMEND
	s_nop 0
	;;#ASMSTART
	v_dot2_f32_f16 v75, v84, v26, v75
	;;#ASMEND
	s_nop 0
	;;#ASMSTART
	v_dot2_f32_f16 v75, v85, v27, v75
	;;#ASMEND
	;;#ASMSTART
	v_dot2_f32_f16 v76, v82, v86, v76
	;;#ASMEND
	s_nop 0
	;;#ASMSTART
	v_dot2_f32_f16 v76, v83, v87, v76
	;;#ASMEND
	s_nop 0
	;;#ASMSTART
	v_dot2_f32_f16 v76, v84, v88, v76
	;;#ASMEND
	s_nop 0
	;;#ASMSTART
	v_dot2_f32_f16 v76, v85, v89, v76
	;;#ASMEND
	ds_read_b128 v[24:27], v36 offset:240
	ds_read_b128 v[28:31], v45 offset:112
	;; [unrolled: 1-line block ×4, first 2 shown]
	s_waitcnt lgkmcnt(2)
	;;#ASMSTART
	v_dot2_f32_f16 v73, v28, v24, v73
	;;#ASMEND
	s_nop 0
	;;#ASMSTART
	v_dot2_f32_f16 v73, v29, v25, v73
	;;#ASMEND
	s_nop 0
	;; [unrolled: 4-line block ×3, first 2 shown]
	;;#ASMSTART
	v_dot2_f32_f16 v73, v31, v27, v73
	;;#ASMEND
	s_waitcnt lgkmcnt(0)
	;;#ASMSTART
	v_dot2_f32_f16 v74, v28, v86, v74
	;;#ASMEND
	s_nop 0
	;;#ASMSTART
	v_dot2_f32_f16 v74, v29, v87, v74
	;;#ASMEND
	s_nop 0
	;;#ASMSTART
	v_dot2_f32_f16 v74, v30, v88, v74
	;;#ASMEND
	s_nop 0
	;;#ASMSTART
	v_dot2_f32_f16 v74, v31, v89, v74
	;;#ASMEND
	;;#ASMSTART
	v_dot2_f32_f16 v75, v82, v24, v75
	;;#ASMEND
	s_nop 0
	;;#ASMSTART
	v_dot2_f32_f16 v75, v83, v25, v75
	;;#ASMEND
	s_nop 0
	;;#ASMSTART
	v_dot2_f32_f16 v75, v84, v26, v75
	;;#ASMEND
	s_nop 0
	;;#ASMSTART
	v_dot2_f32_f16 v75, v85, v27, v75
	;;#ASMEND
	;; [unrolled: 15-line block ×3, first 2 shown]
	s_barrier
	global_load_dwordx4 v[24:27], v[18:19], off offset:256
	global_load_dwordx4 v[28:31], v[22:23], off offset:256
	s_waitcnt vmcnt(1)
	ds_write_b128 v43, v[24:27]
	s_waitcnt vmcnt(0)
	ds_write_b128 v44, v[28:31]
	s_waitcnt lgkmcnt(0)
	s_barrier
	ds_read_b128 v[24:27], v36 offset:256
	ds_read_b128 v[28:31], v45
	ds_read_b128 v[82:85], v45 offset:4608
	ds_read_b128 v[86:89], v36 offset:1280
	s_waitcnt lgkmcnt(2)
	;;#ASMSTART
	v_dot2_f32_f16 v73, v28, v24, v73
	;;#ASMEND
	s_nop 0
	;;#ASMSTART
	v_dot2_f32_f16 v73, v29, v25, v73
	;;#ASMEND
	s_nop 0
	;; [unrolled: 4-line block ×3, first 2 shown]
	;;#ASMSTART
	v_dot2_f32_f16 v73, v31, v27, v73
	;;#ASMEND
	s_waitcnt lgkmcnt(0)
	;;#ASMSTART
	v_dot2_f32_f16 v74, v28, v86, v74
	;;#ASMEND
	s_nop 0
	;;#ASMSTART
	v_dot2_f32_f16 v74, v29, v87, v74
	;;#ASMEND
	s_nop 0
	;;#ASMSTART
	v_dot2_f32_f16 v74, v30, v88, v74
	;;#ASMEND
	s_nop 0
	;;#ASMSTART
	v_dot2_f32_f16 v74, v31, v89, v74
	;;#ASMEND
	;;#ASMSTART
	v_dot2_f32_f16 v75, v82, v24, v75
	;;#ASMEND
	s_nop 0
	;;#ASMSTART
	v_dot2_f32_f16 v75, v83, v25, v75
	;;#ASMEND
	s_nop 0
	;;#ASMSTART
	v_dot2_f32_f16 v75, v84, v26, v75
	;;#ASMEND
	s_nop 0
	;;#ASMSTART
	v_dot2_f32_f16 v75, v85, v27, v75
	;;#ASMEND
	;; [unrolled: 15-line block ×3, first 2 shown]
	ds_read_b128 v[24:27], v36 offset:272
	ds_read_b128 v[28:31], v45 offset:16
	;; [unrolled: 1-line block ×4, first 2 shown]
	s_waitcnt lgkmcnt(2)
	;;#ASMSTART
	v_dot2_f32_f16 v73, v28, v24, v73
	;;#ASMEND
	s_nop 0
	;;#ASMSTART
	v_dot2_f32_f16 v73, v29, v25, v73
	;;#ASMEND
	s_nop 0
	;; [unrolled: 4-line block ×3, first 2 shown]
	;;#ASMSTART
	v_dot2_f32_f16 v73, v31, v27, v73
	;;#ASMEND
	s_waitcnt lgkmcnt(0)
	;;#ASMSTART
	v_dot2_f32_f16 v74, v28, v86, v74
	;;#ASMEND
	s_nop 0
	;;#ASMSTART
	v_dot2_f32_f16 v74, v29, v87, v74
	;;#ASMEND
	s_nop 0
	;;#ASMSTART
	v_dot2_f32_f16 v74, v30, v88, v74
	;;#ASMEND
	s_nop 0
	;;#ASMSTART
	v_dot2_f32_f16 v74, v31, v89, v74
	;;#ASMEND
	;;#ASMSTART
	v_dot2_f32_f16 v75, v82, v24, v75
	;;#ASMEND
	s_nop 0
	;;#ASMSTART
	v_dot2_f32_f16 v75, v83, v25, v75
	;;#ASMEND
	s_nop 0
	;;#ASMSTART
	v_dot2_f32_f16 v75, v84, v26, v75
	;;#ASMEND
	s_nop 0
	;;#ASMSTART
	v_dot2_f32_f16 v75, v85, v27, v75
	;;#ASMEND
	;; [unrolled: 15-line block ×3, first 2 shown]
	ds_read_b128 v[24:27], v36 offset:288
	ds_read_b128 v[28:31], v45 offset:32
	;; [unrolled: 1-line block ×4, first 2 shown]
	s_waitcnt lgkmcnt(2)
	;;#ASMSTART
	v_dot2_f32_f16 v73, v28, v24, v73
	;;#ASMEND
	s_nop 0
	;;#ASMSTART
	v_dot2_f32_f16 v73, v29, v25, v73
	;;#ASMEND
	s_nop 0
	;; [unrolled: 4-line block ×3, first 2 shown]
	;;#ASMSTART
	v_dot2_f32_f16 v73, v31, v27, v73
	;;#ASMEND
	s_waitcnt lgkmcnt(0)
	;;#ASMSTART
	v_dot2_f32_f16 v74, v28, v86, v74
	;;#ASMEND
	s_nop 0
	;;#ASMSTART
	v_dot2_f32_f16 v74, v29, v87, v74
	;;#ASMEND
	s_nop 0
	;;#ASMSTART
	v_dot2_f32_f16 v74, v30, v88, v74
	;;#ASMEND
	s_nop 0
	;;#ASMSTART
	v_dot2_f32_f16 v74, v31, v89, v74
	;;#ASMEND
	;;#ASMSTART
	v_dot2_f32_f16 v75, v82, v24, v75
	;;#ASMEND
	s_nop 0
	;;#ASMSTART
	v_dot2_f32_f16 v75, v83, v25, v75
	;;#ASMEND
	s_nop 0
	;;#ASMSTART
	v_dot2_f32_f16 v75, v84, v26, v75
	;;#ASMEND
	s_nop 0
	;;#ASMSTART
	v_dot2_f32_f16 v75, v85, v27, v75
	;;#ASMEND
	;; [unrolled: 15-line block ×3, first 2 shown]
	ds_read_b128 v[24:27], v36 offset:304
	ds_read_b128 v[28:31], v45 offset:48
	;; [unrolled: 1-line block ×4, first 2 shown]
	s_waitcnt lgkmcnt(2)
	;;#ASMSTART
	v_dot2_f32_f16 v73, v28, v24, v73
	;;#ASMEND
	s_nop 0
	;;#ASMSTART
	v_dot2_f32_f16 v73, v29, v25, v73
	;;#ASMEND
	s_nop 0
	;; [unrolled: 4-line block ×3, first 2 shown]
	;;#ASMSTART
	v_dot2_f32_f16 v73, v31, v27, v73
	;;#ASMEND
	s_waitcnt lgkmcnt(0)
	;;#ASMSTART
	v_dot2_f32_f16 v74, v28, v86, v74
	;;#ASMEND
	s_nop 0
	;;#ASMSTART
	v_dot2_f32_f16 v74, v29, v87, v74
	;;#ASMEND
	s_nop 0
	;;#ASMSTART
	v_dot2_f32_f16 v74, v30, v88, v74
	;;#ASMEND
	s_nop 0
	;;#ASMSTART
	v_dot2_f32_f16 v74, v31, v89, v74
	;;#ASMEND
	;;#ASMSTART
	v_dot2_f32_f16 v75, v82, v24, v75
	;;#ASMEND
	s_nop 0
	;;#ASMSTART
	v_dot2_f32_f16 v75, v83, v25, v75
	;;#ASMEND
	s_nop 0
	;;#ASMSTART
	v_dot2_f32_f16 v75, v84, v26, v75
	;;#ASMEND
	s_nop 0
	;;#ASMSTART
	v_dot2_f32_f16 v75, v85, v27, v75
	;;#ASMEND
	;; [unrolled: 15-line block ×3, first 2 shown]
	ds_read_b128 v[24:27], v36 offset:320
	ds_read_b128 v[28:31], v45 offset:64
	;; [unrolled: 1-line block ×4, first 2 shown]
	s_waitcnt lgkmcnt(2)
	;;#ASMSTART
	v_dot2_f32_f16 v73, v28, v24, v73
	;;#ASMEND
	s_nop 0
	;;#ASMSTART
	v_dot2_f32_f16 v73, v29, v25, v73
	;;#ASMEND
	s_nop 0
	;; [unrolled: 4-line block ×3, first 2 shown]
	;;#ASMSTART
	v_dot2_f32_f16 v73, v31, v27, v73
	;;#ASMEND
	s_waitcnt lgkmcnt(0)
	;;#ASMSTART
	v_dot2_f32_f16 v74, v28, v86, v74
	;;#ASMEND
	s_nop 0
	;;#ASMSTART
	v_dot2_f32_f16 v74, v29, v87, v74
	;;#ASMEND
	s_nop 0
	;;#ASMSTART
	v_dot2_f32_f16 v74, v30, v88, v74
	;;#ASMEND
	s_nop 0
	;;#ASMSTART
	v_dot2_f32_f16 v74, v31, v89, v74
	;;#ASMEND
	;;#ASMSTART
	v_dot2_f32_f16 v75, v82, v24, v75
	;;#ASMEND
	s_nop 0
	;;#ASMSTART
	v_dot2_f32_f16 v75, v83, v25, v75
	;;#ASMEND
	s_nop 0
	;;#ASMSTART
	v_dot2_f32_f16 v75, v84, v26, v75
	;;#ASMEND
	s_nop 0
	;;#ASMSTART
	v_dot2_f32_f16 v75, v85, v27, v75
	;;#ASMEND
	;; [unrolled: 15-line block ×3, first 2 shown]
	ds_read_b128 v[24:27], v36 offset:336
	ds_read_b128 v[28:31], v45 offset:80
	ds_read_b128 v[82:85], v45 offset:4688
	ds_read_b128 v[86:89], v36 offset:1360
	s_waitcnt lgkmcnt(2)
	;;#ASMSTART
	v_dot2_f32_f16 v73, v28, v24, v73
	;;#ASMEND
	s_nop 0
	;;#ASMSTART
	v_dot2_f32_f16 v73, v29, v25, v73
	;;#ASMEND
	s_nop 0
	;; [unrolled: 4-line block ×3, first 2 shown]
	;;#ASMSTART
	v_dot2_f32_f16 v73, v31, v27, v73
	;;#ASMEND
	s_waitcnt lgkmcnt(0)
	;;#ASMSTART
	v_dot2_f32_f16 v74, v28, v86, v74
	;;#ASMEND
	s_nop 0
	;;#ASMSTART
	v_dot2_f32_f16 v74, v29, v87, v74
	;;#ASMEND
	s_nop 0
	;;#ASMSTART
	v_dot2_f32_f16 v74, v30, v88, v74
	;;#ASMEND
	s_nop 0
	;;#ASMSTART
	v_dot2_f32_f16 v74, v31, v89, v74
	;;#ASMEND
	;;#ASMSTART
	v_dot2_f32_f16 v75, v82, v24, v75
	;;#ASMEND
	s_nop 0
	;;#ASMSTART
	v_dot2_f32_f16 v75, v83, v25, v75
	;;#ASMEND
	s_nop 0
	;;#ASMSTART
	v_dot2_f32_f16 v75, v84, v26, v75
	;;#ASMEND
	s_nop 0
	;;#ASMSTART
	v_dot2_f32_f16 v75, v85, v27, v75
	;;#ASMEND
	;; [unrolled: 15-line block ×3, first 2 shown]
	ds_read_b128 v[24:27], v36 offset:352
	ds_read_b128 v[28:31], v45 offset:96
	ds_read_b128 v[82:85], v45 offset:4704
	ds_read_b128 v[86:89], v36 offset:1376
	s_waitcnt lgkmcnt(2)
	;;#ASMSTART
	v_dot2_f32_f16 v73, v28, v24, v73
	;;#ASMEND
	s_nop 0
	;;#ASMSTART
	v_dot2_f32_f16 v73, v29, v25, v73
	;;#ASMEND
	s_nop 0
	;;#ASMSTART
	v_dot2_f32_f16 v73, v30, v26, v73
	;;#ASMEND
	s_nop 0
	;;#ASMSTART
	v_dot2_f32_f16 v73, v31, v27, v73
	;;#ASMEND
	s_waitcnt lgkmcnt(0)
	;;#ASMSTART
	v_dot2_f32_f16 v74, v28, v86, v74
	;;#ASMEND
	s_nop 0
	;;#ASMSTART
	v_dot2_f32_f16 v74, v29, v87, v74
	;;#ASMEND
	s_nop 0
	;;#ASMSTART
	v_dot2_f32_f16 v74, v30, v88, v74
	;;#ASMEND
	s_nop 0
	;;#ASMSTART
	v_dot2_f32_f16 v74, v31, v89, v74
	;;#ASMEND
	;;#ASMSTART
	v_dot2_f32_f16 v75, v82, v24, v75
	;;#ASMEND
	s_nop 0
	;;#ASMSTART
	v_dot2_f32_f16 v75, v83, v25, v75
	;;#ASMEND
	s_nop 0
	;;#ASMSTART
	v_dot2_f32_f16 v75, v84, v26, v75
	;;#ASMEND
	s_nop 0
	;;#ASMSTART
	v_dot2_f32_f16 v75, v85, v27, v75
	;;#ASMEND
	;; [unrolled: 15-line block ×3, first 2 shown]
	ds_read_b128 v[24:27], v36 offset:368
	ds_read_b128 v[28:31], v45 offset:112
	;; [unrolled: 1-line block ×4, first 2 shown]
	s_waitcnt lgkmcnt(2)
	;;#ASMSTART
	v_dot2_f32_f16 v73, v28, v24, v73
	;;#ASMEND
	s_nop 0
	;;#ASMSTART
	v_dot2_f32_f16 v73, v29, v25, v73
	;;#ASMEND
	s_nop 0
	;; [unrolled: 4-line block ×3, first 2 shown]
	;;#ASMSTART
	v_dot2_f32_f16 v73, v31, v27, v73
	;;#ASMEND
	s_waitcnt lgkmcnt(0)
	;;#ASMSTART
	v_dot2_f32_f16 v74, v28, v86, v74
	;;#ASMEND
	s_nop 0
	;;#ASMSTART
	v_dot2_f32_f16 v74, v29, v87, v74
	;;#ASMEND
	s_nop 0
	;;#ASMSTART
	v_dot2_f32_f16 v74, v30, v88, v74
	;;#ASMEND
	s_nop 0
	;;#ASMSTART
	v_dot2_f32_f16 v74, v31, v89, v74
	;;#ASMEND
	;;#ASMSTART
	v_dot2_f32_f16 v75, v82, v24, v75
	;;#ASMEND
	s_nop 0
	;;#ASMSTART
	v_dot2_f32_f16 v75, v83, v25, v75
	;;#ASMEND
	s_nop 0
	;;#ASMSTART
	v_dot2_f32_f16 v75, v84, v26, v75
	;;#ASMEND
	s_nop 0
	;;#ASMSTART
	v_dot2_f32_f16 v75, v85, v27, v75
	;;#ASMEND
	;; [unrolled: 15-line block ×3, first 2 shown]
	s_barrier
	global_load_dwordx4 v[24:27], v[18:19], off offset:384
	global_load_dwordx4 v[28:31], v[22:23], off offset:384
	s_waitcnt vmcnt(1)
	ds_write_b128 v43, v[24:27]
	s_waitcnt vmcnt(0)
	ds_write_b128 v44, v[28:31]
	s_waitcnt lgkmcnt(0)
	s_barrier
	ds_read_b128 v[24:27], v36 offset:384
	ds_read_b128 v[28:31], v45
	ds_read_b128 v[82:85], v45 offset:4608
	ds_read_b128 v[86:89], v36 offset:1408
	s_waitcnt lgkmcnt(2)
	;;#ASMSTART
	v_dot2_f32_f16 v73, v28, v24, v73
	;;#ASMEND
	s_nop 0
	;;#ASMSTART
	v_dot2_f32_f16 v73, v29, v25, v73
	;;#ASMEND
	s_nop 0
	;; [unrolled: 4-line block ×3, first 2 shown]
	;;#ASMSTART
	v_dot2_f32_f16 v73, v31, v27, v73
	;;#ASMEND
	s_waitcnt lgkmcnt(0)
	;;#ASMSTART
	v_dot2_f32_f16 v74, v28, v86, v74
	;;#ASMEND
	s_nop 0
	;;#ASMSTART
	v_dot2_f32_f16 v74, v29, v87, v74
	;;#ASMEND
	s_nop 0
	;;#ASMSTART
	v_dot2_f32_f16 v74, v30, v88, v74
	;;#ASMEND
	s_nop 0
	;;#ASMSTART
	v_dot2_f32_f16 v74, v31, v89, v74
	;;#ASMEND
	;;#ASMSTART
	v_dot2_f32_f16 v75, v82, v24, v75
	;;#ASMEND
	s_nop 0
	;;#ASMSTART
	v_dot2_f32_f16 v75, v83, v25, v75
	;;#ASMEND
	s_nop 0
	;;#ASMSTART
	v_dot2_f32_f16 v75, v84, v26, v75
	;;#ASMEND
	s_nop 0
	;;#ASMSTART
	v_dot2_f32_f16 v75, v85, v27, v75
	;;#ASMEND
	;; [unrolled: 15-line block ×3, first 2 shown]
	ds_read_b128 v[24:27], v36 offset:400
	ds_read_b128 v[28:31], v45 offset:16
	;; [unrolled: 1-line block ×4, first 2 shown]
	s_waitcnt lgkmcnt(2)
	;;#ASMSTART
	v_dot2_f32_f16 v73, v28, v24, v73
	;;#ASMEND
	s_nop 0
	;;#ASMSTART
	v_dot2_f32_f16 v73, v29, v25, v73
	;;#ASMEND
	s_nop 0
	;; [unrolled: 4-line block ×3, first 2 shown]
	;;#ASMSTART
	v_dot2_f32_f16 v73, v31, v27, v73
	;;#ASMEND
	s_waitcnt lgkmcnt(0)
	;;#ASMSTART
	v_dot2_f32_f16 v74, v28, v86, v74
	;;#ASMEND
	s_nop 0
	;;#ASMSTART
	v_dot2_f32_f16 v74, v29, v87, v74
	;;#ASMEND
	s_nop 0
	;;#ASMSTART
	v_dot2_f32_f16 v74, v30, v88, v74
	;;#ASMEND
	s_nop 0
	;;#ASMSTART
	v_dot2_f32_f16 v74, v31, v89, v74
	;;#ASMEND
	;;#ASMSTART
	v_dot2_f32_f16 v75, v82, v24, v75
	;;#ASMEND
	s_nop 0
	;;#ASMSTART
	v_dot2_f32_f16 v75, v83, v25, v75
	;;#ASMEND
	s_nop 0
	;;#ASMSTART
	v_dot2_f32_f16 v75, v84, v26, v75
	;;#ASMEND
	s_nop 0
	;;#ASMSTART
	v_dot2_f32_f16 v75, v85, v27, v75
	;;#ASMEND
	;; [unrolled: 15-line block ×3, first 2 shown]
	ds_read_b128 v[24:27], v36 offset:416
	ds_read_b128 v[28:31], v45 offset:32
	;; [unrolled: 1-line block ×4, first 2 shown]
	s_waitcnt lgkmcnt(2)
	;;#ASMSTART
	v_dot2_f32_f16 v73, v28, v24, v73
	;;#ASMEND
	s_nop 0
	;;#ASMSTART
	v_dot2_f32_f16 v73, v29, v25, v73
	;;#ASMEND
	s_nop 0
	;; [unrolled: 4-line block ×3, first 2 shown]
	;;#ASMSTART
	v_dot2_f32_f16 v73, v31, v27, v73
	;;#ASMEND
	s_waitcnt lgkmcnt(0)
	;;#ASMSTART
	v_dot2_f32_f16 v74, v28, v86, v74
	;;#ASMEND
	s_nop 0
	;;#ASMSTART
	v_dot2_f32_f16 v74, v29, v87, v74
	;;#ASMEND
	s_nop 0
	;;#ASMSTART
	v_dot2_f32_f16 v74, v30, v88, v74
	;;#ASMEND
	s_nop 0
	;;#ASMSTART
	v_dot2_f32_f16 v74, v31, v89, v74
	;;#ASMEND
	;;#ASMSTART
	v_dot2_f32_f16 v75, v82, v24, v75
	;;#ASMEND
	s_nop 0
	;;#ASMSTART
	v_dot2_f32_f16 v75, v83, v25, v75
	;;#ASMEND
	s_nop 0
	;;#ASMSTART
	v_dot2_f32_f16 v75, v84, v26, v75
	;;#ASMEND
	s_nop 0
	;;#ASMSTART
	v_dot2_f32_f16 v75, v85, v27, v75
	;;#ASMEND
	;; [unrolled: 15-line block ×3, first 2 shown]
	ds_read_b128 v[24:27], v36 offset:432
	ds_read_b128 v[28:31], v45 offset:48
	;; [unrolled: 1-line block ×4, first 2 shown]
	s_waitcnt lgkmcnt(2)
	;;#ASMSTART
	v_dot2_f32_f16 v73, v28, v24, v73
	;;#ASMEND
	s_nop 0
	;;#ASMSTART
	v_dot2_f32_f16 v73, v29, v25, v73
	;;#ASMEND
	s_nop 0
	;; [unrolled: 4-line block ×3, first 2 shown]
	;;#ASMSTART
	v_dot2_f32_f16 v73, v31, v27, v73
	;;#ASMEND
	s_waitcnt lgkmcnt(0)
	;;#ASMSTART
	v_dot2_f32_f16 v74, v28, v86, v74
	;;#ASMEND
	s_nop 0
	;;#ASMSTART
	v_dot2_f32_f16 v74, v29, v87, v74
	;;#ASMEND
	s_nop 0
	;;#ASMSTART
	v_dot2_f32_f16 v74, v30, v88, v74
	;;#ASMEND
	s_nop 0
	;;#ASMSTART
	v_dot2_f32_f16 v74, v31, v89, v74
	;;#ASMEND
	;;#ASMSTART
	v_dot2_f32_f16 v75, v82, v24, v75
	;;#ASMEND
	s_nop 0
	;;#ASMSTART
	v_dot2_f32_f16 v75, v83, v25, v75
	;;#ASMEND
	s_nop 0
	;;#ASMSTART
	v_dot2_f32_f16 v75, v84, v26, v75
	;;#ASMEND
	s_nop 0
	;;#ASMSTART
	v_dot2_f32_f16 v75, v85, v27, v75
	;;#ASMEND
	;; [unrolled: 15-line block ×3, first 2 shown]
	ds_read_b128 v[24:27], v36 offset:448
	ds_read_b128 v[28:31], v45 offset:64
	;; [unrolled: 1-line block ×4, first 2 shown]
	s_waitcnt lgkmcnt(2)
	;;#ASMSTART
	v_dot2_f32_f16 v73, v28, v24, v73
	;;#ASMEND
	s_nop 0
	;;#ASMSTART
	v_dot2_f32_f16 v73, v29, v25, v73
	;;#ASMEND
	s_nop 0
	;; [unrolled: 4-line block ×3, first 2 shown]
	;;#ASMSTART
	v_dot2_f32_f16 v73, v31, v27, v73
	;;#ASMEND
	s_waitcnt lgkmcnt(0)
	;;#ASMSTART
	v_dot2_f32_f16 v74, v28, v86, v74
	;;#ASMEND
	s_nop 0
	;;#ASMSTART
	v_dot2_f32_f16 v74, v29, v87, v74
	;;#ASMEND
	s_nop 0
	;;#ASMSTART
	v_dot2_f32_f16 v74, v30, v88, v74
	;;#ASMEND
	s_nop 0
	;;#ASMSTART
	v_dot2_f32_f16 v74, v31, v89, v74
	;;#ASMEND
	;;#ASMSTART
	v_dot2_f32_f16 v75, v82, v24, v75
	;;#ASMEND
	s_nop 0
	;;#ASMSTART
	v_dot2_f32_f16 v75, v83, v25, v75
	;;#ASMEND
	s_nop 0
	;;#ASMSTART
	v_dot2_f32_f16 v75, v84, v26, v75
	;;#ASMEND
	s_nop 0
	;;#ASMSTART
	v_dot2_f32_f16 v75, v85, v27, v75
	;;#ASMEND
	;; [unrolled: 15-line block ×3, first 2 shown]
	ds_read_b128 v[24:27], v36 offset:464
	ds_read_b128 v[28:31], v45 offset:80
	;; [unrolled: 1-line block ×4, first 2 shown]
	s_waitcnt lgkmcnt(2)
	;;#ASMSTART
	v_dot2_f32_f16 v73, v28, v24, v73
	;;#ASMEND
	s_nop 0
	;;#ASMSTART
	v_dot2_f32_f16 v73, v29, v25, v73
	;;#ASMEND
	s_nop 0
	;; [unrolled: 4-line block ×3, first 2 shown]
	;;#ASMSTART
	v_dot2_f32_f16 v73, v31, v27, v73
	;;#ASMEND
	s_waitcnt lgkmcnt(0)
	;;#ASMSTART
	v_dot2_f32_f16 v74, v28, v86, v74
	;;#ASMEND
	s_nop 0
	;;#ASMSTART
	v_dot2_f32_f16 v74, v29, v87, v74
	;;#ASMEND
	s_nop 0
	;;#ASMSTART
	v_dot2_f32_f16 v74, v30, v88, v74
	;;#ASMEND
	s_nop 0
	;;#ASMSTART
	v_dot2_f32_f16 v74, v31, v89, v74
	;;#ASMEND
	;;#ASMSTART
	v_dot2_f32_f16 v75, v82, v24, v75
	;;#ASMEND
	s_nop 0
	;;#ASMSTART
	v_dot2_f32_f16 v75, v83, v25, v75
	;;#ASMEND
	s_nop 0
	;;#ASMSTART
	v_dot2_f32_f16 v75, v84, v26, v75
	;;#ASMEND
	s_nop 0
	;;#ASMSTART
	v_dot2_f32_f16 v75, v85, v27, v75
	;;#ASMEND
	;; [unrolled: 15-line block ×3, first 2 shown]
	ds_read_b128 v[24:27], v36 offset:480
	ds_read_b128 v[28:31], v45 offset:96
	;; [unrolled: 1-line block ×4, first 2 shown]
	s_waitcnt lgkmcnt(2)
	;;#ASMSTART
	v_dot2_f32_f16 v73, v28, v24, v73
	;;#ASMEND
	s_nop 0
	;;#ASMSTART
	v_dot2_f32_f16 v73, v29, v25, v73
	;;#ASMEND
	s_nop 0
	;; [unrolled: 4-line block ×3, first 2 shown]
	;;#ASMSTART
	v_dot2_f32_f16 v73, v31, v27, v73
	;;#ASMEND
	s_waitcnt lgkmcnt(0)
	;;#ASMSTART
	v_dot2_f32_f16 v74, v28, v86, v74
	;;#ASMEND
	s_nop 0
	;;#ASMSTART
	v_dot2_f32_f16 v74, v29, v87, v74
	;;#ASMEND
	s_nop 0
	;;#ASMSTART
	v_dot2_f32_f16 v74, v30, v88, v74
	;;#ASMEND
	s_nop 0
	;;#ASMSTART
	v_dot2_f32_f16 v74, v31, v89, v74
	;;#ASMEND
	;;#ASMSTART
	v_dot2_f32_f16 v75, v82, v24, v75
	;;#ASMEND
	s_nop 0
	;;#ASMSTART
	v_dot2_f32_f16 v75, v83, v25, v75
	;;#ASMEND
	s_nop 0
	;;#ASMSTART
	v_dot2_f32_f16 v75, v84, v26, v75
	;;#ASMEND
	s_nop 0
	;;#ASMSTART
	v_dot2_f32_f16 v75, v85, v27, v75
	;;#ASMEND
	;; [unrolled: 15-line block ×3, first 2 shown]
	ds_read_b128 v[24:27], v36 offset:496
	ds_read_b128 v[28:31], v45 offset:112
	;; [unrolled: 1-line block ×4, first 2 shown]
	s_waitcnt lgkmcnt(2)
	;;#ASMSTART
	v_dot2_f32_f16 v73, v28, v24, v73
	;;#ASMEND
	s_nop 0
	;;#ASMSTART
	v_dot2_f32_f16 v73, v29, v25, v73
	;;#ASMEND
	s_nop 0
	;; [unrolled: 4-line block ×3, first 2 shown]
	;;#ASMSTART
	v_dot2_f32_f16 v73, v31, v27, v73
	;;#ASMEND
	s_waitcnt lgkmcnt(0)
	;;#ASMSTART
	v_dot2_f32_f16 v74, v28, v86, v74
	;;#ASMEND
	s_nop 0
	;;#ASMSTART
	v_dot2_f32_f16 v74, v29, v87, v74
	;;#ASMEND
	s_nop 0
	;;#ASMSTART
	v_dot2_f32_f16 v74, v30, v88, v74
	;;#ASMEND
	s_nop 0
	;;#ASMSTART
	v_dot2_f32_f16 v74, v31, v89, v74
	;;#ASMEND
	;;#ASMSTART
	v_dot2_f32_f16 v75, v82, v24, v75
	;;#ASMEND
	s_nop 0
	;;#ASMSTART
	v_dot2_f32_f16 v75, v83, v25, v75
	;;#ASMEND
	s_nop 0
	;;#ASMSTART
	v_dot2_f32_f16 v75, v84, v26, v75
	;;#ASMEND
	s_nop 0
	;;#ASMSTART
	v_dot2_f32_f16 v75, v85, v27, v75
	;;#ASMEND
	;; [unrolled: 15-line block ×3, first 2 shown]
	s_barrier
	global_load_dwordx4 v[24:27], v[18:19], off offset:512
	global_load_dwordx4 v[28:31], v[22:23], off offset:512
	s_waitcnt vmcnt(1)
	ds_write_b128 v43, v[24:27]
	s_waitcnt vmcnt(0)
	ds_write_b128 v44, v[28:31]
	s_waitcnt lgkmcnt(0)
	s_barrier
	ds_read_b128 v[24:27], v36 offset:512
	ds_read_b128 v[28:31], v45
	ds_read_b128 v[82:85], v45 offset:4608
	ds_read_b128 v[86:89], v36 offset:1536
	s_waitcnt lgkmcnt(2)
	;;#ASMSTART
	v_dot2_f32_f16 v73, v28, v24, v73
	;;#ASMEND
	s_nop 0
	;;#ASMSTART
	v_dot2_f32_f16 v73, v29, v25, v73
	;;#ASMEND
	s_nop 0
	;; [unrolled: 4-line block ×3, first 2 shown]
	;;#ASMSTART
	v_dot2_f32_f16 v73, v31, v27, v73
	;;#ASMEND
	s_waitcnt lgkmcnt(0)
	;;#ASMSTART
	v_dot2_f32_f16 v74, v28, v86, v74
	;;#ASMEND
	s_nop 0
	;;#ASMSTART
	v_dot2_f32_f16 v74, v29, v87, v74
	;;#ASMEND
	s_nop 0
	;;#ASMSTART
	v_dot2_f32_f16 v74, v30, v88, v74
	;;#ASMEND
	s_nop 0
	;;#ASMSTART
	v_dot2_f32_f16 v74, v31, v89, v74
	;;#ASMEND
	;;#ASMSTART
	v_dot2_f32_f16 v75, v82, v24, v75
	;;#ASMEND
	s_nop 0
	;;#ASMSTART
	v_dot2_f32_f16 v75, v83, v25, v75
	;;#ASMEND
	s_nop 0
	;;#ASMSTART
	v_dot2_f32_f16 v75, v84, v26, v75
	;;#ASMEND
	s_nop 0
	;;#ASMSTART
	v_dot2_f32_f16 v75, v85, v27, v75
	;;#ASMEND
	;; [unrolled: 15-line block ×3, first 2 shown]
	ds_read_b128 v[24:27], v36 offset:528
	ds_read_b128 v[28:31], v45 offset:16
	;; [unrolled: 1-line block ×4, first 2 shown]
	s_waitcnt lgkmcnt(2)
	;;#ASMSTART
	v_dot2_f32_f16 v73, v28, v24, v73
	;;#ASMEND
	s_nop 0
	;;#ASMSTART
	v_dot2_f32_f16 v73, v29, v25, v73
	;;#ASMEND
	s_nop 0
	;; [unrolled: 4-line block ×3, first 2 shown]
	;;#ASMSTART
	v_dot2_f32_f16 v73, v31, v27, v73
	;;#ASMEND
	s_waitcnt lgkmcnt(0)
	;;#ASMSTART
	v_dot2_f32_f16 v74, v28, v86, v74
	;;#ASMEND
	s_nop 0
	;;#ASMSTART
	v_dot2_f32_f16 v74, v29, v87, v74
	;;#ASMEND
	s_nop 0
	;;#ASMSTART
	v_dot2_f32_f16 v74, v30, v88, v74
	;;#ASMEND
	s_nop 0
	;;#ASMSTART
	v_dot2_f32_f16 v74, v31, v89, v74
	;;#ASMEND
	;;#ASMSTART
	v_dot2_f32_f16 v75, v82, v24, v75
	;;#ASMEND
	s_nop 0
	;;#ASMSTART
	v_dot2_f32_f16 v75, v83, v25, v75
	;;#ASMEND
	s_nop 0
	;;#ASMSTART
	v_dot2_f32_f16 v75, v84, v26, v75
	;;#ASMEND
	s_nop 0
	;;#ASMSTART
	v_dot2_f32_f16 v75, v85, v27, v75
	;;#ASMEND
	;; [unrolled: 15-line block ×3, first 2 shown]
	ds_read_b128 v[24:27], v36 offset:544
	ds_read_b128 v[28:31], v45 offset:32
	;; [unrolled: 1-line block ×4, first 2 shown]
	s_waitcnt lgkmcnt(2)
	;;#ASMSTART
	v_dot2_f32_f16 v73, v28, v24, v73
	;;#ASMEND
	s_nop 0
	;;#ASMSTART
	v_dot2_f32_f16 v73, v29, v25, v73
	;;#ASMEND
	s_nop 0
	;; [unrolled: 4-line block ×3, first 2 shown]
	;;#ASMSTART
	v_dot2_f32_f16 v73, v31, v27, v73
	;;#ASMEND
	s_waitcnt lgkmcnt(0)
	;;#ASMSTART
	v_dot2_f32_f16 v74, v28, v86, v74
	;;#ASMEND
	s_nop 0
	;;#ASMSTART
	v_dot2_f32_f16 v74, v29, v87, v74
	;;#ASMEND
	s_nop 0
	;;#ASMSTART
	v_dot2_f32_f16 v74, v30, v88, v74
	;;#ASMEND
	s_nop 0
	;;#ASMSTART
	v_dot2_f32_f16 v74, v31, v89, v74
	;;#ASMEND
	;;#ASMSTART
	v_dot2_f32_f16 v75, v82, v24, v75
	;;#ASMEND
	s_nop 0
	;;#ASMSTART
	v_dot2_f32_f16 v75, v83, v25, v75
	;;#ASMEND
	s_nop 0
	;;#ASMSTART
	v_dot2_f32_f16 v75, v84, v26, v75
	;;#ASMEND
	s_nop 0
	;;#ASMSTART
	v_dot2_f32_f16 v75, v85, v27, v75
	;;#ASMEND
	;; [unrolled: 15-line block ×3, first 2 shown]
	ds_read_b128 v[24:27], v36 offset:560
	ds_read_b128 v[28:31], v45 offset:48
	;; [unrolled: 1-line block ×4, first 2 shown]
	s_waitcnt lgkmcnt(2)
	;;#ASMSTART
	v_dot2_f32_f16 v73, v28, v24, v73
	;;#ASMEND
	s_nop 0
	;;#ASMSTART
	v_dot2_f32_f16 v73, v29, v25, v73
	;;#ASMEND
	s_nop 0
	;; [unrolled: 4-line block ×3, first 2 shown]
	;;#ASMSTART
	v_dot2_f32_f16 v73, v31, v27, v73
	;;#ASMEND
	s_waitcnt lgkmcnt(0)
	;;#ASMSTART
	v_dot2_f32_f16 v74, v28, v86, v74
	;;#ASMEND
	s_nop 0
	;;#ASMSTART
	v_dot2_f32_f16 v74, v29, v87, v74
	;;#ASMEND
	s_nop 0
	;;#ASMSTART
	v_dot2_f32_f16 v74, v30, v88, v74
	;;#ASMEND
	s_nop 0
	;;#ASMSTART
	v_dot2_f32_f16 v74, v31, v89, v74
	;;#ASMEND
	;;#ASMSTART
	v_dot2_f32_f16 v75, v82, v24, v75
	;;#ASMEND
	s_nop 0
	;;#ASMSTART
	v_dot2_f32_f16 v75, v83, v25, v75
	;;#ASMEND
	s_nop 0
	;;#ASMSTART
	v_dot2_f32_f16 v75, v84, v26, v75
	;;#ASMEND
	s_nop 0
	;;#ASMSTART
	v_dot2_f32_f16 v75, v85, v27, v75
	;;#ASMEND
	;;#ASMSTART
	v_dot2_f32_f16 v76, v82, v86, v76
	;;#ASMEND
	s_nop 0
	;;#ASMSTART
	v_dot2_f32_f16 v76, v83, v87, v76
	;;#ASMEND
	s_nop 0
	;;#ASMSTART
	v_dot2_f32_f16 v76, v84, v88, v76
	;;#ASMEND
	s_nop 0
	;;#ASMSTART
	v_dot2_f32_f16 v76, v85, v89, v76
	;;#ASMEND
	ds_read_b128 v[24:27], v36 offset:576
	ds_read_b128 v[28:31], v45 offset:64
	;; [unrolled: 1-line block ×4, first 2 shown]
	s_waitcnt lgkmcnt(2)
	;;#ASMSTART
	v_dot2_f32_f16 v73, v28, v24, v73
	;;#ASMEND
	s_nop 0
	;;#ASMSTART
	v_dot2_f32_f16 v73, v29, v25, v73
	;;#ASMEND
	s_nop 0
	;; [unrolled: 4-line block ×3, first 2 shown]
	;;#ASMSTART
	v_dot2_f32_f16 v73, v31, v27, v73
	;;#ASMEND
	s_waitcnt lgkmcnt(0)
	;;#ASMSTART
	v_dot2_f32_f16 v74, v28, v86, v74
	;;#ASMEND
	s_nop 0
	;;#ASMSTART
	v_dot2_f32_f16 v74, v29, v87, v74
	;;#ASMEND
	s_nop 0
	;;#ASMSTART
	v_dot2_f32_f16 v74, v30, v88, v74
	;;#ASMEND
	s_nop 0
	;;#ASMSTART
	v_dot2_f32_f16 v74, v31, v89, v74
	;;#ASMEND
	;;#ASMSTART
	v_dot2_f32_f16 v75, v82, v24, v75
	;;#ASMEND
	s_nop 0
	;;#ASMSTART
	v_dot2_f32_f16 v75, v83, v25, v75
	;;#ASMEND
	s_nop 0
	;;#ASMSTART
	v_dot2_f32_f16 v75, v84, v26, v75
	;;#ASMEND
	s_nop 0
	;;#ASMSTART
	v_dot2_f32_f16 v75, v85, v27, v75
	;;#ASMEND
	;; [unrolled: 15-line block ×3, first 2 shown]
	ds_read_b128 v[24:27], v36 offset:592
	ds_read_b128 v[28:31], v45 offset:80
	;; [unrolled: 1-line block ×4, first 2 shown]
	s_waitcnt lgkmcnt(2)
	;;#ASMSTART
	v_dot2_f32_f16 v73, v28, v24, v73
	;;#ASMEND
	s_nop 0
	;;#ASMSTART
	v_dot2_f32_f16 v73, v29, v25, v73
	;;#ASMEND
	s_nop 0
	;; [unrolled: 4-line block ×3, first 2 shown]
	;;#ASMSTART
	v_dot2_f32_f16 v73, v31, v27, v73
	;;#ASMEND
	s_waitcnt lgkmcnt(0)
	;;#ASMSTART
	v_dot2_f32_f16 v74, v28, v86, v74
	;;#ASMEND
	s_nop 0
	;;#ASMSTART
	v_dot2_f32_f16 v74, v29, v87, v74
	;;#ASMEND
	s_nop 0
	;;#ASMSTART
	v_dot2_f32_f16 v74, v30, v88, v74
	;;#ASMEND
	s_nop 0
	;;#ASMSTART
	v_dot2_f32_f16 v74, v31, v89, v74
	;;#ASMEND
	;;#ASMSTART
	v_dot2_f32_f16 v75, v82, v24, v75
	;;#ASMEND
	s_nop 0
	;;#ASMSTART
	v_dot2_f32_f16 v75, v83, v25, v75
	;;#ASMEND
	s_nop 0
	;;#ASMSTART
	v_dot2_f32_f16 v75, v84, v26, v75
	;;#ASMEND
	s_nop 0
	;;#ASMSTART
	v_dot2_f32_f16 v75, v85, v27, v75
	;;#ASMEND
	;; [unrolled: 15-line block ×3, first 2 shown]
	ds_read_b128 v[24:27], v36 offset:608
	ds_read_b128 v[28:31], v45 offset:96
	;; [unrolled: 1-line block ×4, first 2 shown]
	s_waitcnt lgkmcnt(2)
	;;#ASMSTART
	v_dot2_f32_f16 v73, v28, v24, v73
	;;#ASMEND
	s_nop 0
	;;#ASMSTART
	v_dot2_f32_f16 v73, v29, v25, v73
	;;#ASMEND
	s_nop 0
	;; [unrolled: 4-line block ×3, first 2 shown]
	;;#ASMSTART
	v_dot2_f32_f16 v73, v31, v27, v73
	;;#ASMEND
	s_waitcnt lgkmcnt(0)
	;;#ASMSTART
	v_dot2_f32_f16 v74, v28, v86, v74
	;;#ASMEND
	s_nop 0
	;;#ASMSTART
	v_dot2_f32_f16 v74, v29, v87, v74
	;;#ASMEND
	s_nop 0
	;;#ASMSTART
	v_dot2_f32_f16 v74, v30, v88, v74
	;;#ASMEND
	s_nop 0
	;;#ASMSTART
	v_dot2_f32_f16 v74, v31, v89, v74
	;;#ASMEND
	;;#ASMSTART
	v_dot2_f32_f16 v75, v82, v24, v75
	;;#ASMEND
	s_nop 0
	;;#ASMSTART
	v_dot2_f32_f16 v75, v83, v25, v75
	;;#ASMEND
	s_nop 0
	;;#ASMSTART
	v_dot2_f32_f16 v75, v84, v26, v75
	;;#ASMEND
	s_nop 0
	;;#ASMSTART
	v_dot2_f32_f16 v75, v85, v27, v75
	;;#ASMEND
	;; [unrolled: 15-line block ×3, first 2 shown]
	ds_read_b128 v[24:27], v36 offset:624
	ds_read_b128 v[28:31], v45 offset:112
	;; [unrolled: 1-line block ×4, first 2 shown]
	s_waitcnt lgkmcnt(2)
	;;#ASMSTART
	v_dot2_f32_f16 v73, v28, v24, v73
	;;#ASMEND
	s_nop 0
	;;#ASMSTART
	v_dot2_f32_f16 v73, v29, v25, v73
	;;#ASMEND
	s_nop 0
	;; [unrolled: 4-line block ×3, first 2 shown]
	;;#ASMSTART
	v_dot2_f32_f16 v73, v31, v27, v73
	;;#ASMEND
	s_waitcnt lgkmcnt(0)
	;;#ASMSTART
	v_dot2_f32_f16 v74, v28, v86, v74
	;;#ASMEND
	s_nop 0
	;;#ASMSTART
	v_dot2_f32_f16 v74, v29, v87, v74
	;;#ASMEND
	s_nop 0
	;;#ASMSTART
	v_dot2_f32_f16 v74, v30, v88, v74
	;;#ASMEND
	s_nop 0
	;;#ASMSTART
	v_dot2_f32_f16 v74, v31, v89, v74
	;;#ASMEND
	;;#ASMSTART
	v_dot2_f32_f16 v75, v82, v24, v75
	;;#ASMEND
	s_nop 0
	;;#ASMSTART
	v_dot2_f32_f16 v75, v83, v25, v75
	;;#ASMEND
	s_nop 0
	;;#ASMSTART
	v_dot2_f32_f16 v75, v84, v26, v75
	;;#ASMEND
	s_nop 0
	;;#ASMSTART
	v_dot2_f32_f16 v75, v85, v27, v75
	;;#ASMEND
	;; [unrolled: 15-line block ×3, first 2 shown]
	s_barrier
	global_load_dwordx4 v[24:27], v[18:19], off offset:640
	global_load_dwordx4 v[28:31], v[22:23], off offset:640
	s_waitcnt vmcnt(1)
	ds_write_b128 v43, v[24:27]
	s_waitcnt vmcnt(0)
	ds_write_b128 v44, v[28:31]
	s_waitcnt lgkmcnt(0)
	s_barrier
	ds_read_b128 v[24:27], v36 offset:640
	ds_read_b128 v[28:31], v45
	ds_read_b128 v[82:85], v45 offset:4608
	ds_read_b128 v[86:89], v36 offset:1664
	s_waitcnt lgkmcnt(2)
	;;#ASMSTART
	v_dot2_f32_f16 v73, v28, v24, v73
	;;#ASMEND
	s_nop 0
	;;#ASMSTART
	v_dot2_f32_f16 v73, v29, v25, v73
	;;#ASMEND
	s_nop 0
	;; [unrolled: 4-line block ×3, first 2 shown]
	;;#ASMSTART
	v_dot2_f32_f16 v73, v31, v27, v73
	;;#ASMEND
	s_waitcnt lgkmcnt(0)
	;;#ASMSTART
	v_dot2_f32_f16 v74, v28, v86, v74
	;;#ASMEND
	s_nop 0
	;;#ASMSTART
	v_dot2_f32_f16 v74, v29, v87, v74
	;;#ASMEND
	s_nop 0
	;;#ASMSTART
	v_dot2_f32_f16 v74, v30, v88, v74
	;;#ASMEND
	s_nop 0
	;;#ASMSTART
	v_dot2_f32_f16 v74, v31, v89, v74
	;;#ASMEND
	;;#ASMSTART
	v_dot2_f32_f16 v75, v82, v24, v75
	;;#ASMEND
	s_nop 0
	;;#ASMSTART
	v_dot2_f32_f16 v75, v83, v25, v75
	;;#ASMEND
	s_nop 0
	;;#ASMSTART
	v_dot2_f32_f16 v75, v84, v26, v75
	;;#ASMEND
	s_nop 0
	;;#ASMSTART
	v_dot2_f32_f16 v75, v85, v27, v75
	;;#ASMEND
	;; [unrolled: 15-line block ×3, first 2 shown]
	ds_read_b128 v[24:27], v36 offset:656
	ds_read_b128 v[28:31], v45 offset:16
	;; [unrolled: 1-line block ×4, first 2 shown]
	s_waitcnt lgkmcnt(2)
	;;#ASMSTART
	v_dot2_f32_f16 v73, v28, v24, v73
	;;#ASMEND
	s_nop 0
	;;#ASMSTART
	v_dot2_f32_f16 v73, v29, v25, v73
	;;#ASMEND
	s_nop 0
	;; [unrolled: 4-line block ×3, first 2 shown]
	;;#ASMSTART
	v_dot2_f32_f16 v73, v31, v27, v73
	;;#ASMEND
	s_waitcnt lgkmcnt(0)
	;;#ASMSTART
	v_dot2_f32_f16 v74, v28, v86, v74
	;;#ASMEND
	s_nop 0
	;;#ASMSTART
	v_dot2_f32_f16 v74, v29, v87, v74
	;;#ASMEND
	s_nop 0
	;;#ASMSTART
	v_dot2_f32_f16 v74, v30, v88, v74
	;;#ASMEND
	s_nop 0
	;;#ASMSTART
	v_dot2_f32_f16 v74, v31, v89, v74
	;;#ASMEND
	;;#ASMSTART
	v_dot2_f32_f16 v75, v82, v24, v75
	;;#ASMEND
	s_nop 0
	;;#ASMSTART
	v_dot2_f32_f16 v75, v83, v25, v75
	;;#ASMEND
	s_nop 0
	;;#ASMSTART
	v_dot2_f32_f16 v75, v84, v26, v75
	;;#ASMEND
	s_nop 0
	;;#ASMSTART
	v_dot2_f32_f16 v75, v85, v27, v75
	;;#ASMEND
	;; [unrolled: 15-line block ×3, first 2 shown]
	ds_read_b128 v[24:27], v36 offset:672
	ds_read_b128 v[28:31], v45 offset:32
	;; [unrolled: 1-line block ×4, first 2 shown]
	s_waitcnt lgkmcnt(2)
	;;#ASMSTART
	v_dot2_f32_f16 v73, v28, v24, v73
	;;#ASMEND
	s_nop 0
	;;#ASMSTART
	v_dot2_f32_f16 v73, v29, v25, v73
	;;#ASMEND
	s_nop 0
	;; [unrolled: 4-line block ×3, first 2 shown]
	;;#ASMSTART
	v_dot2_f32_f16 v73, v31, v27, v73
	;;#ASMEND
	s_waitcnt lgkmcnt(0)
	;;#ASMSTART
	v_dot2_f32_f16 v74, v28, v86, v74
	;;#ASMEND
	s_nop 0
	;;#ASMSTART
	v_dot2_f32_f16 v74, v29, v87, v74
	;;#ASMEND
	s_nop 0
	;;#ASMSTART
	v_dot2_f32_f16 v74, v30, v88, v74
	;;#ASMEND
	s_nop 0
	;;#ASMSTART
	v_dot2_f32_f16 v74, v31, v89, v74
	;;#ASMEND
	;;#ASMSTART
	v_dot2_f32_f16 v75, v82, v24, v75
	;;#ASMEND
	s_nop 0
	;;#ASMSTART
	v_dot2_f32_f16 v75, v83, v25, v75
	;;#ASMEND
	s_nop 0
	;;#ASMSTART
	v_dot2_f32_f16 v75, v84, v26, v75
	;;#ASMEND
	s_nop 0
	;;#ASMSTART
	v_dot2_f32_f16 v75, v85, v27, v75
	;;#ASMEND
	;; [unrolled: 15-line block ×3, first 2 shown]
	ds_read_b128 v[24:27], v36 offset:688
	ds_read_b128 v[28:31], v45 offset:48
	;; [unrolled: 1-line block ×4, first 2 shown]
	s_waitcnt lgkmcnt(2)
	;;#ASMSTART
	v_dot2_f32_f16 v73, v28, v24, v73
	;;#ASMEND
	s_nop 0
	;;#ASMSTART
	v_dot2_f32_f16 v73, v29, v25, v73
	;;#ASMEND
	s_nop 0
	;; [unrolled: 4-line block ×3, first 2 shown]
	;;#ASMSTART
	v_dot2_f32_f16 v73, v31, v27, v73
	;;#ASMEND
	s_waitcnt lgkmcnt(0)
	;;#ASMSTART
	v_dot2_f32_f16 v74, v28, v86, v74
	;;#ASMEND
	s_nop 0
	;;#ASMSTART
	v_dot2_f32_f16 v74, v29, v87, v74
	;;#ASMEND
	s_nop 0
	;;#ASMSTART
	v_dot2_f32_f16 v74, v30, v88, v74
	;;#ASMEND
	s_nop 0
	;;#ASMSTART
	v_dot2_f32_f16 v74, v31, v89, v74
	;;#ASMEND
	;;#ASMSTART
	v_dot2_f32_f16 v75, v82, v24, v75
	;;#ASMEND
	s_nop 0
	;;#ASMSTART
	v_dot2_f32_f16 v75, v83, v25, v75
	;;#ASMEND
	s_nop 0
	;;#ASMSTART
	v_dot2_f32_f16 v75, v84, v26, v75
	;;#ASMEND
	s_nop 0
	;;#ASMSTART
	v_dot2_f32_f16 v75, v85, v27, v75
	;;#ASMEND
	;; [unrolled: 15-line block ×3, first 2 shown]
	ds_read_b128 v[24:27], v36 offset:704
	ds_read_b128 v[28:31], v45 offset:64
	;; [unrolled: 1-line block ×4, first 2 shown]
	s_waitcnt lgkmcnt(2)
	;;#ASMSTART
	v_dot2_f32_f16 v73, v28, v24, v73
	;;#ASMEND
	s_nop 0
	;;#ASMSTART
	v_dot2_f32_f16 v73, v29, v25, v73
	;;#ASMEND
	s_nop 0
	;;#ASMSTART
	v_dot2_f32_f16 v73, v30, v26, v73
	;;#ASMEND
	s_nop 0
	;;#ASMSTART
	v_dot2_f32_f16 v73, v31, v27, v73
	;;#ASMEND
	s_waitcnt lgkmcnt(0)
	;;#ASMSTART
	v_dot2_f32_f16 v74, v28, v86, v74
	;;#ASMEND
	s_nop 0
	;;#ASMSTART
	v_dot2_f32_f16 v74, v29, v87, v74
	;;#ASMEND
	s_nop 0
	;;#ASMSTART
	v_dot2_f32_f16 v74, v30, v88, v74
	;;#ASMEND
	s_nop 0
	;;#ASMSTART
	v_dot2_f32_f16 v74, v31, v89, v74
	;;#ASMEND
	;;#ASMSTART
	v_dot2_f32_f16 v75, v82, v24, v75
	;;#ASMEND
	s_nop 0
	;;#ASMSTART
	v_dot2_f32_f16 v75, v83, v25, v75
	;;#ASMEND
	s_nop 0
	;;#ASMSTART
	v_dot2_f32_f16 v75, v84, v26, v75
	;;#ASMEND
	s_nop 0
	;;#ASMSTART
	v_dot2_f32_f16 v75, v85, v27, v75
	;;#ASMEND
	;; [unrolled: 15-line block ×3, first 2 shown]
	ds_read_b128 v[24:27], v36 offset:720
	ds_read_b128 v[28:31], v45 offset:80
	;; [unrolled: 1-line block ×4, first 2 shown]
	s_waitcnt lgkmcnt(2)
	;;#ASMSTART
	v_dot2_f32_f16 v73, v28, v24, v73
	;;#ASMEND
	s_nop 0
	;;#ASMSTART
	v_dot2_f32_f16 v73, v29, v25, v73
	;;#ASMEND
	s_nop 0
	;; [unrolled: 4-line block ×3, first 2 shown]
	;;#ASMSTART
	v_dot2_f32_f16 v73, v31, v27, v73
	;;#ASMEND
	s_waitcnt lgkmcnt(0)
	;;#ASMSTART
	v_dot2_f32_f16 v74, v28, v86, v74
	;;#ASMEND
	s_nop 0
	;;#ASMSTART
	v_dot2_f32_f16 v74, v29, v87, v74
	;;#ASMEND
	s_nop 0
	;;#ASMSTART
	v_dot2_f32_f16 v74, v30, v88, v74
	;;#ASMEND
	s_nop 0
	;;#ASMSTART
	v_dot2_f32_f16 v74, v31, v89, v74
	;;#ASMEND
	;;#ASMSTART
	v_dot2_f32_f16 v75, v82, v24, v75
	;;#ASMEND
	s_nop 0
	;;#ASMSTART
	v_dot2_f32_f16 v75, v83, v25, v75
	;;#ASMEND
	s_nop 0
	;;#ASMSTART
	v_dot2_f32_f16 v75, v84, v26, v75
	;;#ASMEND
	s_nop 0
	;;#ASMSTART
	v_dot2_f32_f16 v75, v85, v27, v75
	;;#ASMEND
	;;#ASMSTART
	v_dot2_f32_f16 v76, v82, v86, v76
	;;#ASMEND
	s_nop 0
	;;#ASMSTART
	v_dot2_f32_f16 v76, v83, v87, v76
	;;#ASMEND
	s_nop 0
	;;#ASMSTART
	v_dot2_f32_f16 v76, v84, v88, v76
	;;#ASMEND
	s_nop 0
	;;#ASMSTART
	v_dot2_f32_f16 v76, v85, v89, v76
	;;#ASMEND
	ds_read_b128 v[24:27], v36 offset:736
	ds_read_b128 v[28:31], v45 offset:96
	ds_read_b128 v[82:85], v45 offset:4704
	ds_read_b128 v[86:89], v36 offset:1760
	s_waitcnt lgkmcnt(2)
	;;#ASMSTART
	v_dot2_f32_f16 v73, v28, v24, v73
	;;#ASMEND
	s_nop 0
	;;#ASMSTART
	v_dot2_f32_f16 v73, v29, v25, v73
	;;#ASMEND
	s_nop 0
	;; [unrolled: 4-line block ×3, first 2 shown]
	;;#ASMSTART
	v_dot2_f32_f16 v73, v31, v27, v73
	;;#ASMEND
	s_waitcnt lgkmcnt(0)
	;;#ASMSTART
	v_dot2_f32_f16 v74, v28, v86, v74
	;;#ASMEND
	s_nop 0
	;;#ASMSTART
	v_dot2_f32_f16 v74, v29, v87, v74
	;;#ASMEND
	s_nop 0
	;;#ASMSTART
	v_dot2_f32_f16 v74, v30, v88, v74
	;;#ASMEND
	s_nop 0
	;;#ASMSTART
	v_dot2_f32_f16 v74, v31, v89, v74
	;;#ASMEND
	;;#ASMSTART
	v_dot2_f32_f16 v75, v82, v24, v75
	;;#ASMEND
	s_nop 0
	;;#ASMSTART
	v_dot2_f32_f16 v75, v83, v25, v75
	;;#ASMEND
	s_nop 0
	;;#ASMSTART
	v_dot2_f32_f16 v75, v84, v26, v75
	;;#ASMEND
	s_nop 0
	;;#ASMSTART
	v_dot2_f32_f16 v75, v85, v27, v75
	;;#ASMEND
	;; [unrolled: 15-line block ×3, first 2 shown]
	ds_read_b128 v[24:27], v36 offset:752
	ds_read_b128 v[28:31], v45 offset:112
	;; [unrolled: 1-line block ×4, first 2 shown]
	s_waitcnt lgkmcnt(2)
	;;#ASMSTART
	v_dot2_f32_f16 v73, v28, v24, v73
	;;#ASMEND
	s_nop 0
	;;#ASMSTART
	v_dot2_f32_f16 v73, v29, v25, v73
	;;#ASMEND
	s_nop 0
	;; [unrolled: 4-line block ×3, first 2 shown]
	;;#ASMSTART
	v_dot2_f32_f16 v73, v31, v27, v73
	;;#ASMEND
	s_waitcnt lgkmcnt(0)
	;;#ASMSTART
	v_dot2_f32_f16 v74, v28, v86, v74
	;;#ASMEND
	s_nop 0
	;;#ASMSTART
	v_dot2_f32_f16 v74, v29, v87, v74
	;;#ASMEND
	s_nop 0
	;;#ASMSTART
	v_dot2_f32_f16 v74, v30, v88, v74
	;;#ASMEND
	s_nop 0
	;;#ASMSTART
	v_dot2_f32_f16 v74, v31, v89, v74
	;;#ASMEND
	;;#ASMSTART
	v_dot2_f32_f16 v75, v82, v24, v75
	;;#ASMEND
	s_nop 0
	;;#ASMSTART
	v_dot2_f32_f16 v75, v83, v25, v75
	;;#ASMEND
	s_nop 0
	;;#ASMSTART
	v_dot2_f32_f16 v75, v84, v26, v75
	;;#ASMEND
	s_nop 0
	;;#ASMSTART
	v_dot2_f32_f16 v75, v85, v27, v75
	;;#ASMEND
	;; [unrolled: 15-line block ×3, first 2 shown]
	s_barrier
	global_load_dwordx4 v[24:27], v[18:19], off offset:768
	global_load_dwordx4 v[28:31], v[22:23], off offset:768
	s_waitcnt vmcnt(1)
	ds_write_b128 v43, v[24:27]
	s_waitcnt vmcnt(0)
	ds_write_b128 v44, v[28:31]
	s_waitcnt lgkmcnt(0)
	s_barrier
	ds_read_b128 v[24:27], v36 offset:768
	ds_read_b128 v[28:31], v45
	ds_read_b128 v[82:85], v45 offset:4608
	ds_read_b128 v[86:89], v36 offset:1792
	s_waitcnt lgkmcnt(2)
	;;#ASMSTART
	v_dot2_f32_f16 v73, v28, v24, v73
	;;#ASMEND
	s_nop 0
	;;#ASMSTART
	v_dot2_f32_f16 v73, v29, v25, v73
	;;#ASMEND
	s_nop 0
	;; [unrolled: 4-line block ×3, first 2 shown]
	;;#ASMSTART
	v_dot2_f32_f16 v73, v31, v27, v73
	;;#ASMEND
	s_waitcnt lgkmcnt(0)
	;;#ASMSTART
	v_dot2_f32_f16 v74, v28, v86, v74
	;;#ASMEND
	s_nop 0
	;;#ASMSTART
	v_dot2_f32_f16 v74, v29, v87, v74
	;;#ASMEND
	s_nop 0
	;;#ASMSTART
	v_dot2_f32_f16 v74, v30, v88, v74
	;;#ASMEND
	s_nop 0
	;;#ASMSTART
	v_dot2_f32_f16 v74, v31, v89, v74
	;;#ASMEND
	;;#ASMSTART
	v_dot2_f32_f16 v75, v82, v24, v75
	;;#ASMEND
	s_nop 0
	;;#ASMSTART
	v_dot2_f32_f16 v75, v83, v25, v75
	;;#ASMEND
	s_nop 0
	;;#ASMSTART
	v_dot2_f32_f16 v75, v84, v26, v75
	;;#ASMEND
	s_nop 0
	;;#ASMSTART
	v_dot2_f32_f16 v75, v85, v27, v75
	;;#ASMEND
	;;#ASMSTART
	v_dot2_f32_f16 v76, v82, v86, v76
	;;#ASMEND
	s_nop 0
	;;#ASMSTART
	v_dot2_f32_f16 v76, v83, v87, v76
	;;#ASMEND
	s_nop 0
	;;#ASMSTART
	v_dot2_f32_f16 v76, v84, v88, v76
	;;#ASMEND
	s_nop 0
	;;#ASMSTART
	v_dot2_f32_f16 v76, v85, v89, v76
	;;#ASMEND
	ds_read_b128 v[24:27], v36 offset:784
	ds_read_b128 v[28:31], v45 offset:16
	;; [unrolled: 1-line block ×4, first 2 shown]
	s_waitcnt lgkmcnt(2)
	;;#ASMSTART
	v_dot2_f32_f16 v73, v28, v24, v73
	;;#ASMEND
	s_nop 0
	;;#ASMSTART
	v_dot2_f32_f16 v73, v29, v25, v73
	;;#ASMEND
	s_nop 0
	;;#ASMSTART
	v_dot2_f32_f16 v73, v30, v26, v73
	;;#ASMEND
	s_nop 0
	;;#ASMSTART
	v_dot2_f32_f16 v73, v31, v27, v73
	;;#ASMEND
	s_waitcnt lgkmcnt(0)
	;;#ASMSTART
	v_dot2_f32_f16 v74, v28, v86, v74
	;;#ASMEND
	s_nop 0
	;;#ASMSTART
	v_dot2_f32_f16 v74, v29, v87, v74
	;;#ASMEND
	s_nop 0
	;;#ASMSTART
	v_dot2_f32_f16 v74, v30, v88, v74
	;;#ASMEND
	s_nop 0
	;;#ASMSTART
	v_dot2_f32_f16 v74, v31, v89, v74
	;;#ASMEND
	;;#ASMSTART
	v_dot2_f32_f16 v75, v82, v24, v75
	;;#ASMEND
	s_nop 0
	;;#ASMSTART
	v_dot2_f32_f16 v75, v83, v25, v75
	;;#ASMEND
	s_nop 0
	;;#ASMSTART
	v_dot2_f32_f16 v75, v84, v26, v75
	;;#ASMEND
	s_nop 0
	;;#ASMSTART
	v_dot2_f32_f16 v75, v85, v27, v75
	;;#ASMEND
	;; [unrolled: 15-line block ×3, first 2 shown]
	ds_read_b128 v[24:27], v36 offset:800
	ds_read_b128 v[28:31], v45 offset:32
	ds_read_b128 v[82:85], v45 offset:4640
	ds_read_b128 v[86:89], v36 offset:1824
	s_waitcnt lgkmcnt(2)
	;;#ASMSTART
	v_dot2_f32_f16 v73, v28, v24, v73
	;;#ASMEND
	s_nop 0
	;;#ASMSTART
	v_dot2_f32_f16 v73, v29, v25, v73
	;;#ASMEND
	s_nop 0
	;; [unrolled: 4-line block ×3, first 2 shown]
	;;#ASMSTART
	v_dot2_f32_f16 v73, v31, v27, v73
	;;#ASMEND
	s_waitcnt lgkmcnt(0)
	;;#ASMSTART
	v_dot2_f32_f16 v74, v28, v86, v74
	;;#ASMEND
	s_nop 0
	;;#ASMSTART
	v_dot2_f32_f16 v74, v29, v87, v74
	;;#ASMEND
	s_nop 0
	;;#ASMSTART
	v_dot2_f32_f16 v74, v30, v88, v74
	;;#ASMEND
	s_nop 0
	;;#ASMSTART
	v_dot2_f32_f16 v74, v31, v89, v74
	;;#ASMEND
	;;#ASMSTART
	v_dot2_f32_f16 v75, v82, v24, v75
	;;#ASMEND
	s_nop 0
	;;#ASMSTART
	v_dot2_f32_f16 v75, v83, v25, v75
	;;#ASMEND
	s_nop 0
	;;#ASMSTART
	v_dot2_f32_f16 v75, v84, v26, v75
	;;#ASMEND
	s_nop 0
	;;#ASMSTART
	v_dot2_f32_f16 v75, v85, v27, v75
	;;#ASMEND
	;; [unrolled: 15-line block ×3, first 2 shown]
	ds_read_b128 v[24:27], v36 offset:816
	ds_read_b128 v[28:31], v45 offset:48
	ds_read_b128 v[82:85], v45 offset:4656
	ds_read_b128 v[86:89], v36 offset:1840
	s_waitcnt lgkmcnt(2)
	;;#ASMSTART
	v_dot2_f32_f16 v73, v28, v24, v73
	;;#ASMEND
	s_nop 0
	;;#ASMSTART
	v_dot2_f32_f16 v73, v29, v25, v73
	;;#ASMEND
	s_nop 0
	;; [unrolled: 4-line block ×3, first 2 shown]
	;;#ASMSTART
	v_dot2_f32_f16 v73, v31, v27, v73
	;;#ASMEND
	s_waitcnt lgkmcnt(0)
	;;#ASMSTART
	v_dot2_f32_f16 v74, v28, v86, v74
	;;#ASMEND
	s_nop 0
	;;#ASMSTART
	v_dot2_f32_f16 v74, v29, v87, v74
	;;#ASMEND
	s_nop 0
	;;#ASMSTART
	v_dot2_f32_f16 v74, v30, v88, v74
	;;#ASMEND
	s_nop 0
	;;#ASMSTART
	v_dot2_f32_f16 v74, v31, v89, v74
	;;#ASMEND
	;;#ASMSTART
	v_dot2_f32_f16 v75, v82, v24, v75
	;;#ASMEND
	s_nop 0
	;;#ASMSTART
	v_dot2_f32_f16 v75, v83, v25, v75
	;;#ASMEND
	s_nop 0
	;;#ASMSTART
	v_dot2_f32_f16 v75, v84, v26, v75
	;;#ASMEND
	s_nop 0
	;;#ASMSTART
	v_dot2_f32_f16 v75, v85, v27, v75
	;;#ASMEND
	;; [unrolled: 15-line block ×3, first 2 shown]
	ds_read_b128 v[24:27], v36 offset:832
	ds_read_b128 v[28:31], v45 offset:64
	;; [unrolled: 1-line block ×4, first 2 shown]
	s_waitcnt lgkmcnt(2)
	;;#ASMSTART
	v_dot2_f32_f16 v73, v28, v24, v73
	;;#ASMEND
	s_nop 0
	;;#ASMSTART
	v_dot2_f32_f16 v73, v29, v25, v73
	;;#ASMEND
	s_nop 0
	;; [unrolled: 4-line block ×3, first 2 shown]
	;;#ASMSTART
	v_dot2_f32_f16 v73, v31, v27, v73
	;;#ASMEND
	s_waitcnt lgkmcnt(0)
	;;#ASMSTART
	v_dot2_f32_f16 v74, v28, v86, v74
	;;#ASMEND
	s_nop 0
	;;#ASMSTART
	v_dot2_f32_f16 v74, v29, v87, v74
	;;#ASMEND
	s_nop 0
	;;#ASMSTART
	v_dot2_f32_f16 v74, v30, v88, v74
	;;#ASMEND
	s_nop 0
	;;#ASMSTART
	v_dot2_f32_f16 v74, v31, v89, v74
	;;#ASMEND
	;;#ASMSTART
	v_dot2_f32_f16 v75, v82, v24, v75
	;;#ASMEND
	s_nop 0
	;;#ASMSTART
	v_dot2_f32_f16 v75, v83, v25, v75
	;;#ASMEND
	s_nop 0
	;;#ASMSTART
	v_dot2_f32_f16 v75, v84, v26, v75
	;;#ASMEND
	s_nop 0
	;;#ASMSTART
	v_dot2_f32_f16 v75, v85, v27, v75
	;;#ASMEND
	;; [unrolled: 15-line block ×3, first 2 shown]
	ds_read_b128 v[24:27], v36 offset:848
	ds_read_b128 v[28:31], v45 offset:80
	;; [unrolled: 1-line block ×4, first 2 shown]
	s_waitcnt lgkmcnt(2)
	;;#ASMSTART
	v_dot2_f32_f16 v73, v28, v24, v73
	;;#ASMEND
	s_nop 0
	;;#ASMSTART
	v_dot2_f32_f16 v73, v29, v25, v73
	;;#ASMEND
	s_nop 0
	;; [unrolled: 4-line block ×3, first 2 shown]
	;;#ASMSTART
	v_dot2_f32_f16 v73, v31, v27, v73
	;;#ASMEND
	s_waitcnt lgkmcnt(0)
	;;#ASMSTART
	v_dot2_f32_f16 v74, v28, v86, v74
	;;#ASMEND
	s_nop 0
	;;#ASMSTART
	v_dot2_f32_f16 v74, v29, v87, v74
	;;#ASMEND
	s_nop 0
	;;#ASMSTART
	v_dot2_f32_f16 v74, v30, v88, v74
	;;#ASMEND
	s_nop 0
	;;#ASMSTART
	v_dot2_f32_f16 v74, v31, v89, v74
	;;#ASMEND
	;;#ASMSTART
	v_dot2_f32_f16 v75, v82, v24, v75
	;;#ASMEND
	s_nop 0
	;;#ASMSTART
	v_dot2_f32_f16 v75, v83, v25, v75
	;;#ASMEND
	s_nop 0
	;;#ASMSTART
	v_dot2_f32_f16 v75, v84, v26, v75
	;;#ASMEND
	s_nop 0
	;;#ASMSTART
	v_dot2_f32_f16 v75, v85, v27, v75
	;;#ASMEND
	;; [unrolled: 15-line block ×3, first 2 shown]
	ds_read_b128 v[24:27], v36 offset:864
	ds_read_b128 v[28:31], v45 offset:96
	;; [unrolled: 1-line block ×4, first 2 shown]
	s_waitcnt lgkmcnt(2)
	;;#ASMSTART
	v_dot2_f32_f16 v73, v28, v24, v73
	;;#ASMEND
	s_nop 0
	;;#ASMSTART
	v_dot2_f32_f16 v73, v29, v25, v73
	;;#ASMEND
	s_nop 0
	;;#ASMSTART
	v_dot2_f32_f16 v73, v30, v26, v73
	;;#ASMEND
	s_nop 0
	;;#ASMSTART
	v_dot2_f32_f16 v73, v31, v27, v73
	;;#ASMEND
	s_waitcnt lgkmcnt(0)
	;;#ASMSTART
	v_dot2_f32_f16 v74, v28, v86, v74
	;;#ASMEND
	s_nop 0
	;;#ASMSTART
	v_dot2_f32_f16 v74, v29, v87, v74
	;;#ASMEND
	s_nop 0
	;;#ASMSTART
	v_dot2_f32_f16 v74, v30, v88, v74
	;;#ASMEND
	s_nop 0
	;;#ASMSTART
	v_dot2_f32_f16 v74, v31, v89, v74
	;;#ASMEND
	;;#ASMSTART
	v_dot2_f32_f16 v75, v82, v24, v75
	;;#ASMEND
	s_nop 0
	;;#ASMSTART
	v_dot2_f32_f16 v75, v83, v25, v75
	;;#ASMEND
	s_nop 0
	;;#ASMSTART
	v_dot2_f32_f16 v75, v84, v26, v75
	;;#ASMEND
	s_nop 0
	;;#ASMSTART
	v_dot2_f32_f16 v75, v85, v27, v75
	;;#ASMEND
	;; [unrolled: 15-line block ×3, first 2 shown]
	ds_read_b128 v[24:27], v36 offset:880
	ds_read_b128 v[28:31], v45 offset:112
	;; [unrolled: 1-line block ×4, first 2 shown]
	s_waitcnt lgkmcnt(2)
	;;#ASMSTART
	v_dot2_f32_f16 v73, v28, v24, v73
	;;#ASMEND
	s_nop 0
	;;#ASMSTART
	v_dot2_f32_f16 v73, v29, v25, v73
	;;#ASMEND
	s_nop 0
	;; [unrolled: 4-line block ×3, first 2 shown]
	;;#ASMSTART
	v_dot2_f32_f16 v73, v31, v27, v73
	;;#ASMEND
	s_waitcnt lgkmcnt(0)
	;;#ASMSTART
	v_dot2_f32_f16 v74, v28, v86, v74
	;;#ASMEND
	s_nop 0
	;;#ASMSTART
	v_dot2_f32_f16 v74, v29, v87, v74
	;;#ASMEND
	s_nop 0
	;; [unrolled: 4-line block ×3, first 2 shown]
	;;#ASMSTART
	v_dot2_f32_f16 v74, v31, v89, v74
	;;#ASMEND
	;;#ASMSTART
	v_dot2_f32_f16 v75, v82, v24, v75
	;;#ASMEND
	v_lshl_add_u64 v[30:31], s[14:15], 2, v[16:17]
	;;#ASMSTART
	v_dot2_f32_f16 v75, v83, v25, v75
	;;#ASMEND
	s_nop 0
	;;#ASMSTART
	v_dot2_f32_f16 v75, v84, v26, v75
	;;#ASMEND
	s_nop 0
	;;#ASMSTART
	v_dot2_f32_f16 v75, v85, v27, v75
	;;#ASMEND
	;;#ASMSTART
	v_dot2_f32_f16 v76, v82, v86, v76
	;;#ASMEND
	s_nop 0
	;;#ASMSTART
	v_dot2_f32_f16 v76, v83, v87, v76
	;;#ASMEND
	s_nop 0
	;; [unrolled: 4-line block ×3, first 2 shown]
	;;#ASMSTART
	v_dot2_f32_f16 v76, v85, v89, v76
	;;#ASMEND
	s_barrier
	global_load_dwordx4 v[24:27], v[18:19], off offset:896
	global_load_dwordx4 v[82:85], v[22:23], off offset:896
	s_waitcnt vmcnt(1)
	ds_write_b128 v43, v[24:27]
	s_waitcnt vmcnt(0)
	ds_write_b128 v44, v[82:85]
	s_waitcnt lgkmcnt(0)
	s_barrier
	ds_read_b128 v[22:25], v36 offset:896
	ds_read_b128 v[26:29], v45
	ds_read_b128 v[82:85], v45 offset:4608
	ds_read_b128 v[86:89], v36 offset:1920
	s_waitcnt lgkmcnt(2)
	;;#ASMSTART
	v_dot2_f32_f16 v73, v26, v22, v73
	;;#ASMEND
	s_nop 0
	;;#ASMSTART
	v_dot2_f32_f16 v73, v27, v23, v73
	;;#ASMEND
	s_nop 0
	;; [unrolled: 4-line block ×3, first 2 shown]
	;;#ASMSTART
	v_dot2_f32_f16 v73, v29, v25, v73
	;;#ASMEND
	s_waitcnt lgkmcnt(0)
	;;#ASMSTART
	v_dot2_f32_f16 v74, v26, v86, v74
	;;#ASMEND
	s_nop 0
	;;#ASMSTART
	v_dot2_f32_f16 v74, v27, v87, v74
	;;#ASMEND
	s_nop 0
	;;#ASMSTART
	v_dot2_f32_f16 v74, v28, v88, v74
	;;#ASMEND
	s_nop 0
	;;#ASMSTART
	v_dot2_f32_f16 v74, v29, v89, v74
	;;#ASMEND
	;;#ASMSTART
	v_dot2_f32_f16 v75, v82, v22, v75
	;;#ASMEND
	s_nop 0
	;;#ASMSTART
	v_dot2_f32_f16 v75, v83, v23, v75
	;;#ASMEND
	s_nop 0
	;;#ASMSTART
	v_dot2_f32_f16 v75, v84, v24, v75
	;;#ASMEND
	s_nop 0
	;;#ASMSTART
	v_dot2_f32_f16 v75, v85, v25, v75
	;;#ASMEND
	;; [unrolled: 15-line block ×3, first 2 shown]
	ds_read_b128 v[22:25], v36 offset:912
	ds_read_b128 v[26:29], v45 offset:16
	;; [unrolled: 1-line block ×4, first 2 shown]
	s_waitcnt lgkmcnt(2)
	;;#ASMSTART
	v_dot2_f32_f16 v73, v26, v22, v73
	;;#ASMEND
	s_nop 0
	;;#ASMSTART
	v_dot2_f32_f16 v73, v27, v23, v73
	;;#ASMEND
	s_nop 0
	;; [unrolled: 4-line block ×3, first 2 shown]
	;;#ASMSTART
	v_dot2_f32_f16 v73, v29, v25, v73
	;;#ASMEND
	s_waitcnt lgkmcnt(0)
	;;#ASMSTART
	v_dot2_f32_f16 v74, v26, v86, v74
	;;#ASMEND
	s_nop 0
	;;#ASMSTART
	v_dot2_f32_f16 v74, v27, v87, v74
	;;#ASMEND
	s_nop 0
	;;#ASMSTART
	v_dot2_f32_f16 v74, v28, v88, v74
	;;#ASMEND
	s_nop 0
	;;#ASMSTART
	v_dot2_f32_f16 v74, v29, v89, v74
	;;#ASMEND
	;;#ASMSTART
	v_dot2_f32_f16 v75, v82, v22, v75
	;;#ASMEND
	s_nop 0
	;;#ASMSTART
	v_dot2_f32_f16 v75, v83, v23, v75
	;;#ASMEND
	s_nop 0
	;;#ASMSTART
	v_dot2_f32_f16 v75, v84, v24, v75
	;;#ASMEND
	s_nop 0
	;;#ASMSTART
	v_dot2_f32_f16 v75, v85, v25, v75
	;;#ASMEND
	;; [unrolled: 15-line block ×3, first 2 shown]
	ds_read_b128 v[22:25], v36 offset:928
	ds_read_b128 v[26:29], v45 offset:32
	;; [unrolled: 1-line block ×4, first 2 shown]
	s_waitcnt lgkmcnt(2)
	;;#ASMSTART
	v_dot2_f32_f16 v73, v26, v22, v73
	;;#ASMEND
	s_nop 0
	;;#ASMSTART
	v_dot2_f32_f16 v73, v27, v23, v73
	;;#ASMEND
	s_nop 0
	;; [unrolled: 4-line block ×3, first 2 shown]
	;;#ASMSTART
	v_dot2_f32_f16 v73, v29, v25, v73
	;;#ASMEND
	s_waitcnt lgkmcnt(0)
	;;#ASMSTART
	v_dot2_f32_f16 v74, v26, v86, v74
	;;#ASMEND
	s_nop 0
	;;#ASMSTART
	v_dot2_f32_f16 v74, v27, v87, v74
	;;#ASMEND
	s_nop 0
	;;#ASMSTART
	v_dot2_f32_f16 v74, v28, v88, v74
	;;#ASMEND
	s_nop 0
	;;#ASMSTART
	v_dot2_f32_f16 v74, v29, v89, v74
	;;#ASMEND
	;;#ASMSTART
	v_dot2_f32_f16 v75, v82, v22, v75
	;;#ASMEND
	s_nop 0
	;;#ASMSTART
	v_dot2_f32_f16 v75, v83, v23, v75
	;;#ASMEND
	s_nop 0
	;;#ASMSTART
	v_dot2_f32_f16 v75, v84, v24, v75
	;;#ASMEND
	s_nop 0
	;;#ASMSTART
	v_dot2_f32_f16 v75, v85, v25, v75
	;;#ASMEND
	;; [unrolled: 15-line block ×3, first 2 shown]
	ds_read_b128 v[22:25], v36 offset:944
	ds_read_b128 v[26:29], v45 offset:48
	;; [unrolled: 1-line block ×4, first 2 shown]
	s_waitcnt lgkmcnt(2)
	;;#ASMSTART
	v_dot2_f32_f16 v73, v26, v22, v73
	;;#ASMEND
	s_nop 0
	;;#ASMSTART
	v_dot2_f32_f16 v73, v27, v23, v73
	;;#ASMEND
	s_nop 0
	;; [unrolled: 4-line block ×3, first 2 shown]
	;;#ASMSTART
	v_dot2_f32_f16 v73, v29, v25, v73
	;;#ASMEND
	s_waitcnt lgkmcnt(0)
	;;#ASMSTART
	v_dot2_f32_f16 v74, v26, v86, v74
	;;#ASMEND
	s_nop 0
	;;#ASMSTART
	v_dot2_f32_f16 v74, v27, v87, v74
	;;#ASMEND
	s_nop 0
	;;#ASMSTART
	v_dot2_f32_f16 v74, v28, v88, v74
	;;#ASMEND
	s_nop 0
	;;#ASMSTART
	v_dot2_f32_f16 v74, v29, v89, v74
	;;#ASMEND
	;;#ASMSTART
	v_dot2_f32_f16 v75, v82, v22, v75
	;;#ASMEND
	s_nop 0
	;;#ASMSTART
	v_dot2_f32_f16 v75, v83, v23, v75
	;;#ASMEND
	s_nop 0
	;;#ASMSTART
	v_dot2_f32_f16 v75, v84, v24, v75
	;;#ASMEND
	s_nop 0
	;;#ASMSTART
	v_dot2_f32_f16 v75, v85, v25, v75
	;;#ASMEND
	;;#ASMSTART
	v_dot2_f32_f16 v76, v82, v86, v76
	;;#ASMEND
	s_nop 0
	;;#ASMSTART
	v_dot2_f32_f16 v76, v83, v87, v76
	;;#ASMEND
	s_nop 0
	;;#ASMSTART
	v_dot2_f32_f16 v76, v84, v88, v76
	;;#ASMEND
	s_nop 0
	;;#ASMSTART
	v_dot2_f32_f16 v76, v85, v89, v76
	;;#ASMEND
	ds_read_b128 v[22:25], v36 offset:960
	ds_read_b128 v[26:29], v45 offset:64
	;; [unrolled: 1-line block ×4, first 2 shown]
	s_waitcnt lgkmcnt(2)
	;;#ASMSTART
	v_dot2_f32_f16 v73, v26, v22, v73
	;;#ASMEND
	s_nop 0
	;;#ASMSTART
	v_dot2_f32_f16 v73, v27, v23, v73
	;;#ASMEND
	s_nop 0
	;; [unrolled: 4-line block ×3, first 2 shown]
	;;#ASMSTART
	v_dot2_f32_f16 v73, v29, v25, v73
	;;#ASMEND
	s_waitcnt lgkmcnt(0)
	;;#ASMSTART
	v_dot2_f32_f16 v74, v26, v86, v74
	;;#ASMEND
	s_nop 0
	;;#ASMSTART
	v_dot2_f32_f16 v74, v27, v87, v74
	;;#ASMEND
	s_nop 0
	;;#ASMSTART
	v_dot2_f32_f16 v74, v28, v88, v74
	;;#ASMEND
	s_nop 0
	;;#ASMSTART
	v_dot2_f32_f16 v74, v29, v89, v74
	;;#ASMEND
	;;#ASMSTART
	v_dot2_f32_f16 v75, v82, v22, v75
	;;#ASMEND
	s_nop 0
	;;#ASMSTART
	v_dot2_f32_f16 v75, v83, v23, v75
	;;#ASMEND
	s_nop 0
	;;#ASMSTART
	v_dot2_f32_f16 v75, v84, v24, v75
	;;#ASMEND
	s_nop 0
	;;#ASMSTART
	v_dot2_f32_f16 v75, v85, v25, v75
	;;#ASMEND
	;; [unrolled: 15-line block ×3, first 2 shown]
	ds_read_b128 v[22:25], v36 offset:976
	ds_read_b128 v[26:29], v45 offset:80
	;; [unrolled: 1-line block ×4, first 2 shown]
	s_waitcnt lgkmcnt(2)
	;;#ASMSTART
	v_dot2_f32_f16 v73, v26, v22, v73
	;;#ASMEND
	s_nop 0
	;;#ASMSTART
	v_dot2_f32_f16 v73, v27, v23, v73
	;;#ASMEND
	s_nop 0
	;; [unrolled: 4-line block ×3, first 2 shown]
	;;#ASMSTART
	v_dot2_f32_f16 v73, v29, v25, v73
	;;#ASMEND
	s_waitcnt lgkmcnt(0)
	;;#ASMSTART
	v_dot2_f32_f16 v74, v26, v86, v74
	;;#ASMEND
	s_nop 0
	;;#ASMSTART
	v_dot2_f32_f16 v74, v27, v87, v74
	;;#ASMEND
	s_nop 0
	;;#ASMSTART
	v_dot2_f32_f16 v74, v28, v88, v74
	;;#ASMEND
	s_nop 0
	;;#ASMSTART
	v_dot2_f32_f16 v74, v29, v89, v74
	;;#ASMEND
	;;#ASMSTART
	v_dot2_f32_f16 v75, v82, v22, v75
	;;#ASMEND
	s_nop 0
	;;#ASMSTART
	v_dot2_f32_f16 v75, v83, v23, v75
	;;#ASMEND
	s_nop 0
	;;#ASMSTART
	v_dot2_f32_f16 v75, v84, v24, v75
	;;#ASMEND
	s_nop 0
	;;#ASMSTART
	v_dot2_f32_f16 v75, v85, v25, v75
	;;#ASMEND
	;; [unrolled: 15-line block ×3, first 2 shown]
	ds_read_b128 v[22:25], v36 offset:992
	ds_read_b128 v[26:29], v45 offset:96
	;; [unrolled: 1-line block ×4, first 2 shown]
	s_waitcnt lgkmcnt(2)
	;;#ASMSTART
	v_dot2_f32_f16 v73, v26, v22, v73
	;;#ASMEND
	s_nop 0
	;;#ASMSTART
	v_dot2_f32_f16 v73, v27, v23, v73
	;;#ASMEND
	s_nop 0
	;; [unrolled: 4-line block ×3, first 2 shown]
	;;#ASMSTART
	v_dot2_f32_f16 v73, v29, v25, v73
	;;#ASMEND
	s_waitcnt lgkmcnt(0)
	;;#ASMSTART
	v_dot2_f32_f16 v74, v26, v86, v74
	;;#ASMEND
	s_nop 0
	;;#ASMSTART
	v_dot2_f32_f16 v74, v27, v87, v74
	;;#ASMEND
	s_nop 0
	;;#ASMSTART
	v_dot2_f32_f16 v74, v28, v88, v74
	;;#ASMEND
	s_nop 0
	;;#ASMSTART
	v_dot2_f32_f16 v74, v29, v89, v74
	;;#ASMEND
	;;#ASMSTART
	v_dot2_f32_f16 v75, v82, v22, v75
	;;#ASMEND
	s_nop 0
	;;#ASMSTART
	v_dot2_f32_f16 v75, v83, v23, v75
	;;#ASMEND
	s_nop 0
	;;#ASMSTART
	v_dot2_f32_f16 v75, v84, v24, v75
	;;#ASMEND
	s_nop 0
	;;#ASMSTART
	v_dot2_f32_f16 v75, v85, v25, v75
	;;#ASMEND
	;; [unrolled: 15-line block ×3, first 2 shown]
	ds_read_b128 v[22:25], v36 offset:1008
	ds_read_b128 v[26:29], v45 offset:112
	;; [unrolled: 1-line block ×4, first 2 shown]
	s_waitcnt lgkmcnt(2)
	;;#ASMSTART
	v_dot2_f32_f16 v73, v26, v22, v73
	;;#ASMEND
	s_nop 0
	;;#ASMSTART
	v_dot2_f32_f16 v73, v27, v23, v73
	;;#ASMEND
	s_nop 0
	;;#ASMSTART
	v_dot2_f32_f16 v73, v28, v24, v73
	;;#ASMEND
	s_nop 0
	;;#ASMSTART
	v_dot2_f32_f16 v73, v29, v25, v73
	;;#ASMEND
	s_waitcnt lgkmcnt(0)
	;;#ASMSTART
	v_dot2_f32_f16 v74, v26, v86, v74
	;;#ASMEND
	s_nop 0
	;;#ASMSTART
	v_dot2_f32_f16 v74, v27, v87, v74
	;;#ASMEND
	v_lshl_add_u64 v[26:27], s[10:11], 2, v[16:17]
	;;#ASMSTART
	v_dot2_f32_f16 v74, v28, v88, v74
	;;#ASMEND
	s_nop 0
	;;#ASMSTART
	v_dot2_f32_f16 v74, v29, v89, v74
	;;#ASMEND
	;;#ASMSTART
	v_dot2_f32_f16 v75, v82, v22, v75
	;;#ASMEND
	v_lshl_add_u64 v[28:29], s[8:9], 2, v[16:17]
	;;#ASMSTART
	v_dot2_f32_f16 v75, v83, v23, v75
	;;#ASMEND
	v_lshl_add_u64 v[22:23], s[6:7], 2, v[16:17]
	;;#ASMSTART
	v_dot2_f32_f16 v75, v84, v24, v75
	;;#ASMEND
	s_nop 0
	;;#ASMSTART
	v_dot2_f32_f16 v75, v85, v25, v75
	;;#ASMEND
	;;#ASMSTART
	v_dot2_f32_f16 v76, v82, v86, v76
	;;#ASMEND
	v_lshl_add_u64 v[24:25], s[4:5], 2, v[16:17]
	;;#ASMSTART
	v_dot2_f32_f16 v76, v83, v87, v76
	;;#ASMEND
	s_nop 0
	;;#ASMSTART
	v_dot2_f32_f16 v76, v84, v88, v76
	;;#ASMEND
	s_nop 0
	;;#ASMSTART
	v_dot2_f32_f16 v76, v85, v89, v76
	;;#ASMEND
	global_load_ushort v18, v[2:3], off
	global_load_ushort v19, v[2:3], off offset:64
	s_barrier
	global_load_dwordx4 v[82:85], v[0:1], off
	global_load_dwordx4 v[86:89], v[0:1], off offset:512
	s_waitcnt vmcnt(3)
	v_cvt_f32_f16_e32 v0, v18
	s_waitcnt vmcnt(2)
	v_cvt_f32_f16_e32 v1, v19
	v_add_f32_e32 v2, v73, v0
	v_add_f32_e32 v3, v75, v1
	;; [unrolled: 1-line block ×8, first 2 shown]
	v_max3_f32 v18, v72, v18, v19
	v_max3_f32 v19, v71, v73, v74
	ds_bpermute_b32 v73, v81, v18
	ds_bpermute_b32 v74, v81, v19
	s_waitcnt lgkmcnt(1)
	v_max_f32_e32 v73, v73, v73
	v_max_f32_e32 v18, v18, v73
	ds_bpermute_b32 v73, v80, v18
	s_waitcnt lgkmcnt(1)
	v_max_f32_e32 v74, v74, v74
	v_max_f32_e32 v19, v19, v74
	;; [unrolled: 4-line block ×9, first 2 shown]
	v_sub_f32_e32 v2, v2, v18
	s_waitcnt lgkmcnt(0)
	v_max_f32_e32 v74, v74, v74
	v_sub_f32_e32 v3, v3, v18
	v_mul_f32_e32 v73, 0x3fb8aa3b, v2
	v_max_f32_e32 v19, v19, v74
	v_sub_f32_e32 v72, v72, v18
	v_mul_f32_e32 v74, 0x3fb8aa3b, v3
	v_fma_f32 v79, v2, s40, -v73
	v_sub_f32_e32 v0, v0, v19
	v_mul_f32_e32 v75, 0x3fb8aa3b, v72
	v_cmp_ngt_f32_e64 s[12:13], s41, v2
	v_cmp_nlt_f32_e64 s[24:25], s42, v2
	v_fmac_f32_e32 v79, 0x32a5705f, v2
	v_fma_f32 v2, v3, s40, -v74
	v_sub_f32_e32 v1, v1, v19
	v_mul_f32_e32 v76, 0x3fb8aa3b, v0
	v_cmp_ngt_f32_e32 vcc, s41, v3
	v_cmp_nlt_f32_e64 s[14:15], s42, v3
	v_fmac_f32_e32 v2, 0x32a5705f, v3
	v_fma_f32 v3, v72, s40, -v75
	v_sub_f32_e32 v71, v71, v19
	v_mul_f32_e32 v77, 0x3fb8aa3b, v1
	v_cmp_ngt_f32_e64 s[4:5], s41, v72
	v_cmp_nlt_f32_e64 s[16:17], s42, v72
	v_fmac_f32_e32 v3, 0x32a5705f, v72
	v_fma_f32 v72, v0, s40, -v76
	v_mul_f32_e32 v78, 0x3fb8aa3b, v71
	v_cmp_ngt_f32_e64 s[6:7], s41, v0
	v_cmp_nlt_f32_e64 s[18:19], s42, v0
	v_fmac_f32_e32 v72, 0x32a5705f, v0
	v_fma_f32 v0, v1, s40, -v77
	v_cmp_ngt_f32_e64 s[8:9], s41, v1
	v_cmp_nlt_f32_e64 s[20:21], s42, v1
	v_fmac_f32_e32 v0, 0x32a5705f, v1
	v_fma_f32 v1, v71, s40, -v78
	v_cmp_ngt_f32_e64 s[10:11], s41, v71
	v_cmp_nlt_f32_e64 s[22:23], s42, v71
	v_fmac_f32_e32 v1, 0x32a5705f, v71
	v_rndne_f32_e32 v71, v73
	v_sub_f32_e32 v73, v73, v71
	v_add_f32_e32 v73, v73, v79
	v_rndne_f32_e32 v79, v74
	v_sub_f32_e32 v74, v74, v79
	v_add_f32_e32 v2, v74, v2
	;; [unrolled: 3-line block ×6, first 2 shown]
	v_cvt_i32_f32_e32 v71, v71
	v_cvt_i32_f32_e32 v79, v79
	v_cvt_i32_f32_e32 v74, v74
	v_cvt_i32_f32_e32 v75, v75
	v_cvt_i32_f32_e32 v76, v76
	v_cvt_i32_f32_e32 v77, v77
	v_exp_f32_e32 v73, v73
	v_exp_f32_e32 v2, v2
	;; [unrolled: 1-line block ×6, first 2 shown]
	v_ldexp_f32 v71, v73, v71
	v_ldexp_f32 v2, v2, v79
	;; [unrolled: 1-line block ×6, first 2 shown]
	v_cndmask_b32_e64 v71, 0, v71, s[12:13]
	v_cndmask_b32_e32 v2, 0, v2, vcc
	v_cndmask_b32_e64 v3, 0, v3, s[4:5]
	v_cndmask_b32_e64 v73, 0, v72, s[6:7]
	;; [unrolled: 1-line block ×10, first 2 shown]
	v_cvt_f16_f32_e32 v71, v72
	v_pk_add_f32 v[74:75], v[0:1], v[2:3]
	v_cvt_f16_f32_e32 v90, v73
	v_cvt_pk_f16_f32 v0, v0, v1
	v_cvt_pk_f16_f32 v1, v2, v3
	v_pk_fma_f32 v[6:7], v[6:7], v[72:73], v[74:75]
	ds_write2_b32 v51, v0, v1 offset1:32
	s_waitcnt vmcnt(1)
	ds_write_b128 v47, v[82:85]
	s_waitcnt vmcnt(0)
	ds_write_b128 v48, v[86:89]
	s_waitcnt lgkmcnt(0)
	s_barrier
	ds_read2_b64 v[0:3], v49 offset1:32
	ds_read2_b64 v[72:75], v49 offset0:64 offset1:96
	ds_read_b128 v[76:79], v46
	ds_read_b128 v[80:83], v46 offset:16
	v_mul_u32_u24_e32 v71, 0x10001, v71
	v_mul_u32_u24_e32 v84, 0x10001, v90
	v_pk_mul_f16 v69, v69, v71
	v_pk_mul_f16 v67, v67, v71
	;; [unrolled: 1-line block ×8, first 2 shown]
	s_waitcnt lgkmcnt(1)
	v_mul_u32_u24_sdwa v85, v76, s43 dst_sel:DWORD dst_unused:UNUSED_PAD src0_sel:WORD_0 src1_sel:DWORD
	v_mul_u32_u24_sdwa v76, v76, s43 dst_sel:DWORD dst_unused:UNUSED_PAD src0_sel:WORD_1 src1_sel:DWORD
	v_pk_mul_f16 v70, v70, v71
	v_pk_mul_f16 v68, v68, v71
	;; [unrolled: 1-line block ×6, first 2 shown]
	v_pk_fma_f16 v69, v72, v85, v69
	v_pk_fma_f16 v61, v72, v76, v61
	;; [unrolled: 1-line block ×8, first 2 shown]
	ds_read2_b64 v[72:75], v49 offset0:192 offset1:224
	v_pk_fma_f16 v70, v1, v85, v70
	v_pk_fma_f16 v68, v2, v85, v68
	;; [unrolled: 1-line block ×3, first 2 shown]
	v_pk_mul_f16 v85, v0, v85
	v_pk_fma_f16 v86, v1, v76, v62
	v_pk_fma_f16 v87, v2, v76, v60
	;; [unrolled: 1-line block ×3, first 2 shown]
	v_pk_mul_f16 v62, v0, v76
	ds_read2_b64 v[0:3], v49 offset0:128 offset1:160
	v_mul_u32_u24_sdwa v76, v77, s43 dst_sel:DWORD dst_unused:UNUSED_PAD src0_sel:WORD_0 src1_sel:DWORD
	v_pk_fma_f16 v65, v65, v71, v85
	v_mul_u32_u24_sdwa v71, v77, s43 dst_sel:DWORD dst_unused:UNUSED_PAD src0_sel:WORD_1 src1_sel:DWORD
	s_waitcnt lgkmcnt(1)
	v_pk_fma_f16 v77, v74, v76, v64
	v_pk_fma_f16 v56, v74, v71, v56
	;; [unrolled: 1-line block ×5, first 2 shown]
	s_waitcnt lgkmcnt(0)
	v_pk_fma_f16 v75, v0, v76, v65
	ds_read2_b64 v[62:65], v52 offset0:64 offset1:96
	v_pk_fma_f16 v69, v72, v76, v69
	v_pk_fma_f16 v72, v72, v71, v61
	;; [unrolled: 1-line block ×4, first 2 shown]
	ds_read2_b64 v[58:61], v52 offset1:32
	v_pk_fma_f16 v70, v1, v76, v70
	v_pk_fma_f16 v68, v2, v76, v68
	;; [unrolled: 1-line block ×7, first 2 shown]
	v_mul_u32_u24_sdwa v71, v78, s43 dst_sel:DWORD dst_unused:UNUSED_PAD src0_sel:WORD_0 src1_sel:DWORD
	v_mul_u32_u24_sdwa v78, v78, s43 dst_sel:DWORD dst_unused:UNUSED_PAD src0_sel:WORD_1 src1_sel:DWORD
	s_waitcnt lgkmcnt(1)
	v_pk_fma_f16 v69, v62, v71, v69
	v_pk_fma_f16 v72, v62, v78, v72
	;; [unrolled: 1-line block ×8, first 2 shown]
	ds_read2_b64 v[62:65], v52 offset0:192 offset1:224
	ds_read2_b64 v[0:3], v52 offset0:128 offset1:160
	s_waitcnt lgkmcnt(2)
	v_pk_fma_f16 v70, v59, v71, v70
	v_pk_fma_f16 v68, v60, v71, v68
	v_pk_fma_f16 v66, v61, v71, v66
	v_pk_fma_f16 v71, v58, v71, v75
	v_pk_fma_f16 v75, v59, v78, v76
	v_pk_fma_f16 v76, v60, v78, v84
	v_pk_fma_f16 v84, v61, v78, v85
	v_mul_u32_u24_sdwa v85, v79, s43 dst_sel:DWORD dst_unused:UNUSED_PAD src0_sel:WORD_0 src1_sel:DWORD
	v_mul_u32_u24_sdwa v79, v79, s43 dst_sel:DWORD dst_unused:UNUSED_PAD src0_sel:WORD_1 src1_sel:DWORD
	v_pk_fma_f16 v78, v58, v78, v57
	ds_read2_b64 v[56:59], v53 offset1:32
	s_waitcnt lgkmcnt(2)
	v_pk_fma_f16 v69, v62, v85, v69
	v_pk_fma_f16 v72, v62, v79, v72
	;; [unrolled: 1-line block ×4, first 2 shown]
	ds_read2_b64 v[60:63], v53 offset0:64 offset1:96
	s_waitcnt lgkmcnt(2)
	v_pk_fma_f16 v70, v1, v85, v70
	v_pk_fma_f16 v68, v2, v85, v68
	;; [unrolled: 1-line block ×8, first 2 shown]
	ds_read2_b64 v[0:3], v53 offset0:192 offset1:224
	v_pk_fma_f16 v77, v64, v85, v77
	v_pk_fma_f16 v86, v64, v79, v86
	;; [unrolled: 1-line block ×4, first 2 shown]
	v_mul_u32_u24_sdwa v79, v80, s43 dst_sel:DWORD dst_unused:UNUSED_PAD src0_sel:WORD_0 src1_sel:DWORD
	v_mul_u32_u24_sdwa v80, v80, s43 dst_sel:DWORD dst_unused:UNUSED_PAD src0_sel:WORD_1 src1_sel:DWORD
	s_waitcnt lgkmcnt(1)
	v_pk_fma_f16 v69, v60, v79, v69
	v_pk_fma_f16 v72, v60, v80, v72
	;; [unrolled: 1-line block ×16, first 2 shown]
	v_mul_u32_u24_sdwa v56, v81, s43 dst_sel:DWORD dst_unused:UNUSED_PAD src0_sel:WORD_0 src1_sel:DWORD
	v_mul_u32_u24_sdwa v80, v81, s43 dst_sel:DWORD dst_unused:UNUSED_PAD src0_sel:WORD_1 src1_sel:DWORD
	ds_read2_b64 v[64:67], v53 offset0:128 offset1:160
	s_waitcnt lgkmcnt(1)
	v_pk_fma_f16 v69, v0, v56, v69
	v_pk_fma_f16 v72, v0, v80, v72
	;; [unrolled: 1-line block ×8, first 2 shown]
	ds_read2_b64 v[0:3], v54 offset0:64 offset1:96
	ds_read2_b64 v[60:63], v54 offset1:32
	v_mul_u32_u24_sdwa v85, v82, s43 dst_sel:DWORD dst_unused:UNUSED_PAD src0_sel:WORD_0 src1_sel:DWORD
	v_mul_u32_u24_sdwa v82, v82, s43 dst_sel:DWORD dst_unused:UNUSED_PAD src0_sel:WORD_1 src1_sel:DWORD
	s_waitcnt lgkmcnt(2)
	v_pk_fma_f16 v70, v65, v56, v70
	v_pk_fma_f16 v68, v66, v56, v68
	;; [unrolled: 1-line block ×4, first 2 shown]
	ds_read2_b64 v[56:59], v54 offset0:128 offset1:160
	v_pk_fma_f16 v75, v65, v80, v75
	v_pk_fma_f16 v76, v66, v80, v76
	;; [unrolled: 1-line block ×4, first 2 shown]
	ds_read2_b64 v[64:67], v54 offset0:192 offset1:224
	s_waitcnt lgkmcnt(0)
	s_barrier
	v_pk_fma_f16 v80, v0, v85, v69
	v_pk_fma_f16 v72, v0, v82, v72
	;; [unrolled: 1-line block ×8, first 2 shown]
	global_load_dwordx4 v[0:3], v[20:21], off
	v_pk_fma_f16 v88, v61, v85, v70
	v_pk_fma_f16 v89, v62, v85, v68
	;; [unrolled: 1-line block ×4, first 2 shown]
	global_load_dwordx4 v[68:71], v[20:21], off offset:512
	v_mul_u32_u24_sdwa v86, v83, s43 dst_sel:DWORD dst_unused:UNUSED_PAD src0_sel:WORD_0 src1_sel:DWORD
	v_mul_u32_u24_sdwa v83, v83, s43 dst_sel:DWORD dst_unused:UNUSED_PAD src0_sel:WORD_1 src1_sel:DWORD
	v_pk_fma_f16 v20, v61, v82, v75
	v_pk_fma_f16 v21, v62, v82, v76
	;; [unrolled: 1-line block ×20, first 2 shown]
	s_waitcnt vmcnt(1)
	ds_write_b128 v47, v[0:3]
	s_waitcnt vmcnt(0)
	ds_write_b128 v48, v[68:71]
	s_waitcnt lgkmcnt(0)
	s_barrier
	ds_read_b128 v[0:3], v46 offset:32
	ds_read2_b64 v[56:59], v49 offset1:32
	ds_read2_b64 v[60:63], v49 offset0:64 offset1:96
	ds_read_b128 v[64:67], v46 offset:48
	ds_read2_b64 v[68:71], v49 offset0:128 offset1:160
	s_waitcnt lgkmcnt(4)
	v_mul_u32_u24_sdwa v85, v0, s43 dst_sel:DWORD dst_unused:UNUSED_PAD src0_sel:WORD_0 src1_sel:DWORD
	v_mul_u32_u24_sdwa v0, v0, s43 dst_sel:DWORD dst_unused:UNUSED_PAD src0_sel:WORD_1 src1_sel:DWORD
	s_waitcnt lgkmcnt(3)
	v_pk_fma_f16 v84, v56, v85, v84
	v_pk_fma_f16 v83, v56, v0, v83
	;; [unrolled: 1-line block ×8, first 2 shown]
	ds_read2_b64 v[56:59], v49 offset0:192 offset1:224
	s_waitcnt lgkmcnt(3)
	v_pk_fma_f16 v72, v60, v0, v72
	v_pk_fma_f16 v73, v61, v0, v73
	v_pk_fma_f16 v82, v62, v0, v82
	v_pk_fma_f16 v0, v63, v0, v55
	v_mul_u32_u24_sdwa v55, v1, s43 dst_sel:DWORD dst_unused:UNUSED_PAD src0_sel:WORD_0 src1_sel:DWORD
	v_mul_u32_u24_sdwa v1, v1, s43 dst_sel:DWORD dst_unused:UNUSED_PAD src0_sel:WORD_1 src1_sel:DWORD
	v_pk_fma_f16 v80, v60, v85, v80
	v_pk_fma_f16 v81, v61, v85, v81
	;; [unrolled: 1-line block ×4, first 2 shown]
	ds_read2_b64 v[60:63], v52 offset1:32
	s_waitcnt lgkmcnt(2)
	v_pk_fma_f16 v84, v68, v55, v84
	v_pk_fma_f16 v83, v68, v1, v83
	;; [unrolled: 1-line block ×8, first 2 shown]
	ds_read2_b64 v[68:71], v52 offset0:64 offset1:96
	s_waitcnt lgkmcnt(2)
	v_pk_fma_f16 v80, v56, v55, v80
	v_pk_fma_f16 v72, v56, v1, v72
	;; [unrolled: 1-line block ×8, first 2 shown]
	ds_read2_b64 v[56:59], v52 offset0:128 offset1:160
	v_mul_u32_u24_sdwa v0, v2, s43 dst_sel:DWORD dst_unused:UNUSED_PAD src0_sel:WORD_0 src1_sel:DWORD
	v_mul_u32_u24_sdwa v85, v2, s43 dst_sel:DWORD dst_unused:UNUSED_PAD src0_sel:WORD_1 src1_sel:DWORD
	s_waitcnt lgkmcnt(2)
	v_pk_fma_f16 v84, v60, v0, v84
	v_pk_fma_f16 v83, v60, v85, v83
	;; [unrolled: 1-line block ×8, first 2 shown]
	ds_read2_b64 v[60:63], v52 offset0:192 offset1:224
	v_mul_u32_u24_sdwa v86, v3, s43 dst_sel:DWORD dst_unused:UNUSED_PAD src0_sel:WORD_0 src1_sel:DWORD
	v_mul_u32_u24_sdwa v87, v3, s43 dst_sel:DWORD dst_unused:UNUSED_PAD src0_sel:WORD_1 src1_sel:DWORD
	s_waitcnt lgkmcnt(2)
	v_pk_fma_f16 v80, v68, v0, v80
	v_pk_fma_f16 v81, v69, v0, v81
	;; [unrolled: 1-line block ×4, first 2 shown]
	ds_read2_b64 v[0:3], v53 offset1:32
	v_pk_fma_f16 v72, v68, v85, v72
	v_pk_fma_f16 v73, v69, v85, v73
	;; [unrolled: 1-line block ×4, first 2 shown]
	ds_read2_b64 v[68:71], v53 offset0:64 offset1:96
	s_waitcnt lgkmcnt(3)
	v_pk_fma_f16 v84, v56, v86, v84
	v_pk_fma_f16 v83, v56, v87, v83
	;; [unrolled: 1-line block ×8, first 2 shown]
	ds_read2_b64 v[56:59], v53 offset0:128 offset1:160
	v_mul_u32_u24_sdwa v85, v64, s43 dst_sel:DWORD dst_unused:UNUSED_PAD src0_sel:WORD_0 src1_sel:DWORD
	v_mul_u32_u24_sdwa v64, v64, s43 dst_sel:DWORD dst_unused:UNUSED_PAD src0_sel:WORD_1 src1_sel:DWORD
	s_waitcnt lgkmcnt(3)
	v_pk_fma_f16 v80, v60, v86, v80
	v_pk_fma_f16 v72, v60, v87, v72
	;; [unrolled: 1-line block ×8, first 2 shown]
	ds_read2_b64 v[60:63], v53 offset0:192 offset1:224
	s_waitcnt lgkmcnt(3)
	v_pk_fma_f16 v84, v0, v85, v84
	v_pk_fma_f16 v83, v0, v64, v83
	;; [unrolled: 1-line block ×8, first 2 shown]
	ds_read2_b64 v[0:3], v54 offset1:32
	s_waitcnt lgkmcnt(3)
	v_pk_fma_f16 v72, v68, v64, v72
	v_pk_fma_f16 v73, v69, v64, v73
	;; [unrolled: 1-line block ×4, first 2 shown]
	v_mul_u32_u24_sdwa v74, v65, s43 dst_sel:DWORD dst_unused:UNUSED_PAD src0_sel:WORD_0 src1_sel:DWORD
	v_mul_u32_u24_sdwa v65, v65, s43 dst_sel:DWORD dst_unused:UNUSED_PAD src0_sel:WORD_1 src1_sel:DWORD
	v_pk_fma_f16 v80, v68, v85, v80
	v_pk_fma_f16 v81, v69, v85, v81
	;; [unrolled: 1-line block ×4, first 2 shown]
	s_waitcnt lgkmcnt(2)
	v_pk_fma_f16 v84, v56, v74, v84
	v_pk_fma_f16 v83, v56, v65, v83
	v_pk_fma_f16 v75, v57, v74, v75
	v_pk_fma_f16 v20, v57, v65, v20
	v_pk_fma_f16 v76, v58, v74, v76
	v_pk_fma_f16 v21, v58, v65, v21
	v_pk_fma_f16 v78, v59, v74, v78
	v_pk_fma_f16 v79, v59, v65, v79
	v_mul_u32_u24_sdwa v85, v66, s43 dst_sel:DWORD dst_unused:UNUSED_PAD src0_sel:WORD_0 src1_sel:DWORD
	v_mul_u32_u24_sdwa v86, v66, s43 dst_sel:DWORD dst_unused:UNUSED_PAD src0_sel:WORD_1 src1_sel:DWORD
	ds_read2_b64 v[68:71], v54 offset0:64 offset1:96
	ds_read2_b64 v[56:59], v54 offset0:128 offset1:160
	s_waitcnt lgkmcnt(3)
	v_pk_fma_f16 v80, v60, v74, v80
	v_pk_fma_f16 v72, v60, v65, v72
	;; [unrolled: 1-line block ×8, first 2 shown]
	ds_read2_b64 v[60:63], v54 offset0:192 offset1:224
	s_waitcnt lgkmcnt(0)
	s_barrier
	v_pk_fma_f16 v84, v0, v85, v84
	v_pk_fma_f16 v83, v0, v86, v83
	;; [unrolled: 1-line block ×8, first 2 shown]
	global_load_dwordx4 v[0:3], v[32:33], off
	v_mul_u32_u24_sdwa v87, v67, s43 dst_sel:DWORD dst_unused:UNUSED_PAD src0_sel:WORD_0 src1_sel:DWORD
	v_mul_u32_u24_sdwa v88, v67, s43 dst_sel:DWORD dst_unused:UNUSED_PAD src0_sel:WORD_1 src1_sel:DWORD
	global_load_dwordx4 v[64:67], v[32:33], off offset:512
	v_pk_fma_f16 v32, v68, v85, v80
	v_pk_fma_f16 v33, v68, v86, v72
	;; [unrolled: 1-line block ×24, first 2 shown]
	s_waitcnt vmcnt(1)
	ds_write_b128 v47, v[0:3]
	s_waitcnt vmcnt(0)
	ds_write_b128 v48, v[64:67]
	s_waitcnt lgkmcnt(0)
	s_barrier
	ds_read_b128 v[0:3], v46 offset:64
	ds_read2_b64 v[56:59], v49 offset1:32
	ds_read2_b64 v[60:63], v49 offset0:64 offset1:96
	ds_read_b128 v[64:67], v46 offset:80
	ds_read2_b64 v[68:71], v49 offset0:128 offset1:160
	s_waitcnt lgkmcnt(4)
	v_mul_u32_u24_sdwa v83, v0, s43 dst_sel:DWORD dst_unused:UNUSED_PAD src0_sel:WORD_0 src1_sel:DWORD
	v_mul_u32_u24_sdwa v0, v0, s43 dst_sel:DWORD dst_unused:UNUSED_PAD src0_sel:WORD_1 src1_sel:DWORD
	s_waitcnt lgkmcnt(3)
	v_pk_fma_f16 v84, v56, v83, v73
	v_pk_fma_f16 v85, v56, v0, v74
	v_pk_fma_f16 v86, v57, v83, v75
	v_pk_fma_f16 v20, v57, v0, v20
	v_pk_fma_f16 v76, v58, v83, v76
	v_pk_fma_f16 v21, v58, v0, v21
	v_pk_fma_f16 v77, v59, v83, v77
	v_pk_fma_f16 v78, v59, v0, v78
	ds_read2_b64 v[56:59], v49 offset0:192 offset1:224
	s_waitcnt lgkmcnt(3)
	v_pk_fma_f16 v32, v60, v83, v32
	v_pk_fma_f16 v79, v61, v83, v79
	;; [unrolled: 1-line block ×4, first 2 shown]
	ds_read2_b64 v[72:75], v52 offset1:32
	v_pk_fma_f16 v33, v60, v0, v33
	v_pk_fma_f16 v80, v61, v0, v80
	;; [unrolled: 1-line block ×4, first 2 shown]
	v_mul_u32_u24_sdwa v82, v1, s43 dst_sel:DWORD dst_unused:UNUSED_PAD src0_sel:WORD_0 src1_sel:DWORD
	v_mul_u32_u24_sdwa v1, v1, s43 dst_sel:DWORD dst_unused:UNUSED_PAD src0_sel:WORD_1 src1_sel:DWORD
	ds_read2_b64 v[60:63], v52 offset0:64 offset1:96
	s_waitcnt lgkmcnt(3)
	v_pk_fma_f16 v83, v68, v82, v84
	v_pk_fma_f16 v84, v68, v1, v85
	;; [unrolled: 1-line block ×8, first 2 shown]
	ds_read2_b64 v[68:71], v52 offset0:128 offset1:160
	s_waitcnt lgkmcnt(3)
	v_pk_fma_f16 v32, v56, v82, v32
	v_pk_fma_f16 v79, v57, v82, v79
	;; [unrolled: 1-line block ×8, first 2 shown]
	ds_read2_b64 v[56:59], v52 offset0:192 offset1:224
	v_mul_u32_u24_sdwa v1, v2, s43 dst_sel:DWORD dst_unused:UNUSED_PAD src0_sel:WORD_0 src1_sel:DWORD
	v_mul_u32_u24_sdwa v2, v2, s43 dst_sel:DWORD dst_unused:UNUSED_PAD src0_sel:WORD_1 src1_sel:DWORD
	s_waitcnt lgkmcnt(3)
	v_pk_fma_f16 v82, v72, v1, v83
	v_pk_fma_f16 v83, v72, v2, v84
	;; [unrolled: 1-line block ×8, first 2 shown]
	s_waitcnt lgkmcnt(2)
	v_pk_fma_f16 v32, v60, v1, v32
	v_pk_fma_f16 v79, v61, v1, v79
	;; [unrolled: 1-line block ×4, first 2 shown]
	ds_read2_b64 v[72:75], v53 offset1:32
	v_pk_fma_f16 v33, v60, v2, v33
	v_pk_fma_f16 v80, v61, v2, v80
	;; [unrolled: 1-line block ×4, first 2 shown]
	ds_read2_b64 v[60:63], v53 offset0:64 offset1:96
	v_mul_u32_u24_sdwa v87, v3, s43 dst_sel:DWORD dst_unused:UNUSED_PAD src0_sel:WORD_0 src1_sel:DWORD
	v_mul_u32_u24_sdwa v88, v3, s43 dst_sel:DWORD dst_unused:UNUSED_PAD src0_sel:WORD_1 src1_sel:DWORD
	s_waitcnt lgkmcnt(3)
	v_pk_fma_f16 v82, v68, v87, v82
	v_pk_fma_f16 v83, v68, v88, v83
	;; [unrolled: 1-line block ×8, first 2 shown]
	ds_read2_b64 v[0:3], v53 offset0:128 offset1:160
	ds_read2_b64 v[68:71], v53 offset0:192 offset1:224
	s_waitcnt lgkmcnt(4)
	v_pk_fma_f16 v32, v56, v87, v32
	v_pk_fma_f16 v79, v57, v87, v79
	;; [unrolled: 1-line block ×8, first 2 shown]
	ds_read2_b64 v[56:59], v54 offset1:32
	v_mul_u32_u24_sdwa v87, v64, s43 dst_sel:DWORD dst_unused:UNUSED_PAD src0_sel:WORD_0 src1_sel:DWORD
	v_mul_u32_u24_sdwa v64, v64, s43 dst_sel:DWORD dst_unused:UNUSED_PAD src0_sel:WORD_1 src1_sel:DWORD
	s_waitcnt lgkmcnt(4)
	v_pk_fma_f16 v82, v72, v87, v82
	v_pk_fma_f16 v83, v72, v64, v83
	;; [unrolled: 1-line block ×8, first 2 shown]
	s_waitcnt lgkmcnt(3)
	v_pk_fma_f16 v32, v60, v87, v32
	v_pk_fma_f16 v33, v60, v64, v33
	;; [unrolled: 1-line block ×5, first 2 shown]
	v_mul_u32_u24_sdwa v60, v65, s43 dst_sel:DWORD dst_unused:UNUSED_PAD src0_sel:WORD_0 src1_sel:DWORD
	v_mul_u32_u24_sdwa v65, v65, s43 dst_sel:DWORD dst_unused:UNUSED_PAD src0_sel:WORD_1 src1_sel:DWORD
	v_pk_fma_f16 v79, v61, v87, v79
	v_pk_fma_f16 v85, v62, v87, v85
	;; [unrolled: 1-line block ×3, first 2 shown]
	s_waitcnt lgkmcnt(2)
	v_pk_fma_f16 v82, v0, v60, v82
	v_pk_fma_f16 v83, v0, v65, v83
	;; [unrolled: 1-line block ×8, first 2 shown]
	s_waitcnt lgkmcnt(1)
	v_pk_fma_f16 v33, v68, v65, v33
	v_pk_fma_f16 v80, v69, v65, v80
	;; [unrolled: 1-line block ×4, first 2 shown]
	v_mul_u32_u24_sdwa v65, v66, s43 dst_sel:DWORD dst_unused:UNUSED_PAD src0_sel:WORD_0 src1_sel:DWORD
	v_mul_u32_u24_sdwa v66, v66, s43 dst_sel:DWORD dst_unused:UNUSED_PAD src0_sel:WORD_1 src1_sel:DWORD
	ds_read2_b64 v[72:75], v54 offset0:64 offset1:96
	ds_read2_b64 v[0:3], v54 offset0:128 offset1:160
	v_pk_fma_f16 v32, v68, v60, v32
	v_pk_fma_f16 v79, v69, v60, v79
	;; [unrolled: 1-line block ×4, first 2 shown]
	ds_read2_b64 v[60:63], v54 offset0:192 offset1:224
	s_waitcnt lgkmcnt(0)
	s_barrier
	v_pk_fma_f16 v82, v56, v65, v82
	v_pk_fma_f16 v83, v56, v66, v83
	;; [unrolled: 1-line block ×8, first 2 shown]
	global_load_dwordx4 v[56:59], v[30:31], off
	global_load_dwordx4 v[68:71], v[30:31], off offset:512
	v_mul_u32_u24_sdwa v30, v67, s43 dst_sel:DWORD dst_unused:UNUSED_PAD src0_sel:WORD_0 src1_sel:DWORD
	v_mul_u32_u24_sdwa v31, v67, s43 dst_sel:DWORD dst_unused:UNUSED_PAD src0_sel:WORD_1 src1_sel:DWORD
	v_pk_fma_f16 v32, v72, v65, v32
	v_pk_fma_f16 v33, v72, v66, v33
	;; [unrolled: 1-line block ×24, first 2 shown]
	s_waitcnt vmcnt(1)
	ds_write_b128 v47, v[56:59]
	s_waitcnt vmcnt(0)
	ds_write_b128 v48, v[68:71]
	s_waitcnt lgkmcnt(0)
	s_barrier
	ds_read2_b64 v[0:3], v49 offset1:32
	ds_read_b128 v[30:33], v46 offset:96
	ds_read2_b64 v[56:59], v49 offset0:64 offset1:96
	ds_read_b128 v[60:63], v46 offset:112
	ds_read2_b64 v[64:67], v49 offset0:128 offset1:160
	ds_read2_b64 v[68:71], v49 offset0:192 offset1:224
	s_waitcnt lgkmcnt(4)
	v_mul_u32_u24_sdwa v85, v30, s43 dst_sel:DWORD dst_unused:UNUSED_PAD src0_sel:WORD_0 src1_sel:DWORD
	v_mul_u32_u24_sdwa v30, v30, s43 dst_sel:DWORD dst_unused:UNUSED_PAD src0_sel:WORD_1 src1_sel:DWORD
	v_pk_fma_f16 v75, v0, v85, v75
	v_pk_fma_f16 v79, v0, v30, v79
	;; [unrolled: 1-line block ×8, first 2 shown]
	ds_read2_b64 v[0:3], v52 offset1:32
	s_waitcnt lgkmcnt(4)
	v_pk_fma_f16 v81, v56, v85, v81
	v_pk_fma_f16 v82, v56, v30, v82
	;; [unrolled: 1-line block ×8, first 2 shown]
	ds_read2_b64 v[56:59], v52 offset0:64 offset1:96
	v_mul_u32_u24_sdwa v84, v31, s43 dst_sel:DWORD dst_unused:UNUSED_PAD src0_sel:WORD_0 src1_sel:DWORD
	v_mul_u32_u24_sdwa v31, v31, s43 dst_sel:DWORD dst_unused:UNUSED_PAD src0_sel:WORD_1 src1_sel:DWORD
	s_waitcnt lgkmcnt(3)
	v_pk_fma_f16 v75, v64, v84, v75
	v_pk_fma_f16 v79, v64, v31, v79
	;; [unrolled: 1-line block ×8, first 2 shown]
	ds_read2_b64 v[64:67], v52 offset0:128 offset1:160
	s_waitcnt lgkmcnt(3)
	v_pk_fma_f16 v81, v68, v84, v81
	v_pk_fma_f16 v82, v68, v31, v82
	;; [unrolled: 1-line block ×8, first 2 shown]
	ds_read2_b64 v[68:71], v52 offset0:192 offset1:224
	v_mul_u32_u24_sdwa v30, v32, s43 dst_sel:DWORD dst_unused:UNUSED_PAD src0_sel:WORD_0 src1_sel:DWORD
	v_mul_u32_u24_sdwa v85, v32, s43 dst_sel:DWORD dst_unused:UNUSED_PAD src0_sel:WORD_1 src1_sel:DWORD
	s_waitcnt lgkmcnt(3)
	v_pk_fma_f16 v75, v0, v30, v75
	v_pk_fma_f16 v79, v0, v85, v79
	;; [unrolled: 1-line block ×8, first 2 shown]
	ds_read2_b64 v[0:3], v53 offset1:32
	v_mul_u32_u24_sdwa v86, v33, s43 dst_sel:DWORD dst_unused:UNUSED_PAD src0_sel:WORD_0 src1_sel:DWORD
	v_mul_u32_u24_sdwa v87, v33, s43 dst_sel:DWORD dst_unused:UNUSED_PAD src0_sel:WORD_1 src1_sel:DWORD
	s_waitcnt lgkmcnt(3)
	v_pk_fma_f16 v81, v56, v30, v81
	v_pk_fma_f16 v83, v57, v30, v83
	;; [unrolled: 1-line block ×4, first 2 shown]
	ds_read2_b64 v[30:33], v53 offset0:64 offset1:96
	v_pk_fma_f16 v82, v56, v85, v82
	v_pk_fma_f16 v72, v57, v85, v72
	;; [unrolled: 1-line block ×4, first 2 shown]
	ds_read2_b64 v[56:59], v53 offset0:128 offset1:160
	s_waitcnt lgkmcnt(4)
	v_pk_fma_f16 v75, v64, v86, v75
	v_pk_fma_f16 v79, v64, v87, v79
	v_pk_fma_f16 v80, v65, v86, v80
	v_pk_fma_f16 v20, v65, v87, v20
	v_pk_fma_f16 v76, v66, v86, v76
	v_pk_fma_f16 v21, v66, v87, v21
	v_pk_fma_f16 v77, v67, v86, v77
	v_pk_fma_f16 v78, v67, v87, v78
	ds_read2_b64 v[64:67], v53 offset0:192 offset1:224
	s_waitcnt lgkmcnt(4)
	v_pk_fma_f16 v81, v68, v86, v81
	v_pk_fma_f16 v82, v68, v87, v82
	;; [unrolled: 1-line block ×8, first 2 shown]
	v_mul_u32_u24_sdwa v85, v60, s43 dst_sel:DWORD dst_unused:UNUSED_PAD src0_sel:WORD_0 src1_sel:DWORD
	v_mul_u32_u24_sdwa v60, v60, s43 dst_sel:DWORD dst_unused:UNUSED_PAD src0_sel:WORD_1 src1_sel:DWORD
	s_waitcnt lgkmcnt(3)
	v_pk_fma_f16 v75, v0, v85, v75
	v_pk_fma_f16 v79, v0, v60, v79
	;; [unrolled: 1-line block ×8, first 2 shown]
	s_waitcnt lgkmcnt(2)
	v_pk_fma_f16 v81, v30, v85, v81
	v_pk_fma_f16 v83, v31, v85, v83
	v_pk_fma_f16 v73, v32, v85, v73
	v_pk_fma_f16 v55, v33, v85, v55
	v_pk_fma_f16 v82, v30, v60, v82
	v_pk_fma_f16 v72, v31, v60, v72
	v_pk_fma_f16 v74, v32, v60, v74
	v_pk_fma_f16 v60, v33, v60, v84
	v_mul_u32_u24_sdwa v84, v61, s43 dst_sel:DWORD dst_unused:UNUSED_PAD src0_sel:WORD_0 src1_sel:DWORD
	v_mul_u32_u24_sdwa v61, v61, s43 dst_sel:DWORD dst_unused:UNUSED_PAD src0_sel:WORD_1 src1_sel:DWORD
	ds_read2_b64 v[68:71], v54 offset1:32
	ds_read2_b64 v[0:3], v54 offset0:64 offset1:96
	ds_read2_b64 v[30:33], v54 offset0:128 offset1:160
	s_waitcnt lgkmcnt(4)
	v_pk_fma_f16 v75, v56, v84, v75
	v_pk_fma_f16 v79, v56, v61, v79
	;; [unrolled: 1-line block ×8, first 2 shown]
	ds_read2_b64 v[56:59], v54 offset0:192 offset1:224
	s_waitcnt lgkmcnt(0)
	s_barrier
	v_pk_fma_f16 v81, v64, v84, v81
	v_pk_fma_f16 v82, v64, v61, v82
	;; [unrolled: 1-line block ×8, first 2 shown]
	global_load_dwordx4 v[64:67], v[28:29], off
	v_mul_u32_u24_sdwa v85, v62, s43 dst_sel:DWORD dst_unused:UNUSED_PAD src0_sel:WORD_0 src1_sel:DWORD
	v_mul_u32_u24_sdwa v86, v62, s43 dst_sel:DWORD dst_unused:UNUSED_PAD src0_sel:WORD_1 src1_sel:DWORD
	v_mul_u32_u24_sdwa v87, v63, s43 dst_sel:DWORD dst_unused:UNUSED_PAD src0_sel:WORD_0 src1_sel:DWORD
	v_mul_u32_u24_sdwa v88, v63, s43 dst_sel:DWORD dst_unused:UNUSED_PAD src0_sel:WORD_1 src1_sel:DWORD
	global_load_dwordx4 v[60:63], v[28:29], off offset:512
	v_pk_fma_f16 v28, v68, v85, v75
	v_pk_fma_f16 v29, v68, v86, v79
	;; [unrolled: 1-line block ×32, first 2 shown]
	s_waitcnt vmcnt(1)
	ds_write_b128 v47, v[64:67]
	s_waitcnt vmcnt(0)
	ds_write_b128 v48, v[60:63]
	s_waitcnt lgkmcnt(0)
	s_barrier
	ds_read2_b64 v[0:3], v49 offset1:32
	ds_read_b128 v[28:31], v46 offset:128
	ds_read2_b64 v[56:59], v49 offset0:64 offset1:96
	ds_read_b128 v[60:63], v46 offset:144
	ds_read2_b64 v[64:67], v49 offset0:128 offset1:160
	ds_read2_b64 v[68:71], v49 offset0:192 offset1:224
	s_waitcnt lgkmcnt(4)
	v_mul_u32_u24_sdwa v83, v28, s43 dst_sel:DWORD dst_unused:UNUSED_PAD src0_sel:WORD_0 src1_sel:DWORD
	v_mul_u32_u24_sdwa v28, v28, s43 dst_sel:DWORD dst_unused:UNUSED_PAD src0_sel:WORD_1 src1_sel:DWORD
	v_pk_fma_f16 v84, v0, v83, v73
	v_pk_fma_f16 v85, v0, v28, v74
	;; [unrolled: 1-line block ×8, first 2 shown]
	ds_read2_b64 v[0:3], v52 offset1:32
	s_waitcnt lgkmcnt(4)
	v_pk_fma_f16 v86, v56, v83, v75
	v_pk_fma_f16 v87, v58, v83, v72
	ds_read2_b64 v[72:75], v52 offset0:64 offset1:96
	v_pk_fma_f16 v79, v56, v28, v79
	v_pk_fma_f16 v80, v57, v28, v80
	;; [unrolled: 1-line block ×4, first 2 shown]
	v_mul_u32_u24_sdwa v82, v29, s43 dst_sel:DWORD dst_unused:UNUSED_PAD src0_sel:WORD_0 src1_sel:DWORD
	v_mul_u32_u24_sdwa v29, v29, s43 dst_sel:DWORD dst_unused:UNUSED_PAD src0_sel:WORD_1 src1_sel:DWORD
	v_pk_fma_f16 v76, v57, v83, v76
	v_pk_fma_f16 v55, v59, v83, v55
	s_waitcnt lgkmcnt(3)
	v_pk_fma_f16 v83, v64, v82, v84
	v_pk_fma_f16 v84, v64, v29, v85
	;; [unrolled: 1-line block ×8, first 2 shown]
	ds_read2_b64 v[56:59], v52 offset0:128 offset1:160
	ds_read2_b64 v[64:67], v52 offset0:192 offset1:224
	s_waitcnt lgkmcnt(4)
	v_pk_fma_f16 v79, v68, v29, v79
	v_pk_fma_f16 v80, v69, v29, v80
	;; [unrolled: 1-line block ×4, first 2 shown]
	v_mul_u32_u24_sdwa v29, v30, s43 dst_sel:DWORD dst_unused:UNUSED_PAD src0_sel:WORD_0 src1_sel:DWORD
	v_mul_u32_u24_sdwa v30, v30, s43 dst_sel:DWORD dst_unused:UNUSED_PAD src0_sel:WORD_1 src1_sel:DWORD
	v_pk_fma_f16 v85, v68, v82, v86
	v_pk_fma_f16 v76, v69, v82, v76
	;; [unrolled: 1-line block ×4, first 2 shown]
	s_waitcnt lgkmcnt(3)
	v_pk_fma_f16 v82, v0, v29, v83
	v_pk_fma_f16 v83, v0, v30, v84
	;; [unrolled: 1-line block ×8, first 2 shown]
	ds_read2_b64 v[0:3], v53 offset1:32
	ds_read2_b64 v[68:71], v53 offset0:64 offset1:96
	s_waitcnt lgkmcnt(4)
	v_pk_fma_f16 v84, v72, v29, v85
	v_pk_fma_f16 v76, v73, v29, v76
	;; [unrolled: 1-line block ×8, first 2 shown]
	ds_read2_b64 v[72:75], v53 offset0:128 offset1:160
	v_mul_u32_u24_sdwa v87, v31, s43 dst_sel:DWORD dst_unused:UNUSED_PAD src0_sel:WORD_0 src1_sel:DWORD
	v_mul_u32_u24_sdwa v88, v31, s43 dst_sel:DWORD dst_unused:UNUSED_PAD src0_sel:WORD_1 src1_sel:DWORD
	ds_read2_b64 v[28:31], v53 offset0:192 offset1:224
	s_waitcnt lgkmcnt(5)
	v_pk_fma_f16 v82, v56, v87, v82
	v_pk_fma_f16 v83, v56, v88, v83
	;; [unrolled: 1-line block ×8, first 2 shown]
	s_waitcnt lgkmcnt(4)
	v_pk_fma_f16 v84, v64, v87, v84
	v_pk_fma_f16 v79, v64, v88, v79
	;; [unrolled: 1-line block ×5, first 2 shown]
	v_mul_u32_u24_sdwa v64, v60, s43 dst_sel:DWORD dst_unused:UNUSED_PAD src0_sel:WORD_0 src1_sel:DWORD
	v_mul_u32_u24_sdwa v60, v60, s43 dst_sel:DWORD dst_unused:UNUSED_PAD src0_sel:WORD_1 src1_sel:DWORD
	v_pk_fma_f16 v76, v65, v87, v76
	v_pk_fma_f16 v85, v66, v87, v85
	;; [unrolled: 1-line block ×3, first 2 shown]
	s_waitcnt lgkmcnt(3)
	v_pk_fma_f16 v82, v0, v64, v82
	v_pk_fma_f16 v83, v0, v60, v83
	;; [unrolled: 1-line block ×8, first 2 shown]
	s_waitcnt lgkmcnt(2)
	v_pk_fma_f16 v79, v68, v60, v79
	v_pk_fma_f16 v80, v69, v60, v80
	v_pk_fma_f16 v81, v70, v60, v81
	v_pk_fma_f16 v60, v71, v60, v86
	v_mul_u32_u24_sdwa v86, v61, s43 dst_sel:DWORD dst_unused:UNUSED_PAD src0_sel:WORD_0 src1_sel:DWORD
	v_mul_u32_u24_sdwa v61, v61, s43 dst_sel:DWORD dst_unused:UNUSED_PAD src0_sel:WORD_1 src1_sel:DWORD
	ds_read2_b64 v[56:59], v54 offset1:32
	ds_read2_b64 v[0:3], v54 offset0:64 offset1:96
	v_pk_fma_f16 v84, v68, v64, v84
	v_pk_fma_f16 v76, v69, v64, v76
	;; [unrolled: 1-line block ×4, first 2 shown]
	ds_read2_b64 v[64:67], v54 offset0:128 offset1:160
	s_waitcnt lgkmcnt(4)
	v_pk_fma_f16 v82, v72, v86, v82
	v_pk_fma_f16 v83, v72, v61, v83
	;; [unrolled: 1-line block ×8, first 2 shown]
	ds_read2_b64 v[68:71], v54 offset0:192 offset1:224
	s_waitcnt lgkmcnt(0)
	s_barrier
	global_load_dwordx4 v[72:75], v[26:27], off
	v_pk_fma_f16 v84, v28, v86, v84
	v_pk_fma_f16 v76, v29, v86, v76
	;; [unrolled: 1-line block ×4, first 2 shown]
	global_load_dwordx4 v[26:29], v[26:27], off offset:512
	v_pk_fma_f16 v85, v30, v86, v85
	v_pk_fma_f16 v55, v31, v86, v55
	;; [unrolled: 1-line block ×4, first 2 shown]
	v_mul_u32_u24_sdwa v60, v62, s43 dst_sel:DWORD dst_unused:UNUSED_PAD src0_sel:WORD_0 src1_sel:DWORD
	v_mul_u32_u24_sdwa v61, v62, s43 dst_sel:DWORD dst_unused:UNUSED_PAD src0_sel:WORD_1 src1_sel:DWORD
	v_mul_u32_u24_sdwa v62, v63, s43 dst_sel:DWORD dst_unused:UNUSED_PAD src0_sel:WORD_0 src1_sel:DWORD
	v_mul_u32_u24_sdwa v63, v63, s43 dst_sel:DWORD dst_unused:UNUSED_PAD src0_sel:WORD_1 src1_sel:DWORD
	v_pk_fma_f16 v81, v56, v60, v82
	v_pk_fma_f16 v56, v56, v61, v83
	;; [unrolled: 1-line block ×32, first 2 shown]
	s_waitcnt vmcnt(1)
	ds_write_b128 v47, v[72:75]
	s_waitcnt vmcnt(0)
	ds_write_b128 v48, v[26:29]
	s_waitcnt lgkmcnt(0)
	s_barrier
	ds_read2_b64 v[0:3], v49 offset1:32
	ds_read2_b64 v[26:29], v49 offset0:64 offset1:96
	ds_read_b128 v[30:33], v46 offset:160
	ds_read_b128 v[56:59], v46 offset:176
	ds_read2_b64 v[60:63], v49 offset0:128 offset1:160
	ds_read2_b64 v[64:67], v49 offset0:192 offset1:224
	ds_read2_b64 v[68:71], v52 offset1:32
	s_waitcnt lgkmcnt(4)
	v_mul_u32_u24_sdwa v72, v30, s43 dst_sel:DWORD dst_unused:UNUSED_PAD src0_sel:WORD_0 src1_sel:DWORD
	v_mul_u32_u24_sdwa v30, v30, s43 dst_sel:DWORD dst_unused:UNUSED_PAD src0_sel:WORD_1 src1_sel:DWORD
	v_pk_fma_f16 v55, v0, v72, v55
	v_pk_fma_f16 v73, v0, v30, v78
	;; [unrolled: 1-line block ×8, first 2 shown]
	ds_read2_b64 v[0:3], v52 offset0:64 offset1:96
	v_pk_fma_f16 v81, v27, v72, v84
	v_mul_u32_u24_sdwa v84, v31, s43 dst_sel:DWORD dst_unused:UNUSED_PAD src0_sel:WORD_0 src1_sel:DWORD
	v_mul_u32_u24_sdwa v31, v31, s43 dst_sel:DWORD dst_unused:UNUSED_PAD src0_sel:WORD_1 src1_sel:DWORD
	v_pk_fma_f16 v79, v26, v72, v82
	v_pk_fma_f16 v80, v26, v30, v83
	v_pk_fma_f16 v82, v27, v30, v85
	v_pk_fma_f16 v76, v28, v72, v76
	v_pk_fma_f16 v83, v28, v30, v86
	v_pk_fma_f16 v72, v29, v72, v87
	v_pk_fma_f16 v30, v29, v30, v88
	ds_read2_b64 v[26:29], v52 offset0:128 offset1:160
	s_waitcnt lgkmcnt(4)
	v_pk_fma_f16 v55, v60, v84, v55
	v_pk_fma_f16 v73, v60, v31, v73
	;; [unrolled: 1-line block ×8, first 2 shown]
	ds_read2_b64 v[60:63], v52 offset0:192 offset1:224
	s_waitcnt lgkmcnt(4)
	v_pk_fma_f16 v79, v64, v84, v79
	v_pk_fma_f16 v80, v64, v31, v80
	;; [unrolled: 1-line block ×8, first 2 shown]
	ds_read2_b64 v[64:67], v53 offset1:32
	v_mul_u32_u24_sdwa v30, v32, s43 dst_sel:DWORD dst_unused:UNUSED_PAD src0_sel:WORD_0 src1_sel:DWORD
	v_mul_u32_u24_sdwa v85, v32, s43 dst_sel:DWORD dst_unused:UNUSED_PAD src0_sel:WORD_1 src1_sel:DWORD
	s_waitcnt lgkmcnt(4)
	v_pk_fma_f16 v55, v68, v30, v55
	v_pk_fma_f16 v74, v69, v30, v74
	;; [unrolled: 1-line block ×4, first 2 shown]
	v_mul_u32_u24_sdwa v86, v33, s43 dst_sel:DWORD dst_unused:UNUSED_PAD src0_sel:WORD_0 src1_sel:DWORD
	v_mul_u32_u24_sdwa v87, v33, s43 dst_sel:DWORD dst_unused:UNUSED_PAD src0_sel:WORD_1 src1_sel:DWORD
	s_waitcnt lgkmcnt(3)
	v_pk_fma_f16 v79, v0, v30, v79
	v_pk_fma_f16 v81, v1, v30, v81
	;; [unrolled: 1-line block ×4, first 2 shown]
	ds_read2_b64 v[30:33], v53 offset0:128 offset1:160
	v_pk_fma_f16 v73, v68, v85, v73
	v_pk_fma_f16 v20, v69, v85, v20
	;; [unrolled: 1-line block ×4, first 2 shown]
	ds_read2_b64 v[68:71], v53 offset0:64 offset1:96
	v_pk_fma_f16 v80, v0, v85, v80
	v_pk_fma_f16 v82, v1, v85, v82
	;; [unrolled: 1-line block ×4, first 2 shown]
	s_waitcnt lgkmcnt(4)
	v_pk_fma_f16 v55, v26, v86, v55
	v_pk_fma_f16 v73, v26, v87, v73
	;; [unrolled: 1-line block ×8, first 2 shown]
	s_waitcnt lgkmcnt(3)
	v_pk_fma_f16 v79, v60, v86, v79
	v_pk_fma_f16 v81, v61, v86, v81
	;; [unrolled: 1-line block ×4, first 2 shown]
	v_mul_u32_u24_sdwa v85, v56, s43 dst_sel:DWORD dst_unused:UNUSED_PAD src0_sel:WORD_0 src1_sel:DWORD
	v_mul_u32_u24_sdwa v86, v56, s43 dst_sel:DWORD dst_unused:UNUSED_PAD src0_sel:WORD_1 src1_sel:DWORD
	v_pk_fma_f16 v80, v60, v87, v80
	v_pk_fma_f16 v82, v61, v87, v82
	v_pk_fma_f16 v83, v62, v87, v83
	v_pk_fma_f16 v84, v63, v87, v84
	v_mul_u32_u24_sdwa v87, v57, s43 dst_sel:DWORD dst_unused:UNUSED_PAD src0_sel:WORD_0 src1_sel:DWORD
	s_waitcnt lgkmcnt(2)
	v_pk_fma_f16 v55, v64, v85, v55
	v_pk_fma_f16 v73, v64, v86, v73
	;; [unrolled: 1-line block ×8, first 2 shown]
	v_mul_u32_u24_sdwa v88, v57, s43 dst_sel:DWORD dst_unused:UNUSED_PAD src0_sel:WORD_1 src1_sel:DWORD
	ds_read2_b64 v[0:3], v53 offset0:192 offset1:224
	ds_read2_b64 v[26:29], v54 offset1:32
	ds_read2_b64 v[60:63], v54 offset0:64 offset1:96
	v_mul_u32_u24_sdwa v89, v58, s43 dst_sel:DWORD dst_unused:UNUSED_PAD src0_sel:WORD_0 src1_sel:DWORD
	v_mul_u32_u24_sdwa v90, v58, s43 dst_sel:DWORD dst_unused:UNUSED_PAD src0_sel:WORD_1 src1_sel:DWORD
	v_mul_u32_u24_sdwa v91, v59, s43 dst_sel:DWORD dst_unused:UNUSED_PAD src0_sel:WORD_0 src1_sel:DWORD
	v_mul_u32_u24_sdwa v92, v59, s43 dst_sel:DWORD dst_unused:UNUSED_PAD src0_sel:WORD_1 src1_sel:DWORD
	ds_read2_b64 v[56:59], v54 offset0:128 offset1:160
	ds_read2_b64 v[64:67], v54 offset0:192 offset1:224
	s_waitcnt lgkmcnt(0)
	s_barrier
	v_pk_fma_f16 v55, v30, v87, v55
	v_pk_fma_f16 v73, v30, v88, v73
	;; [unrolled: 1-line block ×8, first 2 shown]
	global_load_dwordx4 v[30:33], v[24:25], off
	v_pk_fma_f16 v79, v68, v85, v79
	v_pk_fma_f16 v81, v69, v85, v81
	;; [unrolled: 1-line block ×8, first 2 shown]
	global_load_dwordx4 v[68:71], v[24:25], off offset:512
	v_pk_fma_f16 v79, v0, v87, v79
	v_pk_fma_f16 v81, v1, v87, v81
	;; [unrolled: 1-line block ×40, first 2 shown]
	s_waitcnt vmcnt(1)
	ds_write_b128 v47, v[30:33]
	s_waitcnt vmcnt(0)
	ds_write_b128 v48, v[68:71]
	s_waitcnt lgkmcnt(0)
	s_barrier
	ds_read2_b64 v[0:3], v49 offset1:32
	ds_read2_b64 v[24:27], v49 offset0:64 offset1:96
	ds_read_b128 v[28:31], v46 offset:192
	ds_read_b128 v[56:59], v46 offset:208
	ds_read2_b64 v[60:63], v49 offset0:128 offset1:160
	ds_read2_b64 v[64:67], v49 offset0:192 offset1:224
	ds_read2_b64 v[68:71], v52 offset1:32
	s_waitcnt lgkmcnt(4)
	v_mul_u32_u24_sdwa v32, v28, s43 dst_sel:DWORD dst_unused:UNUSED_PAD src0_sel:WORD_0 src1_sel:DWORD
	v_mul_u32_u24_sdwa v28, v28, s43 dst_sel:DWORD dst_unused:UNUSED_PAD src0_sel:WORD_1 src1_sel:DWORD
	v_pk_fma_f16 v33, v0, v32, v72
	v_pk_fma_f16 v85, v0, v28, v73
	;; [unrolled: 1-line block ×8, first 2 shown]
	ds_read2_b64 v[0:3], v52 offset0:64 offset1:96
	v_pk_fma_f16 v55, v24, v32, v55
	v_pk_fma_f16 v79, v25, v32, v79
	;; [unrolled: 1-line block ×4, first 2 shown]
	ds_read2_b64 v[72:75], v52 offset0:128 offset1:160
	v_pk_fma_f16 v78, v24, v28, v78
	v_pk_fma_f16 v80, v25, v28, v80
	;; [unrolled: 1-line block ×4, first 2 shown]
	v_mul_u32_u24_sdwa v83, v29, s43 dst_sel:DWORD dst_unused:UNUSED_PAD src0_sel:WORD_0 src1_sel:DWORD
	v_mul_u32_u24_sdwa v29, v29, s43 dst_sel:DWORD dst_unused:UNUSED_PAD src0_sel:WORD_1 src1_sel:DWORD
	ds_read2_b64 v[24:27], v52 offset0:192 offset1:224
	s_waitcnt lgkmcnt(5)
	v_pk_fma_f16 v33, v60, v83, v33
	v_pk_fma_f16 v84, v60, v29, v85
	;; [unrolled: 1-line block ×8, first 2 shown]
	s_waitcnt lgkmcnt(4)
	v_pk_fma_f16 v55, v64, v83, v55
	v_pk_fma_f16 v79, v65, v83, v79
	v_pk_fma_f16 v81, v66, v83, v81
	v_pk_fma_f16 v32, v67, v83, v32
	ds_read2_b64 v[60:63], v53 offset1:32
	v_pk_fma_f16 v78, v64, v29, v78
	v_pk_fma_f16 v80, v65, v29, v80
	;; [unrolled: 1-line block ×4, first 2 shown]
	v_mul_u32_u24_sdwa v29, v30, s43 dst_sel:DWORD dst_unused:UNUSED_PAD src0_sel:WORD_0 src1_sel:DWORD
	v_mul_u32_u24_sdwa v30, v30, s43 dst_sel:DWORD dst_unused:UNUSED_PAD src0_sel:WORD_1 src1_sel:DWORD
	ds_read2_b64 v[64:67], v53 offset0:64 offset1:96
	s_waitcnt lgkmcnt(5)
	v_pk_fma_f16 v33, v68, v29, v33
	v_pk_fma_f16 v83, v68, v30, v84
	;; [unrolled: 1-line block ×8, first 2 shown]
	ds_read2_b64 v[68:71], v53 offset0:128 offset1:160
	s_waitcnt lgkmcnt(5)
	v_pk_fma_f16 v55, v0, v29, v55
	v_pk_fma_f16 v79, v1, v29, v79
	;; [unrolled: 1-line block ×8, first 2 shown]
	v_mul_u32_u24_sdwa v87, v31, s43 dst_sel:DWORD dst_unused:UNUSED_PAD src0_sel:WORD_0 src1_sel:DWORD
	v_mul_u32_u24_sdwa v88, v31, s43 dst_sel:DWORD dst_unused:UNUSED_PAD src0_sel:WORD_1 src1_sel:DWORD
	s_waitcnt lgkmcnt(4)
	v_pk_fma_f16 v33, v72, v87, v33
	v_pk_fma_f16 v83, v72, v88, v83
	;; [unrolled: 1-line block ×8, first 2 shown]
	s_waitcnt lgkmcnt(3)
	v_pk_fma_f16 v55, v24, v87, v55
	v_pk_fma_f16 v79, v25, v87, v79
	;; [unrolled: 1-line block ×8, first 2 shown]
	v_mul_u32_u24_sdwa v87, v56, s43 dst_sel:DWORD dst_unused:UNUSED_PAD src0_sel:WORD_0 src1_sel:DWORD
	v_mul_u32_u24_sdwa v56, v56, s43 dst_sel:DWORD dst_unused:UNUSED_PAD src0_sel:WORD_1 src1_sel:DWORD
	ds_read2_b64 v[0:3], v53 offset0:192 offset1:224
	ds_read2_b64 v[28:31], v54 offset1:32
	ds_read2_b64 v[72:75], v54 offset0:64 offset1:96
	s_waitcnt lgkmcnt(5)
	v_pk_fma_f16 v33, v60, v87, v33
	v_pk_fma_f16 v83, v60, v56, v83
	;; [unrolled: 1-line block ×8, first 2 shown]
	ds_read2_b64 v[24:27], v54 offset0:128 offset1:160
	s_waitcnt lgkmcnt(5)
	v_pk_fma_f16 v55, v64, v87, v55
	v_pk_fma_f16 v79, v65, v87, v79
	;; [unrolled: 1-line block ×4, first 2 shown]
	ds_read2_b64 v[60:63], v54 offset0:192 offset1:224
	s_waitcnt lgkmcnt(0)
	s_barrier
	v_pk_fma_f16 v78, v64, v56, v78
	v_pk_fma_f16 v80, v65, v56, v80
	;; [unrolled: 1-line block ×4, first 2 shown]
	v_mul_u32_u24_sdwa v86, v57, s43 dst_sel:DWORD dst_unused:UNUSED_PAD src0_sel:WORD_0 src1_sel:DWORD
	v_mul_u32_u24_sdwa v57, v57, s43 dst_sel:DWORD dst_unused:UNUSED_PAD src0_sel:WORD_1 src1_sel:DWORD
	global_load_dwordx4 v[64:67], v[22:23], off
	v_pk_fma_f16 v33, v68, v86, v33
	v_pk_fma_f16 v68, v68, v57, v83
	;; [unrolled: 1-line block ×6, first 2 shown]
	global_load_dwordx4 v[20:23], v[22:23], off offset:512
	v_pk_fma_f16 v76, v71, v86, v76
	v_pk_fma_f16 v71, v71, v57, v77
	v_mul_u32_u24_sdwa v77, v58, s43 dst_sel:DWORD dst_unused:UNUSED_PAD src0_sel:WORD_0 src1_sel:DWORD
	v_mul_u32_u24_sdwa v58, v58, s43 dst_sel:DWORD dst_unused:UNUSED_PAD src0_sel:WORD_1 src1_sel:DWORD
	v_pk_fma_f16 v55, v0, v86, v55
	v_pk_fma_f16 v0, v0, v57, v78
	v_pk_fma_f16 v78, v1, v86, v79
	v_pk_fma_f16 v1, v1, v57, v80
	v_pk_fma_f16 v79, v2, v86, v81
	v_pk_fma_f16 v2, v2, v57, v82
	v_pk_fma_f16 v32, v3, v86, v32
	v_pk_fma_f16 v3, v3, v57, v56
	v_mul_u32_u24_sdwa v85, v59, s43 dst_sel:DWORD dst_unused:UNUSED_PAD src0_sel:WORD_0 src1_sel:DWORD
	v_mul_u32_u24_sdwa v59, v59, s43 dst_sel:DWORD dst_unused:UNUSED_PAD src0_sel:WORD_1 src1_sel:DWORD
	v_pk_fma_f16 v33, v28, v77, v33
	v_pk_fma_f16 v28, v28, v58, v68
	;; [unrolled: 1-line block ×32, first 2 shown]
	s_waitcnt vmcnt(1)
	ds_write_b128 v47, v[64:67]
	s_waitcnt vmcnt(0)
	ds_write_b128 v48, v[20:23]
	s_waitcnt lgkmcnt(0)
	s_barrier
	ds_read2_b64 v[20:23], v49 offset1:32
	ds_read2_b64 v[24:27], v49 offset0:64 offset1:96
	ds_read_b128 v[28:31], v46 offset:224
	ds_read_b128 v[0:3], v46 offset:240
	ds_read2_b64 v[56:59], v49 offset0:128 offset1:160
	ds_read2_b64 v[60:63], v49 offset0:192 offset1:224
	ds_read2_b64 v[64:67], v52 offset1:32
	ds_read2_b64 v[68:71], v52 offset0:64 offset1:96
	s_waitcnt lgkmcnt(5)
	v_mul_u32_u24_sdwa v85, v28, s43 dst_sel:DWORD dst_unused:UNUSED_PAD src0_sel:WORD_0 src1_sel:DWORD
	v_mul_u32_u24_sdwa v28, v28, s43 dst_sel:DWORD dst_unused:UNUSED_PAD src0_sel:WORD_1 src1_sel:DWORD
	v_pk_fma_f16 v33, v20, v85, v33
	v_pk_fma_f16 v72, v20, v28, v72
	;; [unrolled: 1-line block ×8, first 2 shown]
	ds_read2_b64 v[20:23], v52 offset0:128 offset1:160
	v_pk_fma_f16 v55, v24, v85, v55
	v_pk_fma_f16 v80, v25, v85, v80
	;; [unrolled: 1-line block ×8, first 2 shown]
	ds_read2_b64 v[24:27], v52 offset0:192 offset1:224
	v_mul_u32_u24_sdwa v84, v29, s43 dst_sel:DWORD dst_unused:UNUSED_PAD src0_sel:WORD_0 src1_sel:DWORD
	v_mul_u32_u24_sdwa v29, v29, s43 dst_sel:DWORD dst_unused:UNUSED_PAD src0_sel:WORD_1 src1_sel:DWORD
	s_waitcnt lgkmcnt(5)
	v_pk_fma_f16 v33, v56, v84, v33
	v_pk_fma_f16 v72, v56, v29, v72
	;; [unrolled: 1-line block ×8, first 2 shown]
	ds_read2_b64 v[56:59], v53 offset1:32
	s_waitcnt lgkmcnt(5)
	v_pk_fma_f16 v55, v60, v84, v55
	v_pk_fma_f16 v80, v61, v84, v80
	;; [unrolled: 1-line block ×5, first 2 shown]
	v_mul_u32_u24_sdwa v28, v30, s43 dst_sel:DWORD dst_unused:UNUSED_PAD src0_sel:WORD_0 src1_sel:DWORD
	v_mul_u32_u24_sdwa v85, v30, s43 dst_sel:DWORD dst_unused:UNUSED_PAD src0_sel:WORD_1 src1_sel:DWORD
	v_pk_fma_f16 v79, v60, v29, v79
	v_pk_fma_f16 v81, v61, v29, v81
	;; [unrolled: 1-line block ×3, first 2 shown]
	s_waitcnt lgkmcnt(4)
	v_pk_fma_f16 v33, v64, v28, v33
	v_pk_fma_f16 v72, v64, v85, v72
	;; [unrolled: 1-line block ×8, first 2 shown]
	v_mul_u32_u24_sdwa v86, v31, s43 dst_sel:DWORD dst_unused:UNUSED_PAD src0_sel:WORD_0 src1_sel:DWORD
	v_mul_u32_u24_sdwa v87, v31, s43 dst_sel:DWORD dst_unused:UNUSED_PAD src0_sel:WORD_1 src1_sel:DWORD
	s_waitcnt lgkmcnt(3)
	v_pk_fma_f16 v55, v68, v28, v55
	v_pk_fma_f16 v80, v69, v28, v80
	;; [unrolled: 1-line block ×4, first 2 shown]
	ds_read2_b64 v[60:63], v53 offset0:64 offset1:96
	v_pk_fma_f16 v79, v68, v85, v79
	v_pk_fma_f16 v81, v69, v85, v81
	;; [unrolled: 1-line block ×4, first 2 shown]
	s_waitcnt lgkmcnt(3)
	v_pk_fma_f16 v33, v20, v86, v33
	v_pk_fma_f16 v72, v20, v87, v72
	;; [unrolled: 1-line block ×8, first 2 shown]
	s_waitcnt lgkmcnt(2)
	v_pk_fma_f16 v55, v24, v86, v55
	v_pk_fma_f16 v80, v25, v86, v80
	;; [unrolled: 1-line block ×4, first 2 shown]
	v_mul_u32_u24_sdwa v85, v0, s43 dst_sel:DWORD dst_unused:UNUSED_PAD src0_sel:WORD_0 src1_sel:DWORD
	v_mul_u32_u24_sdwa v86, v0, s43 dst_sel:DWORD dst_unused:UNUSED_PAD src0_sel:WORD_1 src1_sel:DWORD
	ds_read2_b64 v[64:67], v53 offset0:128 offset1:160
	ds_read2_b64 v[28:31], v53 offset0:192 offset1:224
	ds_read2_b64 v[68:71], v54 offset1:32
	ds_read2_b64 v[20:23], v54 offset0:64 offset1:96
	v_pk_fma_f16 v79, v24, v87, v79
	v_pk_fma_f16 v81, v25, v87, v81
	v_pk_fma_f16 v83, v26, v87, v83
	v_pk_fma_f16 v84, v27, v87, v84
	ds_read2_b64 v[24:27], v54 offset0:128 offset1:160
	v_mul_u32_u24_sdwa v87, v1, s43 dst_sel:DWORD dst_unused:UNUSED_PAD src0_sel:WORD_0 src1_sel:DWORD
	s_waitcnt lgkmcnt(6)
	v_pk_fma_f16 v33, v56, v85, v33
	v_pk_fma_f16 v56, v56, v86, v72
	;; [unrolled: 1-line block ×8, first 2 shown]
	v_mul_u32_u24_sdwa v75, v1, s43 dst_sel:DWORD dst_unused:UNUSED_PAD src0_sel:WORD_1 src1_sel:DWORD
	v_mul_u32_u24_sdwa v76, v2, s43 dst_sel:DWORD dst_unused:UNUSED_PAD src0_sel:WORD_0 src1_sel:DWORD
	v_mul_u32_u24_sdwa v77, v2, s43 dst_sel:DWORD dst_unused:UNUSED_PAD src0_sel:WORD_1 src1_sel:DWORD
	v_mul_u32_u24_sdwa v78, v3, s43 dst_sel:DWORD dst_unused:UNUSED_PAD src0_sel:WORD_0 src1_sel:DWORD
	v_mul_u32_u24_sdwa v88, v3, s43 dst_sel:DWORD dst_unused:UNUSED_PAD src0_sel:WORD_1 src1_sel:DWORD
	ds_read2_b64 v[0:3], v54 offset0:192 offset1:224
	s_waitcnt lgkmcnt(0)
	s_barrier
	s_load_dword s4, s[34:35], 0x4
	v_pk_fma_f16 v55, v60, v85, v55
	v_pk_fma_f16 v80, v61, v85, v80
	;; [unrolled: 1-line block ×8, first 2 shown]
	s_waitcnt lgkmcnt(0)
	s_lshl_b32 s4, s4, 6
	v_pk_fma_f16 v33, v64, v87, v33
	v_pk_fma_f16 v56, v64, v75, v56
	;; [unrolled: 1-line block ×16, first 2 shown]
	s_add_i32 s2, s4, s2
	v_pk_fma_f16 v33, v68, v76, v33
	v_pk_fma_f16 v56, v68, v77, v56
	;; [unrolled: 1-line block ×16, first 2 shown]
	s_cmp_ge_i32 s2, s28
	v_pk_fma_f16 v65, v24, v78, v33
	v_pk_fma_f16 v57, v24, v88, v56
	;; [unrolled: 1-line block ×16, first 2 shown]
	s_cbranch_scc0 .LBB5_9
.LBB5_10:
	v_cmp_lt_i32_e32 vcc, v42, v37
	s_cmp_lg_u64 s[44:45], 0
	s_cselect_b64 s[4:5], -1, 0
	v_cndmask_b32_e32 v0, v15, v42, vcc
	v_lshlrev_b32_e32 v1, 2, v0
	ds_bpermute_b32 v0, v1, v6
	ds_bpermute_b32 v1, v1, v7
	v_cmp_lt_i32_e32 vcc, v41, v37
	s_cmp_eq_u32 s3, 0
	s_cselect_b64 s[6:7], -1, 0
	v_cndmask_b32_e32 v2, v15, v41, vcc
	v_lshlrev_b32_e32 v3, 2, v2
	s_waitcnt lgkmcnt(0)
	v_pk_add_f32 v[0:1], v[6:7], v[0:1]
	ds_bpermute_b32 v2, v3, v0
	ds_bpermute_b32 v3, v3, v1
	v_cmp_lt_i32_e32 vcc, v40, v37
	s_and_b64 s[4:5], s[6:7], s[4:5]
	s_waitcnt lgkmcnt(0)
	v_pk_add_f32 v[0:1], v[0:1], v[2:3]
	v_cndmask_b32_e32 v6, v15, v40, vcc
	v_lshlrev_b32_e32 v6, 2, v6
	ds_bpermute_b32 v2, v6, v0
	ds_bpermute_b32 v3, v6, v1
	v_cmp_lt_i32_e32 vcc, v39, v37
	s_waitcnt lgkmcnt(0)
	v_pk_add_f32 v[0:1], v[0:1], v[2:3]
	v_cndmask_b32_e32 v6, v15, v39, vcc
	v_lshlrev_b32_e32 v6, 2, v6
	ds_bpermute_b32 v2, v6, v0
	ds_bpermute_b32 v3, v6, v1
	v_cmp_lt_i32_e32 vcc, v38, v37
	s_waitcnt lgkmcnt(0)
	v_pk_add_f32 v[0:1], v[0:1], v[2:3]
	v_cndmask_b32_e32 v6, v15, v38, vcc
	v_lshlrev_b32_e32 v6, 2, v6
	ds_bpermute_b32 v2, v6, v0
	ds_bpermute_b32 v3, v6, v1
	s_and_b64 vcc, exec, s[4:5]
	s_waitcnt lgkmcnt(0)
	v_pk_add_f32 v[0:1], v[0:1], v[2:3]
	s_cbranch_vccz .LBB5_12
; %bb.11:
	v_add_u32_e32 v2, s29, v34
	v_ashrrev_i32_e32 v3, 31, v2
	v_lshl_add_u64 v[2:3], v[2:3], 2, s[44:45]
	global_load_dwordx2 v[2:3], v[2:3], off
	v_max_f32_e32 v6, v18, v18
	v_max_f32_e32 v7, v19, v19
	s_mov_b32 s2, 0x3fb8aa3b
	s_mov_b32 s4, 0xc2ce8ed0
	;; [unrolled: 1-line block ×3, first 2 shown]
	v_mov_b32_e32 v9, 0x7f800000
	s_waitcnt vmcnt(0)
	v_max_f32_e32 v8, v2, v2
	v_max_f32_e32 v6, v6, v8
	;; [unrolled: 1-line block ×3, first 2 shown]
	v_sub_f32_e32 v8, v18, v6
	v_max_f32_e32 v7, v7, v10
	v_sub_f32_e32 v10, v2, v6
	v_mul_f32_e32 v2, 0x3fb8aa3b, v8
	v_sub_f32_e32 v11, v19, v7
	v_sub_f32_e32 v12, v3, v7
	v_mul_f32_e32 v3, 0x3fb8aa3b, v10
	v_fma_f32 v15, v8, s2, -v2
	v_rndne_f32_e32 v16, v2
	v_mul_f32_e32 v13, 0x3fb8aa3b, v11
	v_fma_f32 v17, v10, s2, -v3
	v_rndne_f32_e32 v18, v3
	v_fmac_f32_e32 v15, 0x32a5705f, v8
	v_sub_f32_e32 v2, v2, v16
	v_mul_f32_e32 v14, 0x3fb8aa3b, v12
	v_fma_f32 v19, v11, s2, -v13
	v_rndne_f32_e32 v20, v13
	v_fmac_f32_e32 v17, 0x32a5705f, v10
	v_sub_f32_e32 v3, v3, v18
	v_add_f32_e32 v2, v2, v15
	v_fma_f32 v21, v12, s2, -v14
	v_rndne_f32_e32 v22, v14
	v_cvt_i32_f32_e32 v16, v16
	v_fmac_f32_e32 v19, 0x32a5705f, v11
	v_sub_f32_e32 v13, v13, v20
	v_add_f32_e32 v3, v3, v17
	v_exp_f32_e32 v2, v2
	v_cvt_i32_f32_e32 v18, v18
	v_fmac_f32_e32 v21, 0x32a5705f, v12
	v_sub_f32_e32 v14, v14, v22
	v_add_f32_e32 v13, v13, v19
	v_exp_f32_e32 v3, v3
	v_cvt_i32_f32_e32 v20, v20
	v_add_f32_e32 v14, v14, v21
	v_exp_f32_e32 v13, v13
	v_cvt_i32_f32_e32 v22, v22
	v_exp_f32_e32 v14, v14
	v_ldexp_f32 v2, v2, v16
	v_cmp_ngt_f32_e32 vcc, s4, v8
	v_ldexp_f32 v3, v3, v18
	v_ldexp_f32 v13, v13, v20
	v_cndmask_b32_e32 v2, 0, v2, vcc
	v_cmp_ngt_f32_e32 vcc, s4, v10
	v_ldexp_f32 v14, v14, v22
	v_mov_b64_e32 v[18:19], v[6:7]
	v_cndmask_b32_e32 v3, 0, v3, vcc
	v_cmp_ngt_f32_e32 vcc, s4, v11
	s_nop 1
	v_cndmask_b32_e32 v13, 0, v13, vcc
	v_cmp_ngt_f32_e32 vcc, s4, v12
	s_nop 1
	v_cndmask_b32_e32 v14, 0, v14, vcc
	v_cmp_nlt_f32_e32 vcc, s5, v8
	s_nop 1
	v_cndmask_b32_e32 v2, v9, v2, vcc
	v_cmp_nlt_f32_e32 vcc, s5, v10
	v_cvt_f16_f32_e32 v10, v2
	s_nop 0
	v_cndmask_b32_e32 v8, v9, v3, vcc
	v_cmp_nlt_f32_e32 vcc, s5, v11
	s_nop 1
	v_cndmask_b32_e32 v3, v9, v13, vcc
	v_cvt_f16_f32_e32 v11, v3
	v_cmp_nlt_f32_e32 vcc, s5, v12
	s_nop 1
	v_cndmask_b32_e32 v9, v9, v14, vcc
	v_pk_fma_f32 v[0:1], v[0:1], v[2:3], v[8:9]
	v_mul_u32_u24_e32 v2, 0x10001, v10
	v_mul_u32_u24_e32 v3, 0x10001, v11
	v_pk_mul_f16 v65, v65, v2
	v_pk_mul_f16 v70, v70, v2
	;; [unrolled: 1-line block ×16, first 2 shown]
.LBB5_12:
	v_cmp_gt_i32_e32 vcc, s26, v5
	s_and_saveexec_b64 s[4:5], vcc
	s_cbranch_execz .LBB5_21
; %bb.13:
	s_load_dword s6, s[0:1], 0xd4
	v_mov_b32_e32 v6, 1.0
	s_waitcnt lgkmcnt(0)
	s_cmp_lg_u32 s6, 1
	s_cselect_b64 s[0:1], -1, 0
	s_cmp_eq_u32 s6, 1
	s_cselect_b64 s[4:5], -1, 0
	s_and_b64 vcc, exec, s[0:1]
	s_cbranch_vccnz .LBB5_15
; %bb.14:
	v_div_scale_f32 v2, s[8:9], v0, v0, 1.0
	v_rcp_f32_e32 v3, v2
	v_div_scale_f32 v6, vcc, 1.0, v0, 1.0
	v_fma_f32 v7, -v2, v3, 1.0
	v_fmac_f32_e32 v3, v7, v3
	v_mul_f32_e32 v7, v6, v3
	v_fma_f32 v8, -v2, v7, v6
	v_fmac_f32_e32 v7, v8, v3
	v_fma_f32 v2, -v2, v7, v6
	v_div_fmas_f32 v2, v2, v3, v7
	v_div_fixup_f32 v6, v2, v0, 1.0
.LBB5_15:
	s_mul_i32 s33, s33, s26
	v_add_u32_e32 v2, s33, v5
	v_mul_lo_u32 v2, v2, s27
	v_add3_u32 v2, s29, v34, v2
	v_cvt_f32_f16_sdwa v9, v65 dst_sel:DWORD dst_unused:UNUSED_PAD src0_sel:WORD_1
	v_cvt_f32_f16_e32 v8, v65
	v_cvt_f32_f16_sdwa v11, v70 dst_sel:DWORD dst_unused:UNUSED_PAD src0_sel:WORD_1
	v_cvt_f32_f16_e32 v10, v70
	v_mul_lo_u32 v2, s6, v2
	v_add_u32_e32 v2, s3, v2
	v_cmp_eq_u32_e32 vcc, 0, v4
	v_lshl_add_u32 v4, v2, 9, v35
	v_mov_b32_e32 v5, 0
	v_lshl_add_u64 v[12:13], v[4:5], 2, s[48:49]
	v_pk_mul_f32 v[8:9], v[6:7], v[8:9] op_sel_hi:[0,1]
	v_pk_mul_f32 v[10:11], v[6:7], v[10:11] op_sel_hi:[0,1]
	global_store_dwordx4 v[12:13], v[8:11], off
	v_cvt_f32_f16_sdwa v13, v66 dst_sel:DWORD dst_unused:UNUSED_PAD src0_sel:WORD_1
	v_cvt_f32_f16_e32 v12, v66
	v_cvt_f32_f16_sdwa v11, v68 dst_sel:DWORD dst_unused:UNUSED_PAD src0_sel:WORD_1
	v_cvt_f32_f16_e32 v10, v68
	v_add_u32_e32 v8, 0x80, v4
	v_mov_b32_e32 v9, v5
	v_lshl_add_u64 v[14:15], v[8:9], 2, s[48:49]
	v_pk_mul_f32 v[8:9], v[6:7], v[10:11] op_sel_hi:[0,1]
	v_pk_mul_f32 v[10:11], v[6:7], v[12:13] op_sel_hi:[0,1]
	global_store_dwordx4 v[14:15], v[8:11], off
	v_cvt_f32_f16_sdwa v13, v67 dst_sel:DWORD dst_unused:UNUSED_PAD src0_sel:WORD_1
	v_cvt_f32_f16_e32 v12, v67
	v_cvt_f32_f16_sdwa v11, v69 dst_sel:DWORD dst_unused:UNUSED_PAD src0_sel:WORD_1
	v_cvt_f32_f16_e32 v10, v69
	v_add_u32_e32 v8, 0x100, v4
	v_mov_b32_e32 v9, v5
	v_lshl_add_u64 v[14:15], v[8:9], 2, s[48:49]
	v_pk_mul_f32 v[8:9], v[6:7], v[10:11] op_sel_hi:[0,1]
	v_pk_mul_f32 v[10:11], v[6:7], v[12:13] op_sel_hi:[0,1]
	global_store_dwordx4 v[14:15], v[8:11], off
	v_add_u32_e32 v4, 0x180, v4
	s_and_b64 s[0:1], vcc, s[0:1]
	v_cvt_f32_f16_sdwa v9, v64 dst_sel:DWORD dst_unused:UNUSED_PAD src0_sel:WORD_1
	v_cvt_f32_f16_e32 v8, v64
	v_cvt_f32_f16_sdwa v11, v63 dst_sel:DWORD dst_unused:UNUSED_PAD src0_sel:WORD_1
	v_cvt_f32_f16_e32 v10, v63
	v_lshl_add_u64 v[12:13], v[4:5], 2, s[48:49]
	v_pk_mul_f32 v[4:5], v[6:7], v[8:9] op_sel_hi:[0,1]
	v_pk_mul_f32 v[6:7], v[6:7], v[10:11] op_sel_hi:[0,1]
	global_store_dwordx4 v[12:13], v[4:7], off
	s_and_saveexec_b64 s[2:3], s[0:1]
	s_cbranch_execz .LBB5_17
; %bb.16:
	v_ashrrev_i32_e32 v3, 31, v2
	v_lshl_add_u64 v[4:5], v[2:3], 3, s[50:51]
	v_mov_b32_e32 v6, v18
	v_mov_b32_e32 v7, v0
	global_store_dwordx2 v[4:5], v[6:7], off
.LBB5_17:
	s_or_b64 exec, exec, s[2:3]
	s_andn2_b64 vcc, exec, s[4:5]
	v_mov_b32_e32 v0, 1.0
	s_cbranch_vccnz .LBB5_19
; %bb.18:
	v_div_scale_f32 v0, s[2:3], v1, v1, 1.0
	v_rcp_f32_e32 v3, v0
	v_div_scale_f32 v4, vcc, 1.0, v1, 1.0
	v_fma_f32 v5, -v0, v3, 1.0
	v_fmac_f32_e32 v3, v5, v3
	v_mul_f32_e32 v5, v4, v3
	v_fma_f32 v6, -v0, v5, v4
	v_fmac_f32_e32 v5, v6, v3
	v_fma_f32 v0, -v0, v5, v4
	v_div_fmas_f32 v0, v0, v3, v5
	v_div_fixup_f32 v0, v0, v1, 1.0
.LBB5_19:
	v_cvt_f32_f16_sdwa v5, v57 dst_sel:DWORD dst_unused:UNUSED_PAD src0_sel:WORD_1
	v_cvt_f32_f16_e32 v4, v57
	v_cvt_f32_f16_sdwa v7, v62 dst_sel:DWORD dst_unused:UNUSED_PAD src0_sel:WORD_1
	v_cvt_f32_f16_e32 v6, v62
	v_add_u32_e32 v2, s6, v2
	v_lshl_add_u32 v8, v2, 9, v35
	v_mov_b32_e32 v9, 0
	v_lshl_add_u64 v[10:11], v[8:9], 2, s[48:49]
	v_pk_mul_f32 v[4:5], v[0:1], v[4:5] op_sel_hi:[0,1]
	v_pk_mul_f32 v[6:7], v[0:1], v[6:7] op_sel_hi:[0,1]
	global_store_dwordx4 v[10:11], v[4:7], off
	v_cvt_f32_f16_sdwa v11, v58 dst_sel:DWORD dst_unused:UNUSED_PAD src0_sel:WORD_1
	v_cvt_f32_f16_e32 v10, v58
	v_cvt_f32_f16_sdwa v7, v60 dst_sel:DWORD dst_unused:UNUSED_PAD src0_sel:WORD_1
	v_cvt_f32_f16_e32 v6, v60
	v_add_u32_e32 v4, 0x80, v8
	v_mov_b32_e32 v5, v9
	v_lshl_add_u64 v[12:13], v[4:5], 2, s[48:49]
	v_pk_mul_f32 v[4:5], v[0:1], v[6:7] op_sel_hi:[0,1]
	v_pk_mul_f32 v[6:7], v[0:1], v[10:11] op_sel_hi:[0,1]
	global_store_dwordx4 v[12:13], v[4:7], off
	v_cvt_f32_f16_sdwa v11, v59 dst_sel:DWORD dst_unused:UNUSED_PAD src0_sel:WORD_1
	v_cvt_f32_f16_e32 v10, v59
	v_cvt_f32_f16_sdwa v7, v61 dst_sel:DWORD dst_unused:UNUSED_PAD src0_sel:WORD_1
	v_cvt_f32_f16_e32 v6, v61
	v_add_u32_e32 v4, 0x100, v8
	v_mov_b32_e32 v5, v9
	v_lshl_add_u64 v[12:13], v[4:5], 2, s[48:49]
	v_pk_mul_f32 v[4:5], v[0:1], v[6:7] op_sel_hi:[0,1]
	v_pk_mul_f32 v[6:7], v[0:1], v[10:11] op_sel_hi:[0,1]
	global_store_dwordx4 v[12:13], v[4:7], off
	v_add_u32_e32 v8, 0x180, v8
	v_lshl_add_u64 v[8:9], v[8:9], 2, s[48:49]
	v_cvt_f32_f16_sdwa v5, v56 dst_sel:DWORD dst_unused:UNUSED_PAD src0_sel:WORD_1
	v_cvt_f32_f16_e32 v4, v56
	v_cvt_f32_f16_sdwa v7, v55 dst_sel:DWORD dst_unused:UNUSED_PAD src0_sel:WORD_1
	v_cvt_f32_f16_e32 v6, v55
	v_pk_mul_f32 v[4:5], v[0:1], v[4:5] op_sel_hi:[0,1]
	v_pk_mul_f32 v[6:7], v[0:1], v[6:7] op_sel_hi:[0,1]
	global_store_dwordx4 v[8:9], v[4:7], off
	s_and_b64 exec, exec, s[0:1]
	s_cbranch_execz .LBB5_21
; %bb.20:
	v_ashrrev_i32_e32 v3, 31, v2
	v_lshl_add_u64 v[2:3], v[2:3], 3, s[50:51]
	v_mov_b32_e32 v0, v19
	global_store_dwordx2 v[2:3], v[0:1], off
.LBB5_21:
	s_endpgm
	.section	.rodata,"a",@progbits
	.p2align	6, 0x0
	.amdhsa_kernel _ZL15flash_attn_tileILi512ELi512ELi2ELi8ELb0EEvPKcS1_S1_S1_S1_PKiPfP15HIP_vector_typeIfLj2EEffffjfiS5_IjLj3EEiiiiiiiiiiiliiliiiiil
		.amdhsa_group_segment_fixed_size 27648
		.amdhsa_private_segment_fixed_size 0
		.amdhsa_kernarg_size 464
		.amdhsa_user_sgpr_count 2
		.amdhsa_user_sgpr_dispatch_ptr 0
		.amdhsa_user_sgpr_queue_ptr 0
		.amdhsa_user_sgpr_kernarg_segment_ptr 1
		.amdhsa_user_sgpr_dispatch_id 0
		.amdhsa_user_sgpr_kernarg_preload_length 0
		.amdhsa_user_sgpr_kernarg_preload_offset 0
		.amdhsa_user_sgpr_private_segment_size 0
		.amdhsa_uses_dynamic_stack 0
		.amdhsa_enable_private_segment 0
		.amdhsa_system_sgpr_workgroup_id_x 1
		.amdhsa_system_sgpr_workgroup_id_y 1
		.amdhsa_system_sgpr_workgroup_id_z 1
		.amdhsa_system_sgpr_workgroup_info 0
		.amdhsa_system_vgpr_workitem_id 1
		.amdhsa_next_free_vgpr 93
		.amdhsa_next_free_sgpr 96
		.amdhsa_accum_offset 96
		.amdhsa_reserve_vcc 1
		.amdhsa_float_round_mode_32 0
		.amdhsa_float_round_mode_16_64 0
		.amdhsa_float_denorm_mode_32 3
		.amdhsa_float_denorm_mode_16_64 3
		.amdhsa_dx10_clamp 1
		.amdhsa_ieee_mode 1
		.amdhsa_fp16_overflow 0
		.amdhsa_tg_split 0
		.amdhsa_exception_fp_ieee_invalid_op 0
		.amdhsa_exception_fp_denorm_src 0
		.amdhsa_exception_fp_ieee_div_zero 0
		.amdhsa_exception_fp_ieee_overflow 0
		.amdhsa_exception_fp_ieee_underflow 0
		.amdhsa_exception_fp_ieee_inexact 0
		.amdhsa_exception_int_div_zero 0
	.end_amdhsa_kernel
	.section	.text._ZL15flash_attn_tileILi512ELi512ELi2ELi8ELb0EEvPKcS1_S1_S1_S1_PKiPfP15HIP_vector_typeIfLj2EEffffjfiS5_IjLj3EEiiiiiiiiiiiliiliiiiil,"axG",@progbits,_ZL15flash_attn_tileILi512ELi512ELi2ELi8ELb0EEvPKcS1_S1_S1_S1_PKiPfP15HIP_vector_typeIfLj2EEffffjfiS5_IjLj3EEiiiiiiiiiiiliiliiiiil,comdat
.Lfunc_end5:
	.size	_ZL15flash_attn_tileILi512ELi512ELi2ELi8ELb0EEvPKcS1_S1_S1_S1_PKiPfP15HIP_vector_typeIfLj2EEffffjfiS5_IjLj3EEiiiiiiiiiiiliiliiiiil, .Lfunc_end5-_ZL15flash_attn_tileILi512ELi512ELi2ELi8ELb0EEvPKcS1_S1_S1_S1_PKiPfP15HIP_vector_typeIfLj2EEffffjfiS5_IjLj3EEiiiiiiiiiiiliiliiiiil
                                        ; -- End function
	.set _ZL15flash_attn_tileILi512ELi512ELi2ELi8ELb0EEvPKcS1_S1_S1_S1_PKiPfP15HIP_vector_typeIfLj2EEffffjfiS5_IjLj3EEiiiiiiiiiiiliiliiiiil.num_vgpr, 93
	.set _ZL15flash_attn_tileILi512ELi512ELi2ELi8ELb0EEvPKcS1_S1_S1_S1_PKiPfP15HIP_vector_typeIfLj2EEffffjfiS5_IjLj3EEiiiiiiiiiiiliiliiiiil.num_agpr, 0
	.set _ZL15flash_attn_tileILi512ELi512ELi2ELi8ELb0EEvPKcS1_S1_S1_S1_PKiPfP15HIP_vector_typeIfLj2EEffffjfiS5_IjLj3EEiiiiiiiiiiiliiliiiiil.numbered_sgpr, 52
	.set _ZL15flash_attn_tileILi512ELi512ELi2ELi8ELb0EEvPKcS1_S1_S1_S1_PKiPfP15HIP_vector_typeIfLj2EEffffjfiS5_IjLj3EEiiiiiiiiiiiliiliiiiil.num_named_barrier, 0
	.set _ZL15flash_attn_tileILi512ELi512ELi2ELi8ELb0EEvPKcS1_S1_S1_S1_PKiPfP15HIP_vector_typeIfLj2EEffffjfiS5_IjLj3EEiiiiiiiiiiiliiliiiiil.private_seg_size, 0
	.set _ZL15flash_attn_tileILi512ELi512ELi2ELi8ELb0EEvPKcS1_S1_S1_S1_PKiPfP15HIP_vector_typeIfLj2EEffffjfiS5_IjLj3EEiiiiiiiiiiiliiliiiiil.uses_vcc, 1
	.set _ZL15flash_attn_tileILi512ELi512ELi2ELi8ELb0EEvPKcS1_S1_S1_S1_PKiPfP15HIP_vector_typeIfLj2EEffffjfiS5_IjLj3EEiiiiiiiiiiiliiliiiiil.uses_flat_scratch, 0
	.set _ZL15flash_attn_tileILi512ELi512ELi2ELi8ELb0EEvPKcS1_S1_S1_S1_PKiPfP15HIP_vector_typeIfLj2EEffffjfiS5_IjLj3EEiiiiiiiiiiiliiliiiiil.has_dyn_sized_stack, 0
	.set _ZL15flash_attn_tileILi512ELi512ELi2ELi8ELb0EEvPKcS1_S1_S1_S1_PKiPfP15HIP_vector_typeIfLj2EEffffjfiS5_IjLj3EEiiiiiiiiiiiliiliiiiil.has_recursion, 0
	.set _ZL15flash_attn_tileILi512ELi512ELi2ELi8ELb0EEvPKcS1_S1_S1_S1_PKiPfP15HIP_vector_typeIfLj2EEffffjfiS5_IjLj3EEiiiiiiiiiiiliiliiiiil.has_indirect_call, 0
	.section	.AMDGPU.csdata,"",@progbits
; Kernel info:
; codeLenInByte = 38924
; TotalNumSgprs: 58
; NumVgprs: 93
; NumAgprs: 0
; TotalNumVgprs: 93
; ScratchSize: 0
; MemoryBound: 0
; FloatMode: 240
; IeeeMode: 1
; LDSByteSize: 27648 bytes/workgroup (compile time only)
; SGPRBlocks: 12
; VGPRBlocks: 11
; NumSGPRsForWavesPerEU: 102
; NumVGPRsForWavesPerEU: 93
; AccumOffset: 96
; Occupancy: 5
; WaveLimiterHint : 1
; COMPUTE_PGM_RSRC2:SCRATCH_EN: 0
; COMPUTE_PGM_RSRC2:USER_SGPR: 2
; COMPUTE_PGM_RSRC2:TRAP_HANDLER: 0
; COMPUTE_PGM_RSRC2:TGID_X_EN: 1
; COMPUTE_PGM_RSRC2:TGID_Y_EN: 1
; COMPUTE_PGM_RSRC2:TGID_Z_EN: 1
; COMPUTE_PGM_RSRC2:TIDIG_COMP_CNT: 1
; COMPUTE_PGM_RSRC3_GFX90A:ACCUM_OFFSET: 23
; COMPUTE_PGM_RSRC3_GFX90A:TG_SPLIT: 0
	.section	.text._ZL25flash_attn_mask_to_KV_maxILi2EEvPK7__half2Piiii,"axG",@progbits,_ZL25flash_attn_mask_to_KV_maxILi2EEvPK7__half2Piiii,comdat
	.globl	_ZL25flash_attn_mask_to_KV_maxILi2EEvPK7__half2Piiii ; -- Begin function _ZL25flash_attn_mask_to_KV_maxILi2EEvPK7__half2Piiii
	.p2align	8
	.type	_ZL25flash_attn_mask_to_KV_maxILi2EEvPK7__half2Piiii,@function
_ZL25flash_attn_mask_to_KV_maxILi2EEvPK7__half2Piiii: ; @_ZL25flash_attn_mask_to_KV_maxILi2EEvPK7__half2Piiii
; %bb.0:
	s_load_dwordx4 s[4:7], s[0:1], 0x0
	v_cmp_gt_u32_e32 vcc, 32, v0
	s_and_saveexec_b64 s[8:9], vcc
; %bb.1:
	v_lshlrev_b32_e32 v1, 2, v0
	v_mov_b32_e32 v2, 1
	ds_write_b32 v1, v2
; %bb.2:
	s_or_b64 exec, exec, s[8:9]
	s_load_dwordx4 s[8:11], s[0:1], 0x10
	s_load_dword s16, s[0:1], 0x20
	v_and_b32_e32 v2, 31, v0
	v_lshlrev_b32_e32 v4, 2, v2
	v_lshrrev_b32_e32 v1, 3, v0
	s_waitcnt lgkmcnt(0)
	s_mul_i32 s1, s2, s9
	s_mul_i32 s0, s10, s3
	s_lshl_b32 s1, s1, 1
	s_add_i32 s0, s0, s1
	s_ashr_i32 s1, s0, 31
	s_lshl_b64 s[0:1], s[0:1], 2
	s_add_u32 s10, s4, s0
	s_addc_u32 s11, s5, s1
	v_cmp_eq_u32_e64 s[0:1], 0, v2
	v_mbcnt_lo_u32_b32 v2, -1, 0
	v_mbcnt_hi_u32_b32 v5, -1, v2
	v_and_b32_e32 v2, 0x60, v5
	s_lshl_b32 s8, s8, 8
	s_mov_b64 s[12:13], 0
	v_mov_b32_e32 v3, 0
	s_movk_i32 s17, 0x204
	v_add_u32_e32 v6, 32, v2
	v_xor_b32_e32 v7, 16, v5
	v_xor_b32_e32 v8, 8, v5
	;; [unrolled: 1-line block ×5, first 2 shown]
	s_barrier
                                        ; implicit-def: $sgpr4_sgpr5
	s_branch .LBB6_5
.LBB6_3:                                ;   in Loop: Header=BB6_5 Depth=1
	s_or_b64 exec, exec, s[14:15]
	s_waitcnt lgkmcnt(0)
	s_barrier
	ds_read_b32 v16, v4
	s_waitcnt lgkmcnt(0)
	s_barrier
	ds_bpermute_b32 v2, v2, v16
	v_cmp_ne_u32_e32 vcc, 0, v16
	s_waitcnt lgkmcnt(0)
	v_cmp_ne_u32_e64 s[4:5], 0, v2
	s_and_b64 s[4:5], vcc, s[4:5]
	s_nop 0
	v_cndmask_b32_e64 v2, 0, 1, s[4:5]
	ds_bpermute_b32 v2, v12, v2
	s_waitcnt lgkmcnt(0)
	v_cmp_ne_u32_e32 vcc, 0, v2
	s_and_b64 s[4:5], vcc, s[4:5]
	v_cndmask_b32_e64 v2, 0, 1, s[4:5]
	ds_bpermute_b32 v2, v13, v2
	s_waitcnt lgkmcnt(0)
	v_cmp_ne_u32_e32 vcc, 0, v2
	s_and_b64 s[4:5], vcc, s[4:5]
	;; [unrolled: 5-line block ×3, first 2 shown]
	v_cndmask_b32_e64 v2, 0, 1, s[4:5]
	ds_bpermute_b32 v2, v15, v2
	s_xor_b64 s[4:5], s[4:5], -1
	s_waitcnt lgkmcnt(0)
	v_cmp_eq_u32_e32 vcc, 0, v2
	s_or_b64 s[4:5], vcc, s[4:5]
.LBB6_4:                                ;   in Loop: Header=BB6_5 Depth=1
	s_and_b64 s[14:15], exec, s[4:5]
	s_or_b64 s[12:13], s[14:15], s[12:13]
	v_mov_b32_e32 v2, s8
	s_mov_b32 s8, s18
	s_andn2_b64 exec, exec, s[12:13]
	s_cbranch_execz .LBB6_12
.LBB6_5:                                ; =>This Inner Loop Header: Depth=1
	s_add_i32 s18, s8, 0xffffff00
	s_or_b64 s[4:5], s[4:5], exec
	s_cmp_lt_i32 s18, 0
	s_cbranch_scc1 .LBB6_4
; %bb.6:                                ;   in Loop: Header=BB6_5 Depth=1
	s_lshr_b32 s4, s18, 1
	v_add_u32_e32 v2, s4, v0
	v_lshl_add_u64 v[12:13], v[2:3], 2, s[10:11]
	global_load_dword v12, v[12:13], off
	s_waitcnt vmcnt(0)
	v_cmp_class_f16_e64 s[4:5], v12, s17
	v_cmp_class_f16_sdwa s[14:15], v12, s17 src0_sel:WORD_1 src1_sel:DWORD
	s_and_b64 s[14:15], s[4:5], s[14:15]
	v_mov_b32_e32 v12, 0
	s_and_saveexec_b64 s[4:5], s[14:15]
	s_cbranch_execz .LBB6_10
; %bb.7:                                ;   in Loop: Header=BB6_5 Depth=1
	v_add_u32_e32 v12, s9, v2
	v_ashrrev_i32_e32 v13, 31, v12
	v_lshl_add_u64 v[12:13], v[12:13], 2, s[10:11]
	global_load_dword v2, v[12:13], off
	v_mov_b32_e32 v12, 0
	s_waitcnt vmcnt(0)
	v_cmp_class_f16_e64 s[20:21], v2, s17
	s_and_saveexec_b64 s[14:15], s[20:21]
; %bb.8:                                ;   in Loop: Header=BB6_5 Depth=1
	v_cmp_class_f16_sdwa s[20:21], v2, s17 src0_sel:WORD_1 src1_sel:DWORD
	s_nop 1
	v_cndmask_b32_e64 v12, 0, 1, s[20:21]
; %bb.9:                                ;   in Loop: Header=BB6_5 Depth=1
	s_or_b64 exec, exec, s[14:15]
.LBB6_10:                               ;   in Loop: Header=BB6_5 Depth=1
	s_or_b64 exec, exec, s[4:5]
	v_cmp_lt_i32_e32 vcc, v7, v6
	s_nop 1
	v_cndmask_b32_e32 v2, v5, v7, vcc
	v_lshlrev_b32_e32 v2, 2, v2
	ds_bpermute_b32 v13, v2, v12
	v_cmp_ne_u32_e32 vcc, 0, v12
	s_waitcnt lgkmcnt(0)
	v_cmp_ne_u32_e64 s[4:5], 0, v13
	s_and_b64 s[4:5], vcc, s[4:5]
	v_cmp_lt_i32_e32 vcc, v8, v6
	v_cndmask_b32_e64 v13, 0, 1, s[4:5]
	s_nop 0
	v_cndmask_b32_e32 v12, v5, v8, vcc
	v_lshlrev_b32_e32 v12, 2, v12
	ds_bpermute_b32 v13, v12, v13
	s_waitcnt lgkmcnt(0)
	v_cmp_ne_u32_e32 vcc, 0, v13
	s_and_b64 s[4:5], vcc, s[4:5]
	v_cmp_lt_i32_e32 vcc, v9, v6
	v_cndmask_b32_e64 v14, 0, 1, s[4:5]
	s_nop 0
	v_cndmask_b32_e32 v13, v5, v9, vcc
	v_lshlrev_b32_e32 v13, 2, v13
	ds_bpermute_b32 v14, v13, v14
	s_waitcnt lgkmcnt(0)
	v_cmp_ne_u32_e32 vcc, 0, v14
	;; [unrolled: 9-line block ×3, first 2 shown]
	s_and_b64 s[4:5], vcc, s[4:5]
	v_cmp_lt_i32_e32 vcc, v11, v6
	v_cndmask_b32_e64 v16, 0, 1, s[4:5]
	s_nop 0
	v_cndmask_b32_e32 v15, v5, v11, vcc
	v_lshlrev_b32_e32 v15, 2, v15
	ds_bpermute_b32 v16, v15, v16
	s_and_saveexec_b64 s[14:15], s[0:1]
	s_cbranch_execz .LBB6_3
; %bb.11:                               ;   in Loop: Header=BB6_5 Depth=1
	s_waitcnt lgkmcnt(0)
	v_cmp_ne_u32_e32 vcc, 0, v16
	s_and_b64 s[4:5], vcc, s[4:5]
	v_cndmask_b32_e64 v16, 0, 1, s[4:5]
	ds_write_b32 v1, v16
	s_branch .LBB6_3
.LBB6_12:
	s_or_b64 exec, exec, s[12:13]
	v_cmp_eq_u32_e32 vcc, 0, v0
	s_and_saveexec_b64 s[0:1], vcc
	s_cbranch_execz .LBB6_14
; %bb.13:
	s_mul_i32 s0, s16, s3
	s_add_i32 s0, s0, s2
	s_ashr_i32 s1, s0, 31
	s_lshl_b64 s[0:1], s[0:1], 2
	s_add_u32 s0, s6, s0
	s_addc_u32 s1, s7, s1
	v_mov_b32_e32 v0, 0
	global_store_dword v0, v2, s[0:1]
.LBB6_14:
	s_endpgm
	.section	.rodata,"a",@progbits
	.p2align	6, 0x0
	.amdhsa_kernel _ZL25flash_attn_mask_to_KV_maxILi2EEvPK7__half2Piiii
		.amdhsa_group_segment_fixed_size 128
		.amdhsa_private_segment_fixed_size 0
		.amdhsa_kernarg_size 288
		.amdhsa_user_sgpr_count 2
		.amdhsa_user_sgpr_dispatch_ptr 0
		.amdhsa_user_sgpr_queue_ptr 0
		.amdhsa_user_sgpr_kernarg_segment_ptr 1
		.amdhsa_user_sgpr_dispatch_id 0
		.amdhsa_user_sgpr_kernarg_preload_length 0
		.amdhsa_user_sgpr_kernarg_preload_offset 0
		.amdhsa_user_sgpr_private_segment_size 0
		.amdhsa_uses_dynamic_stack 0
		.amdhsa_enable_private_segment 0
		.amdhsa_system_sgpr_workgroup_id_x 1
		.amdhsa_system_sgpr_workgroup_id_y 1
		.amdhsa_system_sgpr_workgroup_id_z 0
		.amdhsa_system_sgpr_workgroup_info 0
		.amdhsa_system_vgpr_workitem_id 0
		.amdhsa_next_free_vgpr 17
		.amdhsa_next_free_sgpr 22
		.amdhsa_accum_offset 20
		.amdhsa_reserve_vcc 1
		.amdhsa_float_round_mode_32 0
		.amdhsa_float_round_mode_16_64 0
		.amdhsa_float_denorm_mode_32 3
		.amdhsa_float_denorm_mode_16_64 3
		.amdhsa_dx10_clamp 1
		.amdhsa_ieee_mode 1
		.amdhsa_fp16_overflow 0
		.amdhsa_tg_split 0
		.amdhsa_exception_fp_ieee_invalid_op 0
		.amdhsa_exception_fp_denorm_src 0
		.amdhsa_exception_fp_ieee_div_zero 0
		.amdhsa_exception_fp_ieee_overflow 0
		.amdhsa_exception_fp_ieee_underflow 0
		.amdhsa_exception_fp_ieee_inexact 0
		.amdhsa_exception_int_div_zero 0
	.end_amdhsa_kernel
	.section	.text._ZL25flash_attn_mask_to_KV_maxILi2EEvPK7__half2Piiii,"axG",@progbits,_ZL25flash_attn_mask_to_KV_maxILi2EEvPK7__half2Piiii,comdat
.Lfunc_end6:
	.size	_ZL25flash_attn_mask_to_KV_maxILi2EEvPK7__half2Piiii, .Lfunc_end6-_ZL25flash_attn_mask_to_KV_maxILi2EEvPK7__half2Piiii
                                        ; -- End function
	.set _ZL25flash_attn_mask_to_KV_maxILi2EEvPK7__half2Piiii.num_vgpr, 17
	.set _ZL25flash_attn_mask_to_KV_maxILi2EEvPK7__half2Piiii.num_agpr, 0
	.set _ZL25flash_attn_mask_to_KV_maxILi2EEvPK7__half2Piiii.numbered_sgpr, 22
	.set _ZL25flash_attn_mask_to_KV_maxILi2EEvPK7__half2Piiii.num_named_barrier, 0
	.set _ZL25flash_attn_mask_to_KV_maxILi2EEvPK7__half2Piiii.private_seg_size, 0
	.set _ZL25flash_attn_mask_to_KV_maxILi2EEvPK7__half2Piiii.uses_vcc, 1
	.set _ZL25flash_attn_mask_to_KV_maxILi2EEvPK7__half2Piiii.uses_flat_scratch, 0
	.set _ZL25flash_attn_mask_to_KV_maxILi2EEvPK7__half2Piiii.has_dyn_sized_stack, 0
	.set _ZL25flash_attn_mask_to_KV_maxILi2EEvPK7__half2Piiii.has_recursion, 0
	.set _ZL25flash_attn_mask_to_KV_maxILi2EEvPK7__half2Piiii.has_indirect_call, 0
	.section	.AMDGPU.csdata,"",@progbits
; Kernel info:
; codeLenInByte = 836
; TotalNumSgprs: 28
; NumVgprs: 17
; NumAgprs: 0
; TotalNumVgprs: 17
; ScratchSize: 0
; MemoryBound: 0
; FloatMode: 240
; IeeeMode: 1
; LDSByteSize: 128 bytes/workgroup (compile time only)
; SGPRBlocks: 3
; VGPRBlocks: 2
; NumSGPRsForWavesPerEU: 28
; NumVGPRsForWavesPerEU: 17
; AccumOffset: 20
; Occupancy: 8
; WaveLimiterHint : 0
; COMPUTE_PGM_RSRC2:SCRATCH_EN: 0
; COMPUTE_PGM_RSRC2:USER_SGPR: 2
; COMPUTE_PGM_RSRC2:TRAP_HANDLER: 0
; COMPUTE_PGM_RSRC2:TGID_X_EN: 1
; COMPUTE_PGM_RSRC2:TGID_Y_EN: 1
; COMPUTE_PGM_RSRC2:TGID_Z_EN: 0
; COMPUTE_PGM_RSRC2:TIDIG_COMP_CNT: 0
; COMPUTE_PGM_RSRC3_GFX90A:ACCUM_OFFSET: 4
; COMPUTE_PGM_RSRC3_GFX90A:TG_SPLIT: 0
	.section	.text._ZL33flash_attn_stream_k_fixup_uniformILi512ELi2ELi8EEvPfPK15HIP_vector_typeIfLj2EEiiiiiiS1_IjLj3EES5_S5_,"axG",@progbits,_ZL33flash_attn_stream_k_fixup_uniformILi512ELi2ELi8EEvPfPK15HIP_vector_typeIfLj2EEiiiiiiS1_IjLj3EES5_S5_,comdat
	.globl	_ZL33flash_attn_stream_k_fixup_uniformILi512ELi2ELi8EEvPfPK15HIP_vector_typeIfLj2EEiiiiiiS1_IjLj3EES5_S5_ ; -- Begin function _ZL33flash_attn_stream_k_fixup_uniformILi512ELi2ELi8EEvPfPK15HIP_vector_typeIfLj2EEiiiiiiS1_IjLj3EES5_S5_
	.p2align	8
	.type	_ZL33flash_attn_stream_k_fixup_uniformILi512ELi2ELi8EEvPfPK15HIP_vector_typeIfLj2EEiiiiiiS1_IjLj3EES5_S5_,@function
_ZL33flash_attn_stream_k_fixup_uniformILi512ELi2ELi8EEvPfPK15HIP_vector_typeIfLj2EEiiiiiiS1_IjLj3EES5_S5_: ; @_ZL33flash_attn_stream_k_fixup_uniformILi512ELi2ELi8EEvPfPK15HIP_vector_typeIfLj2EEiiiiiiS1_IjLj3EES5_S5_
; %bb.0:
	s_load_dwordx8 s[8:15], s[0:1], 0x1c
	s_load_dwordx2 s[6:7], s[0:1], 0x10
	s_load_dwordx4 s[20:23], s[0:1], 0x3c
	s_waitcnt lgkmcnt(0)
	s_mul_hi_u32 s5, s11, s2
	s_add_i32 s5, s2, s5
	s_lshr_b32 s5, s5, s12
	s_mul_i32 s11, s5, s13
	s_sub_i32 s11, s2, s11
	s_mul_hi_u32 s12, s11, s14
	s_add_i32 s12, s11, s12
	s_lshr_b32 s16, s12, s15
	s_mul_i32 s12, s16, s20
	s_sub_i32 s11, s11, s12
	;; [unrolled: 5-line block ×3, first 2 shown]
	s_lshl_b32 s11, s12, 3
	s_lshl_b32 s12, s17, 1
	s_add_i32 s12, s12, s3
	s_cmp_lt_i32 s12, s6
	s_cselect_b64 s[12:13], -1, 0
	s_add_i32 s14, s11, s4
	s_cmp_lt_i32 s14, s9
	s_cselect_b64 s[14:15], -1, 0
	s_and_b64 s[12:13], s[12:13], s[14:15]
	s_andn2_b64 vcc, exec, s[12:13]
	s_cbranch_vccnz .LBB7_6
; %bb.1:
	s_load_dwordx4 s[12:15], s[0:1], 0x0
	s_mul_i32 s0, s5, s6
	s_add_i32 s0, s0, s3
	s_mul_i32 s0, s0, s7
	s_mul_i32 s16, s16, s9
	s_add_i32 s0, s0, s4
	s_add_i32 s0, s0, s16
	s_mul_i32 s1, s7, s17
	s_add_i32 s0, s0, s11
	s_lshl_b32 s1, s1, 10
	s_lshl_b32 s0, s0, 9
	s_add_i32 s1, s1, s0
	v_or_b32_e32 v4, s1, v0
	s_waitcnt lgkmcnt(0)
	v_mov_b32_e32 v2, s12
	v_mov_b32_e32 v3, s13
	v_ashrrev_i32_e32 v5, 31, v4
	v_lshl_add_u64 v[2:3], v[4:5], 2, v[2:3]
	global_load_dword v5, v[2:3], off
	s_mul_i32 s5, s10, s2
	s_lshl_b32 s11, s3, 3
	s_add_i32 s9, s5, s10
	s_add_i32 s0, s11, s4
	s_lshl_b32 s1, s9, 4
	s_add_i32 s0, s0, s1
	s_add_i32 s0, s0, -16
	s_ashr_i32 s1, s0, 31
	s_lshl_b64 s[0:1], s[0:1], 3
	s_add_u32 s0, s14, s0
	s_addc_u32 s1, s15, s1
	s_load_dword s12, s[0:1], 0x4
	s_add_i32 s6, s9, -2
	s_cmp_lt_i32 s6, s5
	s_cbranch_scc1 .LBB7_4
; %bb.2:
	s_lshl_b32 s6, s8, 6
	s_ashr_i32 s7, s6, 31
	s_lshl_b64 s[6:7], s[6:7], 2
	s_add_u32 s6, s14, s6
	s_addc_u32 s7, s15, s7
	s_add_i32 s2, s2, 1
	s_load_dword s0, s[0:1], 0x0
	s_mul_i32 s1, s10, s2
	s_lshl_b32 s3, s3, 12
	s_lshl_b32 s10, s4, 9
	;; [unrolled: 1-line block ×3, first 2 shown]
	s_add_i32 s3, s10, s3
	s_lshl_b32 s1, s1, 4
	s_add_i32 s3, s3, s2
	s_add_i32 s1, s4, s1
	s_lshl_b32 s2, s8, 4
	s_add_i32 s1, s1, s2
	v_or_b32_e32 v0, s3, v0
	s_add_i32 s1, s1, s11
	s_add_i32 s9, s9, -1
	v_add_u32_e32 v0, 0xffffc000, v0
	s_sub_i32 s2, s1, 32
	s_waitcnt lgkmcnt(0)
	v_mov_b32_e32 v7, s0
	v_mov_b32_e32 v4, s12
	s_mov_b32 s4, 0x3fb8aa3b
	s_mov_b32 s8, 0xc2ce8ed0
	;; [unrolled: 1-line block ×3, first 2 shown]
	v_mov_b32_e32 v6, 0x7f800000
	s_mov_b32 s11, 0xc1a00000
.LBB7_3:                                ; =>This Inner Loop Header: Depth=1
	v_ashrrev_i32_e32 v1, 31, v0
	v_lshl_add_u64 v[8:9], v[0:1], 2, s[6:7]
	global_load_dword v9, v[8:9], off
	s_ashr_i32 s3, s2, 31
	s_lshl_b64 s[0:1], s[2:3], 3
	s_add_u32 s0, s14, s0
	s_addc_u32 s1, s15, s1
	s_load_dwordx2 s[0:1], s[0:1], 0x0
	v_max_f32_e32 v1, v7, v7
	s_add_i32 s9, s9, -1
	s_add_i32 s2, s2, -16
	v_add_u32_e32 v0, 0xffffe000, v0
	s_waitcnt lgkmcnt(0)
	v_max_f32_e64 v10, s0, s0
	v_max_f32_e32 v1, v1, v10
	v_sub_f32_e32 v11, s0, v1
	v_sub_f32_e32 v10, v7, v1
	v_mul_f32_e32 v12, 0x3fb8aa3b, v11
	v_mov_b32_e32 v7, v1
	v_mul_f32_e32 v1, 0x3fb8aa3b, v10
	v_fma_f32 v15, v11, s4, -v12
	v_rndne_f32_e32 v16, v12
	v_fma_f32 v13, v10, s4, -v1
	v_rndne_f32_e32 v14, v1
	v_fmac_f32_e32 v15, 0x32a5705f, v11
	v_sub_f32_e32 v12, v12, v16
	v_fmac_f32_e32 v13, 0x32a5705f, v10
	v_sub_f32_e32 v1, v1, v14
	v_add_f32_e32 v12, v12, v15
	v_cvt_i32_f32_e32 v16, v16
	v_add_f32_e32 v1, v1, v13
	v_exp_f32_e32 v12, v12
	v_cvt_i32_f32_e32 v14, v14
	v_exp_f32_e32 v1, v1
	v_cmp_ngt_f32_e32 vcc, s8, v11
	v_ldexp_f32 v12, v12, v16
	v_mov_b32_e32 v8, s1
	v_ldexp_f32 v1, v1, v14
	v_cmp_ngt_f32_e64 s[0:1], s8, v10
	v_cndmask_b32_e32 v12, 0, v12, vcc
	v_cmp_nlt_f32_e32 vcc, s10, v11
	v_cndmask_b32_e64 v1, 0, v1, s[0:1]
	v_cmp_nlt_f32_e64 s[0:1], s10, v10
	v_cndmask_b32_e32 v12, v6, v12, vcc
	v_cmp_le_f32_e32 vcc, s11, v11
	v_cndmask_b32_e64 v1, v6, v1, s[0:1]
	v_cmp_le_f32_e64 s[0:1], s11, v10
	v_cndmask_b32_e32 v12, 0, v12, vcc
	s_cmp_le_i32 s9, s5
	v_cndmask_b32_e64 v10, 0, v1, s[0:1]
	s_waitcnt vmcnt(0)
	v_pk_mul_f32 v[8:9], v[8:9], v[12:13] op_sel_hi:[1,0]
	s_nop 0
	v_pk_fma_f32 v[4:5], v[4:5], v[10:11], v[8:9] op_sel_hi:[1,0,1]
	s_cbranch_scc0 .LBB7_3
	s_branch .LBB7_5
.LBB7_4:
	s_waitcnt lgkmcnt(0)
	v_mov_b32_e32 v4, s12
.LBB7_5:
	s_waitcnt vmcnt(0)
	v_div_scale_f32 v0, s[0:1], v4, v4, v5
	v_rcp_f32_e32 v1, v0
	v_div_scale_f32 v6, vcc, v5, v4, v5
	v_fma_f32 v7, -v0, v1, 1.0
	v_fmac_f32_e32 v1, v7, v1
	v_mul_f32_e32 v7, v6, v1
	v_fma_f32 v8, -v0, v7, v6
	v_fmac_f32_e32 v7, v8, v1
	v_fma_f32 v0, -v0, v7, v6
	v_div_fmas_f32 v0, v0, v1, v7
	v_div_fixup_f32 v0, v0, v4, v5
	global_store_dword v[2:3], v0, off
.LBB7_6:
	s_endpgm
	.section	.rodata,"a",@progbits
	.p2align	6, 0x0
	.amdhsa_kernel _ZL33flash_attn_stream_k_fixup_uniformILi512ELi2ELi8EEvPfPK15HIP_vector_typeIfLj2EEiiiiiiS1_IjLj3EES5_S5_
		.amdhsa_group_segment_fixed_size 0
		.amdhsa_private_segment_fixed_size 0
		.amdhsa_kernarg_size 76
		.amdhsa_user_sgpr_count 2
		.amdhsa_user_sgpr_dispatch_ptr 0
		.amdhsa_user_sgpr_queue_ptr 0
		.amdhsa_user_sgpr_kernarg_segment_ptr 1
		.amdhsa_user_sgpr_dispatch_id 0
		.amdhsa_user_sgpr_kernarg_preload_length 0
		.amdhsa_user_sgpr_kernarg_preload_offset 0
		.amdhsa_user_sgpr_private_segment_size 0
		.amdhsa_uses_dynamic_stack 0
		.amdhsa_enable_private_segment 0
		.amdhsa_system_sgpr_workgroup_id_x 1
		.amdhsa_system_sgpr_workgroup_id_y 1
		.amdhsa_system_sgpr_workgroup_id_z 1
		.amdhsa_system_sgpr_workgroup_info 0
		.amdhsa_system_vgpr_workitem_id 0
		.amdhsa_next_free_vgpr 17
		.amdhsa_next_free_sgpr 24
		.amdhsa_accum_offset 20
		.amdhsa_reserve_vcc 1
		.amdhsa_float_round_mode_32 0
		.amdhsa_float_round_mode_16_64 0
		.amdhsa_float_denorm_mode_32 3
		.amdhsa_float_denorm_mode_16_64 3
		.amdhsa_dx10_clamp 1
		.amdhsa_ieee_mode 1
		.amdhsa_fp16_overflow 0
		.amdhsa_tg_split 0
		.amdhsa_exception_fp_ieee_invalid_op 0
		.amdhsa_exception_fp_denorm_src 0
		.amdhsa_exception_fp_ieee_div_zero 0
		.amdhsa_exception_fp_ieee_overflow 0
		.amdhsa_exception_fp_ieee_underflow 0
		.amdhsa_exception_fp_ieee_inexact 0
		.amdhsa_exception_int_div_zero 0
	.end_amdhsa_kernel
	.section	.text._ZL33flash_attn_stream_k_fixup_uniformILi512ELi2ELi8EEvPfPK15HIP_vector_typeIfLj2EEiiiiiiS1_IjLj3EES5_S5_,"axG",@progbits,_ZL33flash_attn_stream_k_fixup_uniformILi512ELi2ELi8EEvPfPK15HIP_vector_typeIfLj2EEiiiiiiS1_IjLj3EES5_S5_,comdat
.Lfunc_end7:
	.size	_ZL33flash_attn_stream_k_fixup_uniformILi512ELi2ELi8EEvPfPK15HIP_vector_typeIfLj2EEiiiiiiS1_IjLj3EES5_S5_, .Lfunc_end7-_ZL33flash_attn_stream_k_fixup_uniformILi512ELi2ELi8EEvPfPK15HIP_vector_typeIfLj2EEiiiiiiS1_IjLj3EES5_S5_
                                        ; -- End function
	.set _ZL33flash_attn_stream_k_fixup_uniformILi512ELi2ELi8EEvPfPK15HIP_vector_typeIfLj2EEiiiiiiS1_IjLj3EES5_S5_.num_vgpr, 17
	.set _ZL33flash_attn_stream_k_fixup_uniformILi512ELi2ELi8EEvPfPK15HIP_vector_typeIfLj2EEiiiiiiS1_IjLj3EES5_S5_.num_agpr, 0
	.set _ZL33flash_attn_stream_k_fixup_uniformILi512ELi2ELi8EEvPfPK15HIP_vector_typeIfLj2EEiiiiiiS1_IjLj3EES5_S5_.numbered_sgpr, 24
	.set _ZL33flash_attn_stream_k_fixup_uniformILi512ELi2ELi8EEvPfPK15HIP_vector_typeIfLj2EEiiiiiiS1_IjLj3EES5_S5_.num_named_barrier, 0
	.set _ZL33flash_attn_stream_k_fixup_uniformILi512ELi2ELi8EEvPfPK15HIP_vector_typeIfLj2EEiiiiiiS1_IjLj3EES5_S5_.private_seg_size, 0
	.set _ZL33flash_attn_stream_k_fixup_uniformILi512ELi2ELi8EEvPfPK15HIP_vector_typeIfLj2EEiiiiiiS1_IjLj3EES5_S5_.uses_vcc, 1
	.set _ZL33flash_attn_stream_k_fixup_uniformILi512ELi2ELi8EEvPfPK15HIP_vector_typeIfLj2EEiiiiiiS1_IjLj3EES5_S5_.uses_flat_scratch, 0
	.set _ZL33flash_attn_stream_k_fixup_uniformILi512ELi2ELi8EEvPfPK15HIP_vector_typeIfLj2EEiiiiiiS1_IjLj3EES5_S5_.has_dyn_sized_stack, 0
	.set _ZL33flash_attn_stream_k_fixup_uniformILi512ELi2ELi8EEvPfPK15HIP_vector_typeIfLj2EEiiiiiiS1_IjLj3EES5_S5_.has_recursion, 0
	.set _ZL33flash_attn_stream_k_fixup_uniformILi512ELi2ELi8EEvPfPK15HIP_vector_typeIfLj2EEiiiiiiS1_IjLj3EES5_S5_.has_indirect_call, 0
	.section	.AMDGPU.csdata,"",@progbits
; Kernel info:
; codeLenInByte = 836
; TotalNumSgprs: 30
; NumVgprs: 17
; NumAgprs: 0
; TotalNumVgprs: 17
; ScratchSize: 0
; MemoryBound: 0
; FloatMode: 240
; IeeeMode: 1
; LDSByteSize: 0 bytes/workgroup (compile time only)
; SGPRBlocks: 3
; VGPRBlocks: 2
; NumSGPRsForWavesPerEU: 30
; NumVGPRsForWavesPerEU: 17
; AccumOffset: 20
; Occupancy: 8
; WaveLimiterHint : 0
; COMPUTE_PGM_RSRC2:SCRATCH_EN: 0
; COMPUTE_PGM_RSRC2:USER_SGPR: 2
; COMPUTE_PGM_RSRC2:TRAP_HANDLER: 0
; COMPUTE_PGM_RSRC2:TGID_X_EN: 1
; COMPUTE_PGM_RSRC2:TGID_Y_EN: 1
; COMPUTE_PGM_RSRC2:TGID_Z_EN: 1
; COMPUTE_PGM_RSRC2:TIDIG_COMP_CNT: 0
; COMPUTE_PGM_RSRC3_GFX90A:ACCUM_OFFSET: 4
; COMPUTE_PGM_RSRC3_GFX90A:TG_SPLIT: 0
	.section	.text._ZL33flash_attn_stream_k_fixup_generalILi512ELi2ELi8EEvPfPK15HIP_vector_typeIfLj2EEiiiiS1_IjLj3EES5_S5_S5_,"axG",@progbits,_ZL33flash_attn_stream_k_fixup_generalILi512ELi2ELi8EEvPfPK15HIP_vector_typeIfLj2EEiiiiS1_IjLj3EES5_S5_S5_,comdat
	.globl	_ZL33flash_attn_stream_k_fixup_generalILi512ELi2ELi8EEvPfPK15HIP_vector_typeIfLj2EEiiiiS1_IjLj3EES5_S5_S5_ ; -- Begin function _ZL33flash_attn_stream_k_fixup_generalILi512ELi2ELi8EEvPfPK15HIP_vector_typeIfLj2EEiiiiS1_IjLj3EES5_S5_S5_
	.p2align	8
	.type	_ZL33flash_attn_stream_k_fixup_generalILi512ELi2ELi8EEvPfPK15HIP_vector_typeIfLj2EEiiiiS1_IjLj3EES5_S5_S5_,@function
_ZL33flash_attn_stream_k_fixup_generalILi512ELi2ELi8EEvPfPK15HIP_vector_typeIfLj2EEiiiiS1_IjLj3EES5_S5_S5_: ; @_ZL33flash_attn_stream_k_fixup_generalILi512ELi2ELi8EEvPfPK15HIP_vector_typeIfLj2EEiiiiS1_IjLj3EES5_S5_S5_
; %bb.0:
	s_load_dwordx4 s[8:11], s[0:1], 0x10
	s_load_dword s22, s[0:1], 0x50
	s_mov_b32 s12, 0
	s_waitcnt lgkmcnt(0)
	s_mul_hi_i32 s13, s11, s2
	s_cmp_lg_u64 s[12:13], 0
	s_mul_i32 s5, s11, s2
	s_cbranch_scc0 .LBB8_20
; %bb.1:
	s_add_u32 s6, s22, 0
	s_addc_u32 s7, 0, 0
	s_xor_b64 s[6:7], s[6:7], 0
	v_cvt_f32_u32_e32 v1, s6
	v_cvt_f32_u32_e32 v2, s7
	s_sub_u32 s12, 0, s6
	s_subb_u32 s18, 0, s7
	v_fmamk_f32 v1, v2, 0x4f800000, v1
	v_rcp_f32_e32 v1, v1
	s_nop 0
	v_mul_f32_e32 v1, 0x5f7ffffc, v1
	v_mul_f32_e32 v2, 0x2f800000, v1
	v_trunc_f32_e32 v2, v2
	v_fmamk_f32 v1, v2, 0xcf800000, v1
	v_cvt_u32_f32_e32 v2, v2
	v_cvt_u32_f32_e32 v1, v1
	v_readfirstlane_b32 s19, v2
	v_readfirstlane_b32 s14, v1
	s_mul_i32 s15, s12, s19
	s_mul_hi_u32 s21, s12, s14
	s_mul_i32 s20, s18, s14
	s_add_i32 s15, s21, s15
	s_add_i32 s15, s15, s20
	s_mul_i32 s23, s12, s14
	s_mul_i32 s21, s14, s15
	s_mul_hi_u32 s24, s14, s23
	s_mul_hi_u32 s20, s14, s15
	s_add_u32 s21, s24, s21
	s_addc_u32 s20, 0, s20
	s_mul_hi_u32 s25, s19, s23
	s_mul_i32 s23, s19, s23
	s_add_u32 s21, s21, s23
	s_mul_hi_u32 s24, s19, s15
	s_addc_u32 s20, s20, s25
	s_addc_u32 s21, s24, 0
	s_mul_i32 s15, s19, s15
	s_add_u32 s15, s20, s15
	s_addc_u32 s20, 0, s21
	s_add_u32 s21, s14, s15
	s_cselect_b64 s[14:15], -1, 0
	s_cmp_lg_u64 s[14:15], 0
	s_addc_u32 s19, s19, s20
	s_mul_i32 s14, s12, s19
	s_mul_hi_u32 s15, s12, s21
	s_add_i32 s14, s15, s14
	s_mul_i32 s18, s18, s21
	s_add_i32 s14, s14, s18
	s_mul_i32 s12, s12, s21
	s_mul_hi_u32 s18, s19, s12
	s_mul_i32 s20, s19, s12
	s_mul_i32 s24, s21, s14
	s_mul_hi_u32 s12, s21, s12
	s_mul_hi_u32 s23, s21, s14
	s_add_u32 s12, s12, s24
	s_addc_u32 s23, 0, s23
	s_add_u32 s12, s12, s20
	s_mul_hi_u32 s15, s19, s14
	s_addc_u32 s12, s23, s18
	s_addc_u32 s15, s15, 0
	s_mul_i32 s14, s19, s14
	s_add_u32 s12, s12, s14
	s_addc_u32 s18, 0, s15
	s_add_u32 s20, s21, s12
	s_cselect_b64 s[14:15], -1, 0
	s_cmp_lg_u64 s[14:15], 0
	s_addc_u32 s18, s19, s18
	s_ashr_i32 s14, s13, 31
	s_add_u32 s12, s5, s14
	s_mov_b32 s15, s14
	s_addc_u32 s13, s13, s14
	s_xor_b64 s[12:13], s[12:13], s[14:15]
	s_mul_i32 s21, s12, s18
	s_mul_hi_u32 s23, s12, s20
	s_mul_hi_u32 s19, s12, s18
	s_add_u32 s21, s23, s21
	s_addc_u32 s19, 0, s19
	s_mul_hi_u32 s24, s13, s20
	s_mul_i32 s20, s13, s20
	s_add_u32 s20, s21, s20
	s_mul_hi_u32 s23, s13, s18
	s_addc_u32 s19, s19, s24
	s_addc_u32 s20, s23, 0
	s_mul_i32 s18, s13, s18
	s_add_u32 s23, s19, s18
	s_addc_u32 s24, 0, s20
	s_mul_i32 s18, s6, s24
	s_mul_hi_u32 s19, s6, s23
	s_add_i32 s18, s19, s18
	s_mul_i32 s19, s7, s23
	s_add_i32 s25, s18, s19
	s_sub_i32 s20, s13, s25
	s_mul_i32 s18, s6, s23
	s_sub_u32 s12, s12, s18
	s_cselect_b64 s[18:19], -1, 0
	s_cmp_lg_u64 s[18:19], 0
	s_subb_u32 s26, s20, s7
	s_sub_u32 s27, s12, s6
	s_cselect_b64 s[20:21], -1, 0
	s_cmp_lg_u64 s[20:21], 0
	s_subb_u32 s20, s26, 0
	s_cmp_ge_u32 s20, s7
	s_cselect_b32 s21, -1, 0
	s_cmp_ge_u32 s27, s6
	s_cselect_b32 s26, -1, 0
	s_cmp_eq_u32 s20, s7
	s_cselect_b32 s20, s26, s21
	s_add_u32 s21, s23, 1
	s_addc_u32 s26, s24, 0
	s_add_u32 s27, s23, 2
	s_addc_u32 s28, s24, 0
	s_cmp_lg_u32 s20, 0
	s_cselect_b32 s20, s27, s21
	s_cselect_b32 s21, s28, s26
	s_cmp_lg_u64 s[18:19], 0
	s_subb_u32 s13, s13, s25
	s_cmp_ge_u32 s13, s7
	s_cselect_b32 s18, -1, 0
	s_cmp_ge_u32 s12, s6
	s_cselect_b32 s6, -1, 0
	s_cmp_eq_u32 s13, s7
	s_cselect_b32 s6, s6, s18
	s_cmp_lg_u32 s6, 0
	s_cselect_b32 s7, s21, s24
	s_cselect_b32 s6, s20, s23
	s_xor_b64 s[12:13], s[14:15], 0
	s_xor_b64 s[6:7], s[6:7], s[12:13]
	s_sub_u32 s6, s6, s12
	s_load_dwordx4 s[12:15], s[0:1], 0x44
	s_cbranch_execnz .LBB8_3
.LBB8_2:
	v_cvt_f32_u32_e32 v1, s22
	s_sub_i32 s6, 0, s22
	v_rcp_iflag_f32_e32 v1, v1
	s_nop 0
	v_mul_f32_e32 v1, 0x4f7ffffe, v1
	v_cvt_u32_f32_e32 v1, v1
	s_nop 0
	v_readfirstlane_b32 s7, v1
	s_mul_i32 s6, s6, s7
	s_mul_hi_u32 s6, s7, s6
	s_add_i32 s7, s7, s6
	s_mul_hi_u32 s6, s5, s7
	s_waitcnt lgkmcnt(0)
	s_mul_i32 s15, s6, s22
	s_sub_i32 s5, s5, s15
	s_add_i32 s7, s6, 1
	s_sub_i32 s15, s5, s22
	s_cmp_ge_u32 s5, s22
	s_cselect_b32 s6, s7, s6
	s_cselect_b32 s5, s15, s5
	s_add_i32 s7, s6, 1
	s_cmp_ge_u32 s5, s22
	s_cselect_b32 s6, s7, s6
.LBB8_3:
	s_add_i32 s5, s2, 1
	s_mul_hi_i32 s21, s11, s5
	s_mov_b32 s20, 0
	s_cmp_lg_u64 s[20:21], 0
	s_mul_i32 s5, s11, s5
	s_cbranch_scc0 .LBB8_21
; %bb.4:
	s_add_u32 s16, s22, 0
	s_addc_u32 s17, 0, 0
	s_xor_b64 s[18:19], s[16:17], 0
	v_cvt_f32_u32_e32 v1, s18
	v_cvt_f32_u32_e32 v2, s19
	s_sub_u32 s7, 0, s18
	s_waitcnt lgkmcnt(0)
	s_subb_u32 s15, 0, s19
	v_fmamk_f32 v1, v2, 0x4f800000, v1
	v_rcp_f32_e32 v1, v1
	s_nop 0
	v_mul_f32_e32 v1, 0x5f7ffffc, v1
	v_mul_f32_e32 v2, 0x2f800000, v1
	v_trunc_f32_e32 v2, v2
	v_fmamk_f32 v1, v2, 0xcf800000, v1
	v_cvt_u32_f32_e32 v2, v2
	v_cvt_u32_f32_e32 v1, v1
	v_readfirstlane_b32 s20, v2
	v_readfirstlane_b32 s23, v1
	s_mul_i32 s24, s7, s20
	s_mul_hi_u32 s26, s7, s23
	s_mul_i32 s25, s15, s23
	s_add_i32 s24, s26, s24
	s_add_i32 s24, s24, s25
	s_mul_i32 s27, s7, s23
	s_mul_i32 s26, s23, s24
	s_mul_hi_u32 s28, s23, s27
	s_mul_hi_u32 s25, s23, s24
	s_add_u32 s26, s28, s26
	s_addc_u32 s25, 0, s25
	s_mul_hi_u32 s29, s20, s27
	s_mul_i32 s27, s20, s27
	s_add_u32 s26, s26, s27
	s_mul_hi_u32 s28, s20, s24
	s_addc_u32 s25, s25, s29
	s_addc_u32 s26, s28, 0
	s_mul_i32 s24, s20, s24
	s_add_u32 s24, s25, s24
	s_addc_u32 s26, 0, s26
	s_add_u32 s23, s23, s24
	s_cselect_b64 s[24:25], -1, 0
	s_cmp_lg_u64 s[24:25], 0
	s_addc_u32 s20, s20, s26
	s_mul_i32 s24, s7, s20
	s_mul_hi_u32 s25, s7, s23
	s_add_i32 s24, s25, s24
	s_mul_i32 s15, s15, s23
	s_add_i32 s24, s24, s15
	s_mul_i32 s7, s7, s23
	s_mul_hi_u32 s25, s20, s7
	s_mul_i32 s26, s20, s7
	s_mul_i32 s28, s23, s24
	s_mul_hi_u32 s7, s23, s7
	s_mul_hi_u32 s27, s23, s24
	s_add_u32 s7, s7, s28
	s_addc_u32 s27, 0, s27
	s_add_u32 s7, s7, s26
	s_mul_hi_u32 s15, s20, s24
	s_addc_u32 s7, s27, s25
	s_addc_u32 s15, s15, 0
	s_mul_i32 s24, s20, s24
	s_add_u32 s7, s7, s24
	s_addc_u32 s15, 0, s15
	s_add_u32 s7, s23, s7
	s_cselect_b64 s[24:25], -1, 0
	s_cmp_lg_u64 s[24:25], 0
	s_addc_u32 s15, s20, s15
	s_ashr_i32 s24, s21, 31
	s_add_u32 s20, s5, s24
	s_mov_b32 s25, s24
	s_addc_u32 s21, s21, s24
	s_xor_b64 s[20:21], s[20:21], s[24:25]
	s_mul_i32 s26, s20, s15
	s_mul_hi_u32 s27, s20, s7
	s_mul_hi_u32 s23, s20, s15
	s_add_u32 s26, s27, s26
	s_addc_u32 s23, 0, s23
	s_mul_hi_u32 s28, s21, s7
	s_mul_i32 s7, s21, s7
	s_add_u32 s7, s26, s7
	s_mul_hi_u32 s27, s21, s15
	s_addc_u32 s7, s23, s28
	s_addc_u32 s23, s27, 0
	s_mul_i32 s15, s21, s15
	s_add_u32 s7, s7, s15
	s_addc_u32 s15, 0, s23
	s_mul_i32 s23, s18, s15
	s_mul_hi_u32 s26, s18, s7
	s_add_i32 s23, s26, s23
	s_mul_i32 s26, s19, s7
	s_add_i32 s23, s23, s26
	s_sub_i32 s28, s21, s23
	s_mul_i32 s26, s18, s7
	s_sub_u32 s20, s20, s26
	s_cselect_b64 s[26:27], -1, 0
	s_cmp_lg_u64 s[26:27], 0
	s_subb_u32 s30, s28, s19
	s_sub_u32 s31, s20, s18
	s_cselect_b64 s[28:29], -1, 0
	s_cmp_lg_u64 s[28:29], 0
	s_subb_u32 s28, s30, 0
	s_cmp_ge_u32 s28, s19
	s_cselect_b32 s29, -1, 0
	s_cmp_ge_u32 s31, s18
	s_cselect_b32 s30, -1, 0
	s_cmp_eq_u32 s28, s19
	s_cselect_b32 s28, s30, s29
	s_add_u32 s29, s7, 1
	s_addc_u32 s30, s15, 0
	s_add_u32 s31, s7, 2
	s_addc_u32 s33, s15, 0
	s_cmp_lg_u32 s28, 0
	s_cselect_b32 s28, s31, s29
	s_cselect_b32 s29, s33, s30
	s_cmp_lg_u64 s[26:27], 0
	s_subb_u32 s21, s21, s23
	s_cmp_ge_u32 s21, s19
	s_cselect_b32 s23, -1, 0
	s_cmp_ge_u32 s20, s18
	s_cselect_b32 s18, -1, 0
	s_cmp_eq_u32 s21, s19
	s_cselect_b32 s18, s18, s23
	s_cmp_lg_u32 s18, 0
	s_cselect_b32 s19, s29, s15
	s_cselect_b32 s18, s28, s7
	s_xor_b64 s[20:21], s[24:25], 0
	s_xor_b64 s[18:19], s[18:19], s[20:21]
	s_sub_u32 s18, s18, s20
	s_cbranch_execnz .LBB8_6
.LBB8_5:
	v_cvt_f32_u32_e32 v1, s22
	s_sub_i32 s7, 0, s22
	v_rcp_iflag_f32_e32 v1, v1
	s_nop 0
	v_mul_f32_e32 v1, 0x4f7ffffe, v1
	v_cvt_u32_f32_e32 v1, v1
	s_waitcnt lgkmcnt(0)
	v_readfirstlane_b32 s15, v1
	s_mul_i32 s7, s7, s15
	s_mul_hi_u32 s7, s15, s7
	s_add_i32 s15, s15, s7
	s_mul_hi_u32 s7, s5, s15
	s_mul_i32 s16, s7, s22
	s_sub_i32 s5, s5, s16
	s_add_i32 s15, s7, 1
	s_sub_i32 s16, s5, s22
	s_cmp_ge_u32 s5, s22
	s_cselect_b32 s7, s15, s7
	s_cselect_b32 s5, s16, s5
	s_add_i32 s15, s7, 1
	s_cmp_ge_u32 s5, s22
	s_cselect_b32 s18, s15, s7
.LBB8_6:
	s_cmp_eq_u32 s6, s18
	s_waitcnt lgkmcnt(0)
	s_mul_hi_u32 s5, s6, s12
	s_cselect_b64 s[16:17], -1, 0
	s_add_i32 s5, s5, s6
	s_lshr_b32 s7, s5, s13
	s_mul_i32 s5, s7, s14
	s_cmp_eq_u32 s5, s6
	s_mul_hi_u32 s5, s18, s12
	s_cselect_b64 s[20:21], -1, 0
	s_add_i32 s5, s5, s18
	s_lshr_b32 s5, s5, s13
	s_cmp_eq_u32 s7, s5
	s_mul_i32 s5, s5, s14
	s_cselect_b64 s[24:25], -1, 0
	s_cmp_lg_u32 s5, s18
	s_cselect_b64 s[18:19], -1, 0
	s_and_b64 s[18:19], s[24:25], s[18:19]
	s_or_b64 s[16:17], s[16:17], s[20:21]
	s_or_b64 s[16:17], s[16:17], s[18:19]
	s_and_b64 vcc, exec, s[16:17]
	s_cbranch_vccnz .LBB8_23
; %bb.7:
	s_load_dwordx8 s[24:31], s[0:1], 0x20
	s_load_dword s15, s[0:1], 0x40
	s_waitcnt lgkmcnt(0)
	s_mul_hi_u32 s5, s6, s24
	s_add_i32 s5, s5, s6
	s_lshr_b32 s5, s5, s25
	s_mul_i32 s16, s5, s26
	s_sub_i32 s16, s6, s16
	s_mul_hi_u32 s17, s16, s27
	s_add_i32 s17, s16, s17
	s_lshr_b32 s20, s17, s28
	s_mul_i32 s17, s20, s29
	s_sub_i32 s16, s16, s17
	;; [unrolled: 5-line block ×3, first 2 shown]
	s_mul_hi_u32 s16, s15, s12
	s_add_i32 s15, s15, s16
	s_lshr_b32 s23, s15, s13
	s_lshl_b32 s15, s23, 1
	s_lshl_b32 s21, s17, 3
	s_add_i32 s15, s15, s3
	s_cmp_lt_i32 s15, s8
	s_cselect_b64 s[16:17], -1, 0
	s_add_i32 s15, s21, s4
	s_cmp_lt_i32 s15, s10
	s_cselect_b64 s[18:19], -1, 0
	s_and_b64 s[16:17], s[16:17], s[18:19]
	s_andn2_b64 vcc, exec, s[16:17]
	s_cbranch_vccnz .LBB8_23
; %bb.8:
	s_load_dwordx4 s[16:19], s[0:1], 0x0
	s_mov_b32 s0, 0
	s_lshl_b32 s15, s3, 3
	s_lshl_b32 s24, s22, 6
	s_mov_b32 s25, s0
	s_add_i32 s15, s15, s4
	s_waitcnt lgkmcnt(0)
	v_mov_b32_e32 v2, s16
	v_mov_b32_e32 v3, s17
	s_lshl_b64 s[16:17], s[24:25], 2
	s_add_u32 s16, s18, s16
	s_mul_i32 s1, s5, s8
	s_addc_u32 s17, s19, s17
	s_add_i32 s1, s1, s3
	s_mul_i32 s1, s1, s9
	s_mul_i32 s20, s20, s10
	s_add_i32 s1, s1, s4
	s_add_i32 s1, s1, s20
	s_mul_i32 s5, s9, s23
	s_add_i32 s1, s1, s21
	s_lshl_b32 s5, s5, 10
	s_lshl_b32 s1, s1, 9
	s_add_i32 s5, s5, s1
	v_or_b32_e32 v4, s5, v0
	v_ashrrev_i32_e32 v5, 31, v4
	v_lshl_add_u64 v[2:3], v[4:5], 2, v[2:3]
	global_load_dword v1, v[2:3], off
	v_cvt_f32_u32_e32 v4, s22
	s_lshl_b32 s1, s2, 4
	s_add_i32 s4, s15, s1
	s_ashr_i32 s5, s4, 31
	s_lshl_b64 s[4:5], s[4:5], 3
	v_rcp_iflag_f32_e32 v4, v4
	s_add_u32 s4, s18, s4
	s_addc_u32 s5, s19, s5
	s_load_dwordx2 s[4:5], s[4:5], 0x0
	v_mul_f32_e32 v4, 0x4f7ffffe, v4
	v_cvt_u32_f32_e32 v7, v4
	s_add_i32 s24, s2, -1
	v_lshl_or_b32 v6, s15, 9, v0
	s_waitcnt lgkmcnt(0)
	v_mov_b32_e32 v0, s5
	v_mov_b32_e32 v9, s4
	s_mov_b32 s10, 0x3fb8aa3b
	s_mov_b32 s20, 0xc2ce8ed0
	s_mov_b32 s21, 0x42b17218
	s_mov_b32 s23, 0xc1a00000
	v_mov_b32_e32 v8, 0x7f800000
	s_mul_hi_i32 s1, s24, s11
	s_cmp_lg_u64 s[0:1], 0
	s_mul_i32 s8, s24, s11
	s_cbranch_scc0 .LBB8_19
.LBB8_9:
	s_add_u32 s2, s22, 0
	s_addc_u32 s3, 0, 0
	s_xor_b64 s[2:3], s[2:3], 0
	v_cvt_f32_u32_e32 v4, s2
	v_cvt_f32_u32_e32 v5, s3
	s_sub_u32 s9, 0, s2
	s_subb_u32 s25, 0, s3
	v_fmac_f32_e32 v4, 0x4f800000, v5
	v_rcp_f32_e32 v4, v4
	s_nop 0
	v_mul_f32_e32 v4, 0x5f7ffffc, v4
	v_mul_f32_e32 v5, 0x2f800000, v4
	v_trunc_f32_e32 v5, v5
	v_fmac_f32_e32 v4, 0xcf800000, v5
	v_cvt_u32_f32_e32 v5, v5
	v_cvt_u32_f32_e32 v4, v4
	v_readfirstlane_b32 s26, v5
	v_readfirstlane_b32 s4, v4
	s_mul_i32 s5, s9, s26
	s_mul_hi_u32 s28, s9, s4
	s_mul_i32 s27, s25, s4
	s_add_i32 s5, s28, s5
	s_mul_i32 s29, s9, s4
	s_add_i32 s5, s5, s27
	s_mul_i32 s28, s4, s5
	s_mul_hi_u32 s30, s4, s29
	s_mul_hi_u32 s27, s4, s5
	s_add_u32 s28, s30, s28
	s_addc_u32 s27, 0, s27
	s_mul_hi_u32 s31, s26, s29
	s_mul_i32 s29, s26, s29
	s_add_u32 s28, s28, s29
	s_mul_hi_u32 s30, s26, s5
	s_addc_u32 s27, s27, s31
	s_addc_u32 s28, s30, 0
	s_mul_i32 s5, s26, s5
	s_add_u32 s5, s27, s5
	s_addc_u32 s27, 0, s28
	s_add_u32 s28, s4, s5
	s_cselect_b64 s[4:5], -1, 0
	s_cmp_lg_u64 s[4:5], 0
	s_addc_u32 s26, s26, s27
	s_mul_i32 s4, s9, s26
	s_mul_hi_u32 s5, s9, s28
	s_add_i32 s4, s5, s4
	s_mul_i32 s25, s25, s28
	s_add_i32 s4, s4, s25
	s_mul_i32 s9, s9, s28
	s_mul_hi_u32 s25, s26, s9
	s_mul_i32 s27, s26, s9
	s_mul_i32 s30, s28, s4
	s_mul_hi_u32 s9, s28, s9
	s_mul_hi_u32 s29, s28, s4
	s_add_u32 s9, s9, s30
	s_addc_u32 s29, 0, s29
	s_add_u32 s9, s9, s27
	s_mul_hi_u32 s5, s26, s4
	s_addc_u32 s9, s29, s25
	s_addc_u32 s5, s5, 0
	s_mul_i32 s4, s26, s4
	s_add_u32 s4, s9, s4
	s_addc_u32 s9, 0, s5
	s_add_u32 s25, s28, s4
	s_cselect_b64 s[4:5], -1, 0
	s_cmp_lg_u64 s[4:5], 0
	s_addc_u32 s9, s26, s9
	s_ashr_i32 s4, s1, 31
	s_add_u32 s26, s8, s4
	s_mov_b32 s5, s4
	s_addc_u32 s27, s1, s4
	s_xor_b64 s[26:27], s[26:27], s[4:5]
	s_mul_i32 s28, s26, s9
	s_mul_hi_u32 s29, s26, s25
	s_mul_hi_u32 s1, s26, s9
	s_add_u32 s28, s29, s28
	s_addc_u32 s1, 0, s1
	s_mul_hi_u32 s30, s27, s25
	s_mul_i32 s25, s27, s25
	s_add_u32 s25, s28, s25
	s_mul_hi_u32 s29, s27, s9
	s_addc_u32 s1, s1, s30
	s_addc_u32 s25, s29, 0
	s_mul_i32 s9, s27, s9
	s_add_u32 s1, s1, s9
	s_addc_u32 s9, 0, s25
	s_mul_i32 s25, s2, s9
	s_mul_hi_u32 s28, s2, s1
	s_add_i32 s25, s28, s25
	s_mul_i32 s28, s3, s1
	s_add_i32 s25, s25, s28
	s_sub_i32 s30, s27, s25
	s_mul_i32 s28, s2, s1
	s_sub_u32 s26, s26, s28
	s_cselect_b64 s[28:29], -1, 0
	s_cmp_lg_u64 s[28:29], 0
	s_subb_u32 s33, s30, s3
	s_sub_u32 s34, s26, s2
	s_cselect_b64 s[30:31], -1, 0
	s_cmp_lg_u64 s[30:31], 0
	s_subb_u32 s30, s33, 0
	s_cmp_ge_u32 s30, s3
	s_cselect_b32 s31, -1, 0
	s_cmp_ge_u32 s34, s2
	s_cselect_b32 s33, -1, 0
	s_cmp_eq_u32 s30, s3
	s_cselect_b32 s30, s33, s31
	s_add_u32 s31, s1, 1
	s_addc_u32 s33, s9, 0
	s_add_u32 s34, s1, 2
	s_addc_u32 s35, s9, 0
	s_cmp_lg_u32 s30, 0
	s_cselect_b32 s30, s34, s31
	s_cselect_b32 s31, s35, s33
	s_cmp_lg_u64 s[28:29], 0
	s_subb_u32 s25, s27, s25
	s_cmp_ge_u32 s25, s3
	s_cselect_b32 s27, -1, 0
	s_cmp_ge_u32 s26, s2
	s_cselect_b32 s2, -1, 0
	s_cmp_eq_u32 s25, s3
	s_cselect_b32 s2, s2, s27
	s_cmp_lg_u32 s2, 0
	s_cselect_b32 s3, s31, s9
	s_cselect_b32 s2, s30, s1
	s_xor_b64 s[4:5], s[4:5], 0
	s_xor_b64 s[2:3], s[2:3], s[4:5]
	s_sub_u32 s4, s2, s4
	s_cbranch_execnz .LBB8_11
.LBB8_10:
	s_sub_i32 s1, 0, s22
	v_readfirstlane_b32 s2, v7
	s_mul_i32 s1, s1, s2
	s_mul_hi_u32 s1, s2, s1
	s_add_i32 s2, s2, s1
	s_mul_hi_u32 s1, s8, s2
	s_mul_i32 s3, s1, s22
	s_sub_i32 s3, s8, s3
	s_add_i32 s2, s1, 1
	s_sub_i32 s4, s3, s22
	s_cmp_ge_u32 s3, s22
	s_cselect_b32 s1, s2, s1
	s_cselect_b32 s3, s4, s3
	s_add_i32 s2, s1, 1
	s_cmp_ge_u32 s3, s22
	s_cselect_b32 s4, s2, s1
.LBB8_11:
	s_cmp_lg_u32 s6, s4
	s_cbranch_scc0 .LBB8_15
; %bb.12:
	s_add_i32 s1, s24, s22
	s_lshl_b32 s1, s1, 4
	s_add_i32 s2, s1, s15
	s_mov_b32 s3, s0
	s_lshl_b64 s[2:3], s[2:3], 3
	s_add_u32 s8, s18, s2
	s_mul_hi_u32 s1, s4, s12
	s_addc_u32 s9, s19, s3
	s_add_i32 s1, s1, s4
	s_lshr_b32 s1, s1, s13
	s_mul_i32 s2, s1, s14
	s_cmp_eq_u32 s2, s4
	s_cselect_b64 s[2:3], -1, 0
	s_cmp_lt_u32 s1, s7
	s_cselect_b64 s[26:27], -1, 0
	s_or_b64 s[26:27], s[26:27], s[2:3]
	s_mov_b64 s[2:3], -1
	s_and_b64 vcc, exec, s[26:27]
	s_mov_b32 s1, s24
	s_mov_b32 s25, s6
	s_cbranch_vccnz .LBB8_14
; %bb.13:
	s_add_i32 s1, s24, -1
	s_mov_b64 s[2:3], 0
	s_mov_b32 s25, s4
.LBB8_14:
	v_lshl_add_u32 v4, s24, 13, v6
	v_ashrrev_i32_e32 v5, 31, v4
	v_lshl_add_u64 v[4:5], v[4:5], 2, s[16:17]
	global_load_dword v5, v[4:5], off
	s_load_dwordx2 s[4:5], s[8:9], 0x0
	v_max_f32_e32 v4, v9, v9
	s_waitcnt lgkmcnt(0)
	v_max_f32_e64 v10, s4, s4
	v_max_f32_e32 v10, v4, v10
	v_sub_f32_e32 v11, v9, v10
	v_sub_f32_e32 v13, s4, v10
	v_mul_f32_e32 v4, 0x3fb8aa3b, v11
	v_mul_f32_e32 v12, 0x3fb8aa3b, v13
	v_fma_f32 v14, v11, s10, -v4
	v_rndne_f32_e32 v15, v4
	v_fma_f32 v16, v13, s10, -v12
	v_rndne_f32_e32 v17, v12
	v_fmac_f32_e32 v14, 0x32a5705f, v11
	v_sub_f32_e32 v4, v4, v15
	v_fmac_f32_e32 v16, 0x32a5705f, v13
	v_sub_f32_e32 v12, v12, v17
	v_add_f32_e32 v4, v4, v14
	v_cvt_i32_f32_e32 v15, v15
	v_add_f32_e32 v12, v12, v16
	v_exp_f32_e32 v14, v4
	v_cvt_i32_f32_e32 v17, v17
	v_exp_f32_e32 v12, v12
	v_cmp_ngt_f32_e32 vcc, s20, v11
	v_ldexp_f32 v14, v14, v15
	v_mov_b32_e32 v4, s5
	v_ldexp_f32 v12, v12, v17
	v_cndmask_b32_e32 v14, 0, v14, vcc
	v_cmp_ngt_f32_e32 vcc, s20, v13
	s_nop 1
	v_cndmask_b32_e32 v12, 0, v12, vcc
	v_cmp_nlt_f32_e32 vcc, s21, v11
	s_nop 1
	v_cndmask_b32_e32 v14, v8, v14, vcc
	v_cmp_nlt_f32_e32 vcc, s21, v13
	s_nop 1
	v_cndmask_b32_e32 v15, v8, v12, vcc
	v_cmp_le_f32_e32 vcc, s23, v11
	s_nop 1
	v_cndmask_b32_e32 v12, 0, v14, vcc
	v_cmp_le_f32_e32 vcc, s23, v13
	s_nop 1
	v_cndmask_b32_e32 v14, 0, v15, vcc
	s_waitcnt vmcnt(0)
	v_pk_mul_f32 v[4:5], v[4:5], v[14:15] op_sel_hi:[1,0]
	s_nop 0
	v_pk_fma_f32 v[4:5], v[0:1], v[12:13], v[4:5] op_sel_hi:[1,0,1]
	s_cbranch_execz .LBB8_16
	s_branch .LBB8_17
.LBB8_15:
                                        ; implicit-def: $vgpr4_vgpr5
                                        ; implicit-def: $sgpr2_sgpr3
                                        ; implicit-def: $vgpr10
                                        ; implicit-def: $sgpr1
                                        ; implicit-def: $sgpr25
.LBB8_16:
	s_add_i32 s1, s24, -1
	s_mov_b64 s[2:3], 0
	s_mov_b32 s25, s6
	v_mov_b32_e32 v10, v9
	s_waitcnt vmcnt(0)
	v_mov_b64_e32 v[4:5], v[0:1]
.LBB8_17:
	s_andn2_b64 vcc, exec, s[2:3]
	s_cbranch_vccz .LBB8_22
; %bb.18:
	s_mov_b32 s6, s25
	s_mov_b32 s24, s1
	v_mov_b32_e32 v9, v10
	s_waitcnt vmcnt(0)
	v_mov_b64_e32 v[0:1], v[4:5]
	s_mul_hi_i32 s1, s24, s11
	s_cmp_lg_u64 s[0:1], 0
	s_mul_i32 s8, s24, s11
	s_cbranch_scc1 .LBB8_9
.LBB8_19:
                                        ; implicit-def: $sgpr4_sgpr5
	s_branch .LBB8_10
.LBB8_20:
                                        ; implicit-def: $sgpr6_sgpr7
	s_load_dwordx4 s[12:15], s[0:1], 0x44
	s_branch .LBB8_2
.LBB8_21:
                                        ; implicit-def: $sgpr18_sgpr19
	s_branch .LBB8_5
.LBB8_22:
	v_div_scale_f32 v0, s[0:1], v4, v4, v5
	s_waitcnt vmcnt(0)
	v_rcp_f32_e32 v1, v0
	v_div_scale_f32 v6, vcc, v5, v4, v5
	v_fma_f32 v7, -v0, v1, 1.0
	v_fmac_f32_e32 v1, v7, v1
	v_mul_f32_e32 v7, v6, v1
	v_fma_f32 v8, -v0, v7, v6
	v_fmac_f32_e32 v7, v8, v1
	v_fma_f32 v0, -v0, v7, v6
	v_div_fmas_f32 v0, v0, v1, v7
	v_div_fixup_f32 v0, v0, v4, v5
	global_store_dword v[2:3], v0, off
.LBB8_23:
	s_endpgm
	.section	.rodata,"a",@progbits
	.p2align	6, 0x0
	.amdhsa_kernel _ZL33flash_attn_stream_k_fixup_generalILi512ELi2ELi8EEvPfPK15HIP_vector_typeIfLj2EEiiiiS1_IjLj3EES5_S5_S5_
		.amdhsa_group_segment_fixed_size 0
		.amdhsa_private_segment_fixed_size 0
		.amdhsa_kernarg_size 336
		.amdhsa_user_sgpr_count 2
		.amdhsa_user_sgpr_dispatch_ptr 0
		.amdhsa_user_sgpr_queue_ptr 0
		.amdhsa_user_sgpr_kernarg_segment_ptr 1
		.amdhsa_user_sgpr_dispatch_id 0
		.amdhsa_user_sgpr_kernarg_preload_length 0
		.amdhsa_user_sgpr_kernarg_preload_offset 0
		.amdhsa_user_sgpr_private_segment_size 0
		.amdhsa_uses_dynamic_stack 0
		.amdhsa_enable_private_segment 0
		.amdhsa_system_sgpr_workgroup_id_x 1
		.amdhsa_system_sgpr_workgroup_id_y 1
		.amdhsa_system_sgpr_workgroup_id_z 1
		.amdhsa_system_sgpr_workgroup_info 0
		.amdhsa_system_vgpr_workitem_id 0
		.amdhsa_next_free_vgpr 18
		.amdhsa_next_free_sgpr 36
		.amdhsa_accum_offset 20
		.amdhsa_reserve_vcc 1
		.amdhsa_float_round_mode_32 0
		.amdhsa_float_round_mode_16_64 0
		.amdhsa_float_denorm_mode_32 3
		.amdhsa_float_denorm_mode_16_64 3
		.amdhsa_dx10_clamp 1
		.amdhsa_ieee_mode 1
		.amdhsa_fp16_overflow 0
		.amdhsa_tg_split 0
		.amdhsa_exception_fp_ieee_invalid_op 0
		.amdhsa_exception_fp_denorm_src 0
		.amdhsa_exception_fp_ieee_div_zero 0
		.amdhsa_exception_fp_ieee_overflow 0
		.amdhsa_exception_fp_ieee_underflow 0
		.amdhsa_exception_fp_ieee_inexact 0
		.amdhsa_exception_int_div_zero 0
	.end_amdhsa_kernel
	.section	.text._ZL33flash_attn_stream_k_fixup_generalILi512ELi2ELi8EEvPfPK15HIP_vector_typeIfLj2EEiiiiS1_IjLj3EES5_S5_S5_,"axG",@progbits,_ZL33flash_attn_stream_k_fixup_generalILi512ELi2ELi8EEvPfPK15HIP_vector_typeIfLj2EEiiiiS1_IjLj3EES5_S5_S5_,comdat
.Lfunc_end8:
	.size	_ZL33flash_attn_stream_k_fixup_generalILi512ELi2ELi8EEvPfPK15HIP_vector_typeIfLj2EEiiiiS1_IjLj3EES5_S5_S5_, .Lfunc_end8-_ZL33flash_attn_stream_k_fixup_generalILi512ELi2ELi8EEvPfPK15HIP_vector_typeIfLj2EEiiiiS1_IjLj3EES5_S5_S5_
                                        ; -- End function
	.set _ZL33flash_attn_stream_k_fixup_generalILi512ELi2ELi8EEvPfPK15HIP_vector_typeIfLj2EEiiiiS1_IjLj3EES5_S5_S5_.num_vgpr, 18
	.set _ZL33flash_attn_stream_k_fixup_generalILi512ELi2ELi8EEvPfPK15HIP_vector_typeIfLj2EEiiiiS1_IjLj3EES5_S5_S5_.num_agpr, 0
	.set _ZL33flash_attn_stream_k_fixup_generalILi512ELi2ELi8EEvPfPK15HIP_vector_typeIfLj2EEiiiiS1_IjLj3EES5_S5_S5_.numbered_sgpr, 36
	.set _ZL33flash_attn_stream_k_fixup_generalILi512ELi2ELi8EEvPfPK15HIP_vector_typeIfLj2EEiiiiS1_IjLj3EES5_S5_S5_.num_named_barrier, 0
	.set _ZL33flash_attn_stream_k_fixup_generalILi512ELi2ELi8EEvPfPK15HIP_vector_typeIfLj2EEiiiiS1_IjLj3EES5_S5_S5_.private_seg_size, 0
	.set _ZL33flash_attn_stream_k_fixup_generalILi512ELi2ELi8EEvPfPK15HIP_vector_typeIfLj2EEiiiiS1_IjLj3EES5_S5_S5_.uses_vcc, 1
	.set _ZL33flash_attn_stream_k_fixup_generalILi512ELi2ELi8EEvPfPK15HIP_vector_typeIfLj2EEiiiiS1_IjLj3EES5_S5_S5_.uses_flat_scratch, 0
	.set _ZL33flash_attn_stream_k_fixup_generalILi512ELi2ELi8EEvPfPK15HIP_vector_typeIfLj2EEiiiiS1_IjLj3EES5_S5_S5_.has_dyn_sized_stack, 0
	.set _ZL33flash_attn_stream_k_fixup_generalILi512ELi2ELi8EEvPfPK15HIP_vector_typeIfLj2EEiiiiS1_IjLj3EES5_S5_S5_.has_recursion, 0
	.set _ZL33flash_attn_stream_k_fixup_generalILi512ELi2ELi8EEvPfPK15HIP_vector_typeIfLj2EEiiiiS1_IjLj3EES5_S5_S5_.has_indirect_call, 0
	.section	.AMDGPU.csdata,"",@progbits
; Kernel info:
; codeLenInByte = 2940
; TotalNumSgprs: 42
; NumVgprs: 18
; NumAgprs: 0
; TotalNumVgprs: 18
; ScratchSize: 0
; MemoryBound: 0
; FloatMode: 240
; IeeeMode: 1
; LDSByteSize: 0 bytes/workgroup (compile time only)
; SGPRBlocks: 5
; VGPRBlocks: 2
; NumSGPRsForWavesPerEU: 42
; NumVGPRsForWavesPerEU: 18
; AccumOffset: 20
; Occupancy: 8
; WaveLimiterHint : 0
; COMPUTE_PGM_RSRC2:SCRATCH_EN: 0
; COMPUTE_PGM_RSRC2:USER_SGPR: 2
; COMPUTE_PGM_RSRC2:TRAP_HANDLER: 0
; COMPUTE_PGM_RSRC2:TGID_X_EN: 1
; COMPUTE_PGM_RSRC2:TGID_Y_EN: 1
; COMPUTE_PGM_RSRC2:TGID_Z_EN: 1
; COMPUTE_PGM_RSRC2:TIDIG_COMP_CNT: 0
; COMPUTE_PGM_RSRC3_GFX90A:ACCUM_OFFSET: 4
; COMPUTE_PGM_RSRC3_GFX90A:TG_SPLIT: 0
	.section	.text._ZL15flash_attn_tileILi512ELi512ELi1ELi8ELb0EEvPKcS1_S1_S1_S1_PKiPfP15HIP_vector_typeIfLj2EEffffjfiS5_IjLj3EEiiiiiiiiiiiliiliiiiil,"axG",@progbits,_ZL15flash_attn_tileILi512ELi512ELi1ELi8ELb0EEvPKcS1_S1_S1_S1_PKiPfP15HIP_vector_typeIfLj2EEffffjfiS5_IjLj3EEiiiiiiiiiiiliiliiiiil,comdat
	.globl	_ZL15flash_attn_tileILi512ELi512ELi1ELi8ELb0EEvPKcS1_S1_S1_S1_PKiPfP15HIP_vector_typeIfLj2EEffffjfiS5_IjLj3EEiiiiiiiiiiiliiliiiiil ; -- Begin function _ZL15flash_attn_tileILi512ELi512ELi1ELi8ELb0EEvPKcS1_S1_S1_S1_PKiPfP15HIP_vector_typeIfLj2EEffffjfiS5_IjLj3EEiiiiiiiiiiiliiliiiiil
	.p2align	8
	.type	_ZL15flash_attn_tileILi512ELi512ELi1ELi8ELb0EEvPKcS1_S1_S1_S1_PKiPfP15HIP_vector_typeIfLj2EEffffjfiS5_IjLj3EEiiiiiiiiiiiliiliiiiil,@function
_ZL15flash_attn_tileILi512ELi512ELi1ELi8ELb0EEvPKcS1_S1_S1_S1_PKiPfP15HIP_vector_typeIfLj2EEffffjfiS5_IjLj3EEiiiiiiiiiiiliiliiiiil: ; @_ZL15flash_attn_tileILi512ELi512ELi1ELi8ELb0EEvPKcS1_S1_S1_S1_PKiPfP15HIP_vector_typeIfLj2EEffffjfiS5_IjLj3EEiiiiiiiiiiiliiliiiiil
; %bb.0:
	s_load_dwordx4 s[20:23], s[0:1], 0x5c
	s_load_dwordx2 s[28:29], s[0:1], 0x80
	s_load_dwordx2 s[34:35], s[0:1], 0xb8
	s_mov_b64 s[30:31], 0
	s_waitcnt lgkmcnt(0)
	s_ashr_i32 s5, s23, 31
	s_lshr_b32 s5, s5, 29
	s_add_i32 s5, s23, s5
	s_ashr_i32 s5, s5, 3
	v_cvt_f32_u32_e32 v1, s5
	s_sub_i32 s6, 0, s5
	v_rcp_iflag_f32_e32 v1, v1
	s_nop 0
	v_mul_f32_e32 v1, 0x4f7ffffe, v1
	v_cvt_u32_f32_e32 v1, v1
	s_nop 0
	v_readfirstlane_b32 s7, v1
	s_mul_i32 s6, s6, s7
	s_mul_hi_u32 s6, s7, s6
	s_add_i32 s7, s7, s6
	s_mul_hi_u32 s6, s4, s7
	s_mul_i32 s7, s6, s5
	s_sub_i32 s7, s4, s7
	s_add_i32 s8, s6, 1
	s_sub_i32 s9, s7, s5
	s_cmp_ge_u32 s7, s5
	s_cselect_b32 s6, s8, s6
	s_cselect_b32 s7, s9, s7
	s_add_i32 s8, s6, 1
	s_cmp_ge_u32 s7, s5
	s_cselect_b32 s33, s8, s6
	s_abs_i32 s5, s29
	v_cvt_f32_u32_e32 v1, s5
	s_lshl_b32 s4, s4, 3
	s_mul_i32 s8, s33, s23
	s_xor_b32 s6, s23, s29
	v_rcp_iflag_f32_e32 v1, v1
	s_sub_i32 s9, 0, s5
	s_sub_i32 s29, s4, s8
	s_abs_i32 s7, s23
	v_mul_f32_e32 v1, 0x4f7ffffe, v1
	v_cvt_u32_f32_e32 v1, v1
	s_ashr_i32 s6, s6, 31
	v_readfirstlane_b32 s4, v1
	s_mul_i32 s9, s9, s4
	s_mul_hi_u32 s8, s4, s9
	s_add_i32 s4, s4, s8
	s_mul_hi_u32 s4, s7, s4
	s_mul_i32 s8, s4, s5
	s_sub_i32 s7, s7, s8
	s_add_i32 s9, s4, 1
	s_sub_i32 s8, s7, s5
	s_cmp_ge_u32 s7, s5
	s_cselect_b32 s4, s9, s4
	s_cselect_b32 s7, s8, s7
	s_add_i32 s8, s4, 1
	s_cmp_ge_u32 s7, s5
	s_cselect_b32 s4, s8, s4
	s_xor_b32 s4, s4, s6
	s_sub_i32 s37, s4, s6
	s_abs_i32 s36, s37
	v_cvt_f32_u32_e32 v1, s36
	s_load_dwordx16 s[4:19], s[0:1], 0x0
	v_rcp_iflag_f32_e32 v1, v1
	s_waitcnt lgkmcnt(0)
	s_cmp_eq_u64 s[10:11], 0
	v_mul_f32_e32 v1, 0x4f7ffffe, v1
	v_cvt_u32_f32_e32 v1, v1
	s_nop 0
	v_readfirstlane_b32 s38, v1
	s_cbranch_scc1 .LBB9_2
; %bb.1:
	s_abs_i32 s26, s34
	v_cvt_f32_u32_e32 v1, s26
	s_sub_i32 s31, 0, s26
	s_abs_i32 s30, s33
	s_ashr_i32 s27, s33, 31
	v_rcp_iflag_f32_e32 v1, v1
	s_load_dwordx2 s[24:25], s[0:1], 0xc8
	v_mul_f32_e32 v1, 0x4f7ffffe, v1
	v_cvt_u32_f32_e32 v1, v1
	s_nop 0
	v_readfirstlane_b32 s34, v1
	s_mul_i32 s31, s31, s34
	s_mul_hi_u32 s31, s34, s31
	s_add_i32 s34, s34, s31
	s_mul_hi_u32 s31, s30, s34
	s_mul_i32 s31, s31, s26
	s_sub_i32 s30, s30, s31
	s_sub_i32 s31, s30, s26
	s_cmp_ge_u32 s30, s26
	s_cselect_b32 s30, s31, s30
	s_sub_i32 s31, s30, s26
	s_cmp_ge_u32 s30, s26
	s_cselect_b32 s26, s31, s30
	s_xor_b32 s26, s26, s27
	s_sub_i32 s26, s26, s27
	s_ashr_i32 s27, s26, 31
	s_waitcnt lgkmcnt(0)
	s_mul_hi_u32 s30, s24, s26
	s_mul_i32 s27, s24, s27
	s_mul_i32 s25, s25, s26
	s_add_i32 s27, s30, s27
	s_add_i32 s27, s27, s25
	s_mul_i32 s24, s24, s26
	s_add_u32 s30, s10, s24
	s_addc_u32 s31, s11, s27
.LBB9_2:
	s_load_dwordx4 s[24:27], s[0:1], 0x70
	v_lshrrev_b32_e32 v1, 10, v0
	v_bfe_u32 v1, v1, 3, 7
	v_add_u32_e32 v9, s2, v1
	v_bfe_u32 v26, v0, 10, 3
	s_waitcnt lgkmcnt(0)
	s_mul_i32 s10, s33, s26
	s_ashr_i32 s26, s10, 31
	s_mul_i32 s11, s29, s25
	s_add_u32 s4, s4, s10
	s_addc_u32 s5, s5, s26
	s_ashr_i32 s10, s11, 31
	s_add_u32 s4, s4, s11
	s_addc_u32 s5, s5, s10
	s_ashr_i32 s11, s25, 31
	s_mov_b32 s10, s25
	s_lshr_b64 s[26:27], s[10:11], 2
	v_mul_hi_u32 v1, s20, v9
	s_lshr_b32 s25, s11, 2
	v_mad_u64_u32 v[2:3], s[10:11], s26, v26, 0
	v_add_u32_e32 v1, v9, v1
	v_mov_b32_e32 v4, v3
	v_lshrrev_b32_e32 v1, s21, v1
	v_mad_u64_u32 v[4:5], s[10:11], s25, v26, v[4:5]
	v_mul_lo_u32 v1, v1, s22
	s_ashr_i32 s25, s24, 31
	v_sub_u32_e32 v1, v9, v1
	s_lshr_b64 s[10:11], s[24:25], 2
	v_mov_b32_e32 v3, v4
	v_mad_u64_u32 v[4:5], s[10:11], s10, v1, 0
	v_mov_b32_e32 v6, v5
	s_lshr_b32 s10, s25, 2
	v_mad_u64_u32 v[6:7], s[10:11], s10, v1, v[6:7]
	v_mov_b32_e32 v5, v6
	v_and_b32_e32 v8, 0x3ff, v0
	v_lshl_add_u64 v[2:3], v[2:3], 2, s[4:5]
	v_mov_b32_e32 v7, 0
	v_lshl_add_u64 v[2:3], v[4:5], 2, v[2:3]
	v_lshlrev_b32_e32 v6, 4, v8
	v_lshl_add_u64 v[2:3], v[2:3], 0, v[6:7]
	global_load_dwordx4 v[4:7], v[2:3], off
	global_load_dwordx4 v[10:13], v[2:3], off offset:512
	global_load_dwordx4 v[14:17], v[2:3], off offset:1024
	;; [unrolled: 1-line block ×3, first 2 shown]
	s_load_dword s4, s[0:1], 0x40
	v_bfe_u32 v0, v0, 10, 10
	v_lshlrev_b32_e32 v2, 10, v0
	v_lshlrev_b32_e32 v28, 3, v8
	v_add_u32_e32 v29, 0x2400, v2
	v_add_u32_e32 v3, v29, v28
	s_cmp_eq_u64 s[14:15], 0
	s_waitcnt vmcnt(3) lgkmcnt(0)
	v_fma_mixlo_f16 v4, s4, v4, 0
	v_fma_mixlo_f16 v5, s4, v5, 0
	v_fma_mixlo_f16 v6, s4, v6, 0
	v_fma_mixlo_f16 v7, s4, v7, 0
	s_waitcnt vmcnt(2)
	v_fma_mixlo_f16 v10, s4, v10, 0
	v_fma_mixlo_f16 v11, s4, v11, 0
	;; [unrolled: 1-line block ×4, first 2 shown]
	s_waitcnt vmcnt(1)
	v_fma_mixlo_f16 v14, s4, v14, 0
	v_fma_mixlo_f16 v15, s4, v15, 0
	s_waitcnt vmcnt(0)
	v_fma_mixlo_f16 v18, s4, v18, 0
	v_fma_mixlo_f16 v19, s4, v19, 0
	v_lshlrev_b32_e32 v5, 16, v5
	v_and_b32_e32 v4, 0xffff, v4
	v_lshlrev_b32_e32 v7, 16, v7
	v_and_b32_e32 v6, 0xffff, v6
	;; [unrolled: 2-line block ×3, first 2 shown]
	v_fma_mixlo_f16 v16, s4, v16, 0
	v_fma_mixlo_f16 v17, s4, v17, 0
	;; [unrolled: 1-line block ×4, first 2 shown]
	v_lshlrev_b32_e32 v13, 16, v13
	v_and_b32_e32 v12, 0xffff, v12
	v_lshlrev_b32_e32 v15, 16, v15
	v_and_b32_e32 v14, 0xffff, v14
	;; [unrolled: 2-line block ×3, first 2 shown]
	v_or_b32_e32 v4, v5, v4
	v_or3_b32 v5, v7, v6, 0
	v_or_b32_e32 v6, v11, v10
	v_lshlrev_b32_e32 v17, 16, v17
	v_and_b32_e32 v16, 0xffff, v16
	v_lshlrev_b32_e32 v21, 16, v21
	v_and_b32_e32 v20, 0xffff, v20
	v_or3_b32 v7, v13, v12, 0
	v_or_b32_e32 v10, v15, v14
	v_or_b32_e32 v12, v19, v18
	v_or3_b32 v4, 0, 0, v4
	v_or3_b32 v6, 0, 0, v6
	;; [unrolled: 1-line block ×6, first 2 shown]
	ds_write2_b64 v3, v[4:5], v[6:7] offset1:32
	ds_write2_b64 v3, v[10:11], v[12:13] offset0:64 offset1:96
	s_waitcnt lgkmcnt(0)
	s_barrier
	s_cbranch_scc1 .LBB9_4
; %bb.3:
	s_load_dword s4, s[0:1], 0xd0
	s_mov_b32 s5, 0
	s_waitcnt lgkmcnt(0)
	s_mul_i32 s4, s4, s33
	s_add_i32 s4, s4, s2
	s_lshl_b64 s[4:5], s[4:5], 2
	s_add_u32 s4, s14, s4
	s_addc_u32 s5, s15, s5
	s_load_dword s28, s[4:5], 0x0
.LBB9_4:
	s_lshl_b32 s2, s3, 6
	v_lshlrev_b32_e32 v27, 2, v8
	s_waitcnt lgkmcnt(0)
	s_cmp_lt_i32 s2, s28
	v_mbcnt_lo_u32_b32 v3, -1, 0
	s_cbranch_scc1 .LBB9_7
; %bb.5:
	v_mbcnt_hi_u32_b32 v17, -1, v3
	v_and_b32_e32 v4, 0x60, v17
	v_add_u32_e32 v30, 32, v4
	v_xor_b32_e32 v35, 16, v17
	v_xor_b32_e32 v34, 8, v17
	;; [unrolled: 1-line block ×5, first 2 shown]
	s_cbranch_execz .LBB9_8
; %bb.6:
	v_mov_b32_e32 v53, 0
	v_mov_b32_e32 v58, 0
	;; [unrolled: 1-line block ×10, first 2 shown]
	s_branch .LBB9_10
.LBB9_7:
                                        ; implicit-def: $vgpr17
                                        ; implicit-def: $vgpr30
                                        ; implicit-def: $vgpr35
                                        ; implicit-def: $vgpr34
                                        ; implicit-def: $vgpr33
                                        ; implicit-def: $vgpr31
                                        ; implicit-def: $vgpr32
.LBB9_8:
	s_sub_i32 s4, 0, s36
	s_mul_i32 s4, s4, s38
	s_mul_hi_u32 s4, s38, s4
	s_add_i32 s38, s38, s4
	s_load_dwordx2 s[4:5], s[0:1], 0x8c
	s_load_dwordx4 s[24:27], s[0:1], 0x98
	s_abs_i32 s14, s29
	s_mul_hi_u32 s15, s14, s38
	s_ashr_i32 s21, s37, 31
	s_ashr_i32 s20, s29, 31
	s_waitcnt lgkmcnt(0)
	s_ashr_i32 s34, s26, 2
	s_ashr_i32 s26, s35, 1
	;; [unrolled: 1-line block ×4, first 2 shown]
	s_mul_hi_u32 s37, s24, s33
	s_mul_i32 s38, s24, s4
	s_add_i32 s37, s37, s38
	s_mul_i32 s25, s25, s33
	s_add_i32 s37, s37, s25
	s_mul_i32 s24, s24, s33
	s_add_u32 s6, s6, s24
	s_addc_u32 s7, s7, s37
	s_xor_b32 s20, s20, s21
	s_mul_i32 s21, s15, s36
	s_sub_i32 s14, s14, s21
	s_add_i32 s21, s15, 1
	s_sub_i32 s24, s14, s36
	s_cmp_ge_u32 s14, s36
	s_cselect_b32 s15, s21, s15
	s_cselect_b32 s14, s24, s14
	s_add_i32 s21, s15, 1
	s_cmp_ge_u32 s14, s36
	s_load_dwordx2 s[10:11], s[0:1], 0xa8
	s_cselect_b32 s14, s21, s15
	s_xor_b32 s14, s14, s20
	s_sub_i32 s14, s14, s20
	s_mul_i32 s5, s14, s5
	s_ashr_i32 s15, s5, 31
	s_add_u32 s36, s6, s5
	s_waitcnt lgkmcnt(0)
	s_mul_hi_u32 s5, s10, s33
	s_mul_i32 s4, s10, s4
	s_addc_u32 s37, s7, s15
	s_add_i32 s4, s5, s4
	s_mul_i32 s5, s11, s33
	s_add_i32 s4, s4, s5
	s_mul_i32 s5, s10, s33
	s_add_u32 s5, s8, s5
	s_mul_i32 s14, s14, s27
	s_addc_u32 s6, s9, s4
	s_ashr_i32 s7, s14, 31
	v_lshrrev_b32_e32 v4, 3, v8
	s_add_u32 s4, s5, s14
	v_lshl_add_u32 v5, v0, 2, v4
	v_and_b32_e32 v4, 28, v27
	s_addc_u32 s5, s6, s7
	v_lshlrev_b32_e32 v6, 2, v4
	s_movk_i32 s6, 0x90
	v_mad_u32_u24 v36, v5, s6, v6
	v_mad_u64_u32 v[16:17], s[6:7], v1, s26, v[8:9]
	v_mov_b32_e32 v1, 0x4400
	v_lshl_add_u32 v39, v0, 7, v1
	v_mul_lo_u32 v0, s34, v0
	v_ashrrev_i32_e32 v1, 31, v0
	v_mov_b32_e32 v11, 0
	v_mul_lo_u32 v12, s35, v5
	v_lshlrev_b32_e32 v10, 2, v27
	v_lshl_add_u64 v[0:1], v[0:1], 2, s[4:5]
	v_mbcnt_hi_u32_b32 v17, -1, v3
	v_lshl_add_u32 v14, s35, 5, v12
	v_add_u32_e32 v41, v2, v10
	s_add_u32 s8, s0, 0xd0
	v_lshl_add_u64 v[18:19], v[0:1], 0, v[10:11]
	v_and_b32_e32 v1, 0x60, v17
	v_ashrrev_i32_e32 v13, 31, v12
	v_add_u32_e32 v37, 0x1200, v36
	v_ashrrev_i32_e32 v15, 31, v14
	v_mul_u32_u24_e32 v38, 0x90, v8
	v_lshl_add_u32 v40, v8, 1, v39
	v_add_u32_e32 v42, 0x200, v41
	s_addc_u32 s9, s1, 0
	v_mov_b32_e32 v0, 0xfeffffff
	v_lshlrev_b32_e32 v10, 2, v4
	v_add_u32_e32 v30, 32, v1
	v_xor_b32_e32 v35, 16, v17
	v_xor_b32_e32 v34, 8, v17
	v_xor_b32_e32 v33, 4, v17
	v_xor_b32_e32 v31, 2, v17
	v_xor_b32_e32 v32, 1, v17
	s_mov_b32 s38, 0x3fb8aa3b
	s_mov_b32 s39, 0xc2ce8ed0
	;; [unrolled: 1-line block ×3, first 2 shown]
	v_mov_b32_e32 v43, 0x7f800000
	s_mov_b32 s41, 0x10001
	v_add_u32_e32 v44, 0x800, v28
	v_add_u32_e32 v45, 0x1000, v28
	;; [unrolled: 1-line block ×3, first 2 shown]
	v_mov_b32_e32 v47, v11
	v_mov_b32_e32 v48, v11
	v_mov_b32_e32 v49, v11
	v_mov_b32_e32 v50, v11
	v_mov_b32_e32 v51, v11
	v_mov_b32_e32 v54, v11
	v_mov_b32_e32 v52, v11
	v_mov_b32_e32 v53, v11
	v_mov_b32_e32 v58, v11
.LBB9_9:                                ; =>This Inner Loop Header: Depth=1
	s_mul_hi_i32 s5, s2, s35
	s_mul_i32 s4, s2, s35
	s_lshl_b64 s[4:5], s[4:5], 2
	s_add_u32 s4, s36, s4
	s_addc_u32 s5, s37, s5
	v_mov_b32_e32 v55, v0
	v_lshl_add_u64 v[0:1], v[12:13], 2, s[4:5]
	v_lshl_add_u64 v[2:3], v[14:15], 2, s[4:5]
	;; [unrolled: 1-line block ×4, first 2 shown]
	global_load_dwordx4 v[4:7], v[0:1], off
	global_load_dwordx4 v[60:63], v[2:3], off
	v_mov_b32_e32 v56, 0
	v_mov_b32_e32 v57, 0
	v_add_u32_e32 v22, s2, v16
	v_ashrrev_i32_e32 v23, 31, v22
	v_lshl_add_u64 v[22:23], v[22:23], 1, s[30:31]
	v_cmp_lt_i32_e32 vcc, v35, v30
	v_mov_b32_e32 v59, v58
	s_mul_hi_i32 s5, s2, s34
	v_cndmask_b32_e32 v20, v17, v35, vcc
	v_cmp_lt_i32_e32 vcc, v34, v30
	s_mul_i32 s4, s2, s34
	s_or_b32 s6, s2, 24
	v_cndmask_b32_e32 v21, v17, v34, vcc
	v_cmp_lt_i32_e32 vcc, v33, v30
	s_or_b32 s7, s2, 32
	s_mul_hi_i32 s27, s6, s34
	v_cndmask_b32_e32 v24, v17, v33, vcc
	v_cmp_lt_i32_e32 vcc, v31, v30
	s_mul_i32 s26, s6, s34
	s_mul_hi_i32 s25, s7, s34
	v_cndmask_b32_e32 v25, v17, v31, vcc
	v_cmp_lt_i32_e32 vcc, v32, v30
	s_mul_i32 s24, s7, s34
	s_or_b32 s10, s2, 40
	s_mul_hi_i32 s11, s10, s34
	s_mul_i32 s10, s10, s34
	s_or_b32 s14, s2, 48
	s_mul_hi_i32 s21, s14, s34
	;; [unrolled: 3-line block ×3, first 2 shown]
	s_mul_i32 s14, s46, s34
	s_waitcnt vmcnt(1)
	ds_write_b128 v36, v[4:7]
	s_waitcnt vmcnt(0)
	ds_write_b128 v37, v[60:63]
	s_waitcnt lgkmcnt(0)
	s_barrier
	ds_read_b128 v[4:7], v38
	ds_read_b128 v[60:63], v29
	ds_read_b128 v[64:67], v38 offset:4608
	s_waitcnt lgkmcnt(1)
	;;#ASMSTART
	v_dot2_f32_f16 v56, v4, v60, v56
	;;#ASMEND
	s_nop 0
	;;#ASMSTART
	v_dot2_f32_f16 v56, v5, v61, v56
	;;#ASMEND
	s_nop 0
	;;#ASMSTART
	v_dot2_f32_f16 v56, v6, v62, v56
	;;#ASMEND
	s_nop 0
	;;#ASMSTART
	v_dot2_f32_f16 v56, v7, v63, v56
	;;#ASMEND
	s_waitcnt lgkmcnt(0)
	;;#ASMSTART
	v_dot2_f32_f16 v57, v64, v60, v57
	;;#ASMEND
	s_nop 0
	;;#ASMSTART
	v_dot2_f32_f16 v57, v65, v61, v57
	;;#ASMEND
	s_nop 0
	;;#ASMSTART
	v_dot2_f32_f16 v57, v66, v62, v57
	;;#ASMEND
	s_nop 0
	;;#ASMSTART
	v_dot2_f32_f16 v57, v67, v63, v57
	;;#ASMEND
	ds_read_b128 v[4:7], v38 offset:16
	ds_read_b128 v[60:63], v29 offset:16
	ds_read_b128 v[64:67], v38 offset:4624
	s_waitcnt lgkmcnt(1)
	;;#ASMSTART
	v_dot2_f32_f16 v56, v4, v60, v56
	;;#ASMEND
	s_nop 0
	;;#ASMSTART
	v_dot2_f32_f16 v56, v5, v61, v56
	;;#ASMEND
	s_nop 0
	;;#ASMSTART
	v_dot2_f32_f16 v56, v6, v62, v56
	;;#ASMEND
	s_nop 0
	;;#ASMSTART
	v_dot2_f32_f16 v56, v7, v63, v56
	;;#ASMEND
	s_waitcnt lgkmcnt(0)
	;;#ASMSTART
	v_dot2_f32_f16 v57, v64, v60, v57
	;;#ASMEND
	s_nop 0
	;;#ASMSTART
	v_dot2_f32_f16 v57, v65, v61, v57
	;;#ASMEND
	s_nop 0
	;;#ASMSTART
	v_dot2_f32_f16 v57, v66, v62, v57
	;;#ASMEND
	s_nop 0
	;;#ASMSTART
	v_dot2_f32_f16 v57, v67, v63, v57
	;;#ASMEND
	ds_read_b128 v[4:7], v38 offset:32
	ds_read_b128 v[60:63], v29 offset:32
	ds_read_b128 v[64:67], v38 offset:4640
	s_waitcnt lgkmcnt(1)
	;;#ASMSTART
	v_dot2_f32_f16 v56, v4, v60, v56
	;;#ASMEND
	s_nop 0
	;;#ASMSTART
	v_dot2_f32_f16 v56, v5, v61, v56
	;;#ASMEND
	s_nop 0
	;;#ASMSTART
	v_dot2_f32_f16 v56, v6, v62, v56
	;;#ASMEND
	s_nop 0
	;;#ASMSTART
	v_dot2_f32_f16 v56, v7, v63, v56
	;;#ASMEND
	s_waitcnt lgkmcnt(0)
	;;#ASMSTART
	v_dot2_f32_f16 v57, v64, v60, v57
	;;#ASMEND
	s_nop 0
	;;#ASMSTART
	v_dot2_f32_f16 v57, v65, v61, v57
	;;#ASMEND
	s_nop 0
	;;#ASMSTART
	v_dot2_f32_f16 v57, v66, v62, v57
	;;#ASMEND
	s_nop 0
	;;#ASMSTART
	v_dot2_f32_f16 v57, v67, v63, v57
	;;#ASMEND
	ds_read_b128 v[4:7], v38 offset:48
	ds_read_b128 v[60:63], v29 offset:48
	ds_read_b128 v[64:67], v38 offset:4656
	s_waitcnt lgkmcnt(1)
	;;#ASMSTART
	v_dot2_f32_f16 v56, v4, v60, v56
	;;#ASMEND
	s_nop 0
	;;#ASMSTART
	v_dot2_f32_f16 v56, v5, v61, v56
	;;#ASMEND
	s_nop 0
	;;#ASMSTART
	v_dot2_f32_f16 v56, v6, v62, v56
	;;#ASMEND
	s_nop 0
	;;#ASMSTART
	v_dot2_f32_f16 v56, v7, v63, v56
	;;#ASMEND
	s_waitcnt lgkmcnt(0)
	;;#ASMSTART
	v_dot2_f32_f16 v57, v64, v60, v57
	;;#ASMEND
	s_nop 0
	;;#ASMSTART
	v_dot2_f32_f16 v57, v65, v61, v57
	;;#ASMEND
	s_nop 0
	;;#ASMSTART
	v_dot2_f32_f16 v57, v66, v62, v57
	;;#ASMEND
	s_nop 0
	;;#ASMSTART
	v_dot2_f32_f16 v57, v67, v63, v57
	;;#ASMEND
	ds_read_b128 v[4:7], v38 offset:64
	ds_read_b128 v[60:63], v29 offset:64
	ds_read_b128 v[64:67], v38 offset:4672
	s_waitcnt lgkmcnt(1)
	;;#ASMSTART
	v_dot2_f32_f16 v56, v4, v60, v56
	;;#ASMEND
	s_nop 0
	;;#ASMSTART
	v_dot2_f32_f16 v56, v5, v61, v56
	;;#ASMEND
	s_nop 0
	;;#ASMSTART
	v_dot2_f32_f16 v56, v6, v62, v56
	;;#ASMEND
	s_nop 0
	;;#ASMSTART
	v_dot2_f32_f16 v56, v7, v63, v56
	;;#ASMEND
	s_waitcnt lgkmcnt(0)
	;;#ASMSTART
	v_dot2_f32_f16 v57, v64, v60, v57
	;;#ASMEND
	s_nop 0
	;;#ASMSTART
	v_dot2_f32_f16 v57, v65, v61, v57
	;;#ASMEND
	s_nop 0
	;;#ASMSTART
	v_dot2_f32_f16 v57, v66, v62, v57
	;;#ASMEND
	s_nop 0
	;;#ASMSTART
	v_dot2_f32_f16 v57, v67, v63, v57
	;;#ASMEND
	ds_read_b128 v[4:7], v38 offset:80
	ds_read_b128 v[60:63], v29 offset:80
	ds_read_b128 v[64:67], v38 offset:4688
	s_waitcnt lgkmcnt(1)
	;;#ASMSTART
	v_dot2_f32_f16 v56, v4, v60, v56
	;;#ASMEND
	s_nop 0
	;;#ASMSTART
	v_dot2_f32_f16 v56, v5, v61, v56
	;;#ASMEND
	s_nop 0
	;;#ASMSTART
	v_dot2_f32_f16 v56, v6, v62, v56
	;;#ASMEND
	s_nop 0
	;;#ASMSTART
	v_dot2_f32_f16 v56, v7, v63, v56
	;;#ASMEND
	s_waitcnt lgkmcnt(0)
	;;#ASMSTART
	v_dot2_f32_f16 v57, v64, v60, v57
	;;#ASMEND
	s_nop 0
	;;#ASMSTART
	v_dot2_f32_f16 v57, v65, v61, v57
	;;#ASMEND
	s_nop 0
	;;#ASMSTART
	v_dot2_f32_f16 v57, v66, v62, v57
	;;#ASMEND
	s_nop 0
	;;#ASMSTART
	v_dot2_f32_f16 v57, v67, v63, v57
	;;#ASMEND
	ds_read_b128 v[4:7], v38 offset:96
	ds_read_b128 v[60:63], v29 offset:96
	ds_read_b128 v[64:67], v38 offset:4704
	s_waitcnt lgkmcnt(1)
	;;#ASMSTART
	v_dot2_f32_f16 v56, v4, v60, v56
	;;#ASMEND
	s_nop 0
	;;#ASMSTART
	v_dot2_f32_f16 v56, v5, v61, v56
	;;#ASMEND
	s_nop 0
	;;#ASMSTART
	v_dot2_f32_f16 v56, v6, v62, v56
	;;#ASMEND
	s_nop 0
	;;#ASMSTART
	v_dot2_f32_f16 v56, v7, v63, v56
	;;#ASMEND
	s_waitcnt lgkmcnt(0)
	;;#ASMSTART
	v_dot2_f32_f16 v57, v64, v60, v57
	;;#ASMEND
	s_nop 0
	;;#ASMSTART
	v_dot2_f32_f16 v57, v65, v61, v57
	;;#ASMEND
	s_nop 0
	;;#ASMSTART
	v_dot2_f32_f16 v57, v66, v62, v57
	;;#ASMEND
	s_nop 0
	;;#ASMSTART
	v_dot2_f32_f16 v57, v67, v63, v57
	;;#ASMEND
	ds_read_b128 v[4:7], v38 offset:112
	ds_read_b128 v[60:63], v29 offset:112
	ds_read_b128 v[64:67], v38 offset:4720
	s_waitcnt lgkmcnt(1)
	;;#ASMSTART
	v_dot2_f32_f16 v56, v4, v60, v56
	;;#ASMEND
	s_nop 0
	;;#ASMSTART
	v_dot2_f32_f16 v56, v5, v61, v56
	;;#ASMEND
	s_nop 0
	;;#ASMSTART
	v_dot2_f32_f16 v56, v6, v62, v56
	;;#ASMEND
	s_nop 0
	;;#ASMSTART
	v_dot2_f32_f16 v56, v7, v63, v56
	;;#ASMEND
	s_waitcnt lgkmcnt(0)
	;;#ASMSTART
	v_dot2_f32_f16 v57, v64, v60, v57
	;;#ASMEND
	s_nop 0
	;;#ASMSTART
	v_dot2_f32_f16 v57, v65, v61, v57
	;;#ASMEND
	s_nop 0
	;; [unrolled: 4-line block ×3, first 2 shown]
	;;#ASMSTART
	v_dot2_f32_f16 v57, v67, v63, v57
	;;#ASMEND
	s_barrier
	global_load_dwordx4 v[4:7], v[0:1], off offset:128
	global_load_dwordx4 v[60:63], v[2:3], off offset:128
	s_waitcnt vmcnt(1)
	ds_write_b128 v36, v[4:7]
	s_waitcnt vmcnt(0)
	ds_write_b128 v37, v[60:63]
	s_waitcnt lgkmcnt(0)
	s_barrier
	ds_read_b128 v[4:7], v38
	ds_read_b128 v[60:63], v29 offset:128
	ds_read_b128 v[64:67], v38 offset:4608
	s_waitcnt lgkmcnt(1)
	;;#ASMSTART
	v_dot2_f32_f16 v56, v4, v60, v56
	;;#ASMEND
	s_nop 0
	;;#ASMSTART
	v_dot2_f32_f16 v56, v5, v61, v56
	;;#ASMEND
	s_nop 0
	;;#ASMSTART
	v_dot2_f32_f16 v56, v6, v62, v56
	;;#ASMEND
	s_nop 0
	;;#ASMSTART
	v_dot2_f32_f16 v56, v7, v63, v56
	;;#ASMEND
	s_waitcnt lgkmcnt(0)
	;;#ASMSTART
	v_dot2_f32_f16 v57, v64, v60, v57
	;;#ASMEND
	s_nop 0
	;;#ASMSTART
	v_dot2_f32_f16 v57, v65, v61, v57
	;;#ASMEND
	s_nop 0
	;;#ASMSTART
	v_dot2_f32_f16 v57, v66, v62, v57
	;;#ASMEND
	s_nop 0
	;;#ASMSTART
	v_dot2_f32_f16 v57, v67, v63, v57
	;;#ASMEND
	ds_read_b128 v[4:7], v38 offset:16
	ds_read_b128 v[60:63], v29 offset:144
	ds_read_b128 v[64:67], v38 offset:4624
	s_waitcnt lgkmcnt(1)
	;;#ASMSTART
	v_dot2_f32_f16 v56, v4, v60, v56
	;;#ASMEND
	s_nop 0
	;;#ASMSTART
	v_dot2_f32_f16 v56, v5, v61, v56
	;;#ASMEND
	s_nop 0
	;;#ASMSTART
	v_dot2_f32_f16 v56, v6, v62, v56
	;;#ASMEND
	s_nop 0
	;;#ASMSTART
	v_dot2_f32_f16 v56, v7, v63, v56
	;;#ASMEND
	s_waitcnt lgkmcnt(0)
	;;#ASMSTART
	v_dot2_f32_f16 v57, v64, v60, v57
	;;#ASMEND
	s_nop 0
	;;#ASMSTART
	v_dot2_f32_f16 v57, v65, v61, v57
	;;#ASMEND
	s_nop 0
	;;#ASMSTART
	v_dot2_f32_f16 v57, v66, v62, v57
	;;#ASMEND
	s_nop 0
	;;#ASMSTART
	v_dot2_f32_f16 v57, v67, v63, v57
	;;#ASMEND
	ds_read_b128 v[4:7], v38 offset:32
	;; [unrolled: 35-line block ×7, first 2 shown]
	ds_read_b128 v[60:63], v29 offset:240
	ds_read_b128 v[64:67], v38 offset:4720
	s_waitcnt lgkmcnt(1)
	;;#ASMSTART
	v_dot2_f32_f16 v56, v4, v60, v56
	;;#ASMEND
	s_nop 0
	;;#ASMSTART
	v_dot2_f32_f16 v56, v5, v61, v56
	;;#ASMEND
	s_nop 0
	;; [unrolled: 4-line block ×3, first 2 shown]
	;;#ASMSTART
	v_dot2_f32_f16 v56, v7, v63, v56
	;;#ASMEND
	s_waitcnt lgkmcnt(0)
	;;#ASMSTART
	v_dot2_f32_f16 v57, v64, v60, v57
	;;#ASMEND
	s_nop 0
	;;#ASMSTART
	v_dot2_f32_f16 v57, v65, v61, v57
	;;#ASMEND
	s_nop 0
	;; [unrolled: 4-line block ×3, first 2 shown]
	;;#ASMSTART
	v_dot2_f32_f16 v57, v67, v63, v57
	;;#ASMEND
	s_barrier
	global_load_dwordx4 v[4:7], v[0:1], off offset:256
	global_load_dwordx4 v[60:63], v[2:3], off offset:256
	s_waitcnt vmcnt(1)
	ds_write_b128 v36, v[4:7]
	s_waitcnt vmcnt(0)
	ds_write_b128 v37, v[60:63]
	s_waitcnt lgkmcnt(0)
	s_barrier
	ds_read_b128 v[4:7], v38
	ds_read_b128 v[60:63], v29 offset:256
	ds_read_b128 v[64:67], v38 offset:4608
	s_waitcnt lgkmcnt(1)
	;;#ASMSTART
	v_dot2_f32_f16 v56, v4, v60, v56
	;;#ASMEND
	s_nop 0
	;;#ASMSTART
	v_dot2_f32_f16 v56, v5, v61, v56
	;;#ASMEND
	s_nop 0
	;;#ASMSTART
	v_dot2_f32_f16 v56, v6, v62, v56
	;;#ASMEND
	s_nop 0
	;;#ASMSTART
	v_dot2_f32_f16 v56, v7, v63, v56
	;;#ASMEND
	s_waitcnt lgkmcnt(0)
	;;#ASMSTART
	v_dot2_f32_f16 v57, v64, v60, v57
	;;#ASMEND
	s_nop 0
	;;#ASMSTART
	v_dot2_f32_f16 v57, v65, v61, v57
	;;#ASMEND
	s_nop 0
	;;#ASMSTART
	v_dot2_f32_f16 v57, v66, v62, v57
	;;#ASMEND
	s_nop 0
	;;#ASMSTART
	v_dot2_f32_f16 v57, v67, v63, v57
	;;#ASMEND
	ds_read_b128 v[4:7], v38 offset:16
	ds_read_b128 v[60:63], v29 offset:272
	ds_read_b128 v[64:67], v38 offset:4624
	s_waitcnt lgkmcnt(1)
	;;#ASMSTART
	v_dot2_f32_f16 v56, v4, v60, v56
	;;#ASMEND
	s_nop 0
	;;#ASMSTART
	v_dot2_f32_f16 v56, v5, v61, v56
	;;#ASMEND
	s_nop 0
	;;#ASMSTART
	v_dot2_f32_f16 v56, v6, v62, v56
	;;#ASMEND
	s_nop 0
	;;#ASMSTART
	v_dot2_f32_f16 v56, v7, v63, v56
	;;#ASMEND
	s_waitcnt lgkmcnt(0)
	;;#ASMSTART
	v_dot2_f32_f16 v57, v64, v60, v57
	;;#ASMEND
	s_nop 0
	;;#ASMSTART
	v_dot2_f32_f16 v57, v65, v61, v57
	;;#ASMEND
	s_nop 0
	;;#ASMSTART
	v_dot2_f32_f16 v57, v66, v62, v57
	;;#ASMEND
	s_nop 0
	;;#ASMSTART
	v_dot2_f32_f16 v57, v67, v63, v57
	;;#ASMEND
	ds_read_b128 v[4:7], v38 offset:32
	;; [unrolled: 35-line block ×7, first 2 shown]
	ds_read_b128 v[60:63], v29 offset:368
	ds_read_b128 v[64:67], v38 offset:4720
	s_waitcnt lgkmcnt(1)
	;;#ASMSTART
	v_dot2_f32_f16 v56, v4, v60, v56
	;;#ASMEND
	s_nop 0
	;;#ASMSTART
	v_dot2_f32_f16 v56, v5, v61, v56
	;;#ASMEND
	s_nop 0
	;; [unrolled: 4-line block ×3, first 2 shown]
	;;#ASMSTART
	v_dot2_f32_f16 v56, v7, v63, v56
	;;#ASMEND
	s_waitcnt lgkmcnt(0)
	;;#ASMSTART
	v_dot2_f32_f16 v57, v64, v60, v57
	;;#ASMEND
	s_nop 0
	;;#ASMSTART
	v_dot2_f32_f16 v57, v65, v61, v57
	;;#ASMEND
	s_nop 0
	;; [unrolled: 4-line block ×3, first 2 shown]
	;;#ASMSTART
	v_dot2_f32_f16 v57, v67, v63, v57
	;;#ASMEND
	s_barrier
	global_load_dwordx4 v[4:7], v[0:1], off offset:384
	global_load_dwordx4 v[60:63], v[2:3], off offset:384
	s_waitcnt vmcnt(1)
	ds_write_b128 v36, v[4:7]
	s_waitcnt vmcnt(0)
	ds_write_b128 v37, v[60:63]
	s_waitcnt lgkmcnt(0)
	s_barrier
	ds_read_b128 v[4:7], v38
	ds_read_b128 v[60:63], v29 offset:384
	ds_read_b128 v[64:67], v38 offset:4608
	s_waitcnt lgkmcnt(1)
	;;#ASMSTART
	v_dot2_f32_f16 v56, v4, v60, v56
	;;#ASMEND
	s_nop 0
	;;#ASMSTART
	v_dot2_f32_f16 v56, v5, v61, v56
	;;#ASMEND
	s_nop 0
	;;#ASMSTART
	v_dot2_f32_f16 v56, v6, v62, v56
	;;#ASMEND
	s_nop 0
	;;#ASMSTART
	v_dot2_f32_f16 v56, v7, v63, v56
	;;#ASMEND
	s_waitcnt lgkmcnt(0)
	;;#ASMSTART
	v_dot2_f32_f16 v57, v64, v60, v57
	;;#ASMEND
	s_nop 0
	;;#ASMSTART
	v_dot2_f32_f16 v57, v65, v61, v57
	;;#ASMEND
	s_nop 0
	;;#ASMSTART
	v_dot2_f32_f16 v57, v66, v62, v57
	;;#ASMEND
	s_nop 0
	;;#ASMSTART
	v_dot2_f32_f16 v57, v67, v63, v57
	;;#ASMEND
	ds_read_b128 v[4:7], v38 offset:16
	ds_read_b128 v[60:63], v29 offset:400
	ds_read_b128 v[64:67], v38 offset:4624
	s_waitcnt lgkmcnt(1)
	;;#ASMSTART
	v_dot2_f32_f16 v56, v4, v60, v56
	;;#ASMEND
	s_nop 0
	;;#ASMSTART
	v_dot2_f32_f16 v56, v5, v61, v56
	;;#ASMEND
	s_nop 0
	;;#ASMSTART
	v_dot2_f32_f16 v56, v6, v62, v56
	;;#ASMEND
	s_nop 0
	;;#ASMSTART
	v_dot2_f32_f16 v56, v7, v63, v56
	;;#ASMEND
	s_waitcnt lgkmcnt(0)
	;;#ASMSTART
	v_dot2_f32_f16 v57, v64, v60, v57
	;;#ASMEND
	s_nop 0
	;;#ASMSTART
	v_dot2_f32_f16 v57, v65, v61, v57
	;;#ASMEND
	s_nop 0
	;;#ASMSTART
	v_dot2_f32_f16 v57, v66, v62, v57
	;;#ASMEND
	s_nop 0
	;;#ASMSTART
	v_dot2_f32_f16 v57, v67, v63, v57
	;;#ASMEND
	ds_read_b128 v[4:7], v38 offset:32
	ds_read_b128 v[60:63], v29 offset:416
	ds_read_b128 v[64:67], v38 offset:4640
	s_waitcnt lgkmcnt(1)
	;;#ASMSTART
	v_dot2_f32_f16 v56, v4, v60, v56
	;;#ASMEND
	s_nop 0
	;;#ASMSTART
	v_dot2_f32_f16 v56, v5, v61, v56
	;;#ASMEND
	s_nop 0
	;;#ASMSTART
	v_dot2_f32_f16 v56, v6, v62, v56
	;;#ASMEND
	s_nop 0
	;;#ASMSTART
	v_dot2_f32_f16 v56, v7, v63, v56
	;;#ASMEND
	s_waitcnt lgkmcnt(0)
	;;#ASMSTART
	v_dot2_f32_f16 v57, v64, v60, v57
	;;#ASMEND
	s_nop 0
	;;#ASMSTART
	v_dot2_f32_f16 v57, v65, v61, v57
	;;#ASMEND
	s_nop 0
	;;#ASMSTART
	v_dot2_f32_f16 v57, v66, v62, v57
	;;#ASMEND
	s_nop 0
	;;#ASMSTART
	v_dot2_f32_f16 v57, v67, v63, v57
	;;#ASMEND
	ds_read_b128 v[4:7], v38 offset:48
	ds_read_b128 v[60:63], v29 offset:432
	ds_read_b128 v[64:67], v38 offset:4656
	s_waitcnt lgkmcnt(1)
	;;#ASMSTART
	v_dot2_f32_f16 v56, v4, v60, v56
	;;#ASMEND
	s_nop 0
	;;#ASMSTART
	v_dot2_f32_f16 v56, v5, v61, v56
	;;#ASMEND
	s_nop 0
	;;#ASMSTART
	v_dot2_f32_f16 v56, v6, v62, v56
	;;#ASMEND
	s_nop 0
	;;#ASMSTART
	v_dot2_f32_f16 v56, v7, v63, v56
	;;#ASMEND
	s_waitcnt lgkmcnt(0)
	;;#ASMSTART
	v_dot2_f32_f16 v57, v64, v60, v57
	;;#ASMEND
	s_nop 0
	;;#ASMSTART
	v_dot2_f32_f16 v57, v65, v61, v57
	;;#ASMEND
	s_nop 0
	;;#ASMSTART
	v_dot2_f32_f16 v57, v66, v62, v57
	;;#ASMEND
	s_nop 0
	;;#ASMSTART
	v_dot2_f32_f16 v57, v67, v63, v57
	;;#ASMEND
	ds_read_b128 v[4:7], v38 offset:64
	ds_read_b128 v[60:63], v29 offset:448
	ds_read_b128 v[64:67], v38 offset:4672
	s_waitcnt lgkmcnt(1)
	;;#ASMSTART
	v_dot2_f32_f16 v56, v4, v60, v56
	;;#ASMEND
	s_nop 0
	;;#ASMSTART
	v_dot2_f32_f16 v56, v5, v61, v56
	;;#ASMEND
	s_nop 0
	;;#ASMSTART
	v_dot2_f32_f16 v56, v6, v62, v56
	;;#ASMEND
	s_nop 0
	;;#ASMSTART
	v_dot2_f32_f16 v56, v7, v63, v56
	;;#ASMEND
	s_waitcnt lgkmcnt(0)
	;;#ASMSTART
	v_dot2_f32_f16 v57, v64, v60, v57
	;;#ASMEND
	s_nop 0
	;;#ASMSTART
	v_dot2_f32_f16 v57, v65, v61, v57
	;;#ASMEND
	s_nop 0
	;;#ASMSTART
	v_dot2_f32_f16 v57, v66, v62, v57
	;;#ASMEND
	s_nop 0
	;;#ASMSTART
	v_dot2_f32_f16 v57, v67, v63, v57
	;;#ASMEND
	ds_read_b128 v[4:7], v38 offset:80
	ds_read_b128 v[60:63], v29 offset:464
	ds_read_b128 v[64:67], v38 offset:4688
	s_waitcnt lgkmcnt(1)
	;;#ASMSTART
	v_dot2_f32_f16 v56, v4, v60, v56
	;;#ASMEND
	s_nop 0
	;;#ASMSTART
	v_dot2_f32_f16 v56, v5, v61, v56
	;;#ASMEND
	s_nop 0
	;;#ASMSTART
	v_dot2_f32_f16 v56, v6, v62, v56
	;;#ASMEND
	s_nop 0
	;;#ASMSTART
	v_dot2_f32_f16 v56, v7, v63, v56
	;;#ASMEND
	s_waitcnt lgkmcnt(0)
	;;#ASMSTART
	v_dot2_f32_f16 v57, v64, v60, v57
	;;#ASMEND
	s_nop 0
	;;#ASMSTART
	v_dot2_f32_f16 v57, v65, v61, v57
	;;#ASMEND
	s_nop 0
	;;#ASMSTART
	v_dot2_f32_f16 v57, v66, v62, v57
	;;#ASMEND
	s_nop 0
	;;#ASMSTART
	v_dot2_f32_f16 v57, v67, v63, v57
	;;#ASMEND
	ds_read_b128 v[4:7], v38 offset:96
	ds_read_b128 v[60:63], v29 offset:480
	ds_read_b128 v[64:67], v38 offset:4704
	s_waitcnt lgkmcnt(1)
	;;#ASMSTART
	v_dot2_f32_f16 v56, v4, v60, v56
	;;#ASMEND
	s_nop 0
	;;#ASMSTART
	v_dot2_f32_f16 v56, v5, v61, v56
	;;#ASMEND
	s_nop 0
	;;#ASMSTART
	v_dot2_f32_f16 v56, v6, v62, v56
	;;#ASMEND
	s_nop 0
	;;#ASMSTART
	v_dot2_f32_f16 v56, v7, v63, v56
	;;#ASMEND
	s_waitcnt lgkmcnt(0)
	;;#ASMSTART
	v_dot2_f32_f16 v57, v64, v60, v57
	;;#ASMEND
	s_nop 0
	;;#ASMSTART
	v_dot2_f32_f16 v57, v65, v61, v57
	;;#ASMEND
	s_nop 0
	;;#ASMSTART
	v_dot2_f32_f16 v57, v66, v62, v57
	;;#ASMEND
	s_nop 0
	;;#ASMSTART
	v_dot2_f32_f16 v57, v67, v63, v57
	;;#ASMEND
	ds_read_b128 v[4:7], v38 offset:112
	ds_read_b128 v[60:63], v29 offset:496
	ds_read_b128 v[64:67], v38 offset:4720
	s_waitcnt lgkmcnt(1)
	;;#ASMSTART
	v_dot2_f32_f16 v56, v4, v60, v56
	;;#ASMEND
	s_nop 0
	;;#ASMSTART
	v_dot2_f32_f16 v56, v5, v61, v56
	;;#ASMEND
	s_nop 0
	;; [unrolled: 4-line block ×3, first 2 shown]
	;;#ASMSTART
	v_dot2_f32_f16 v56, v7, v63, v56
	;;#ASMEND
	s_waitcnt lgkmcnt(0)
	;;#ASMSTART
	v_dot2_f32_f16 v57, v64, v60, v57
	;;#ASMEND
	s_nop 0
	;;#ASMSTART
	v_dot2_f32_f16 v57, v65, v61, v57
	;;#ASMEND
	s_nop 0
	;; [unrolled: 4-line block ×3, first 2 shown]
	;;#ASMSTART
	v_dot2_f32_f16 v57, v67, v63, v57
	;;#ASMEND
	s_barrier
	global_load_dwordx4 v[4:7], v[0:1], off offset:512
	global_load_dwordx4 v[60:63], v[2:3], off offset:512
	s_waitcnt vmcnt(1)
	ds_write_b128 v36, v[4:7]
	s_waitcnt vmcnt(0)
	ds_write_b128 v37, v[60:63]
	s_waitcnt lgkmcnt(0)
	s_barrier
	ds_read_b128 v[4:7], v38
	ds_read_b128 v[60:63], v29 offset:512
	ds_read_b128 v[64:67], v38 offset:4608
	s_waitcnt lgkmcnt(1)
	;;#ASMSTART
	v_dot2_f32_f16 v56, v4, v60, v56
	;;#ASMEND
	s_nop 0
	;;#ASMSTART
	v_dot2_f32_f16 v56, v5, v61, v56
	;;#ASMEND
	s_nop 0
	;;#ASMSTART
	v_dot2_f32_f16 v56, v6, v62, v56
	;;#ASMEND
	s_nop 0
	;;#ASMSTART
	v_dot2_f32_f16 v56, v7, v63, v56
	;;#ASMEND
	s_waitcnt lgkmcnt(0)
	;;#ASMSTART
	v_dot2_f32_f16 v57, v64, v60, v57
	;;#ASMEND
	s_nop 0
	;;#ASMSTART
	v_dot2_f32_f16 v57, v65, v61, v57
	;;#ASMEND
	s_nop 0
	;;#ASMSTART
	v_dot2_f32_f16 v57, v66, v62, v57
	;;#ASMEND
	s_nop 0
	;;#ASMSTART
	v_dot2_f32_f16 v57, v67, v63, v57
	;;#ASMEND
	ds_read_b128 v[4:7], v38 offset:16
	ds_read_b128 v[60:63], v29 offset:528
	ds_read_b128 v[64:67], v38 offset:4624
	s_waitcnt lgkmcnt(1)
	;;#ASMSTART
	v_dot2_f32_f16 v56, v4, v60, v56
	;;#ASMEND
	s_nop 0
	;;#ASMSTART
	v_dot2_f32_f16 v56, v5, v61, v56
	;;#ASMEND
	s_nop 0
	;;#ASMSTART
	v_dot2_f32_f16 v56, v6, v62, v56
	;;#ASMEND
	s_nop 0
	;;#ASMSTART
	v_dot2_f32_f16 v56, v7, v63, v56
	;;#ASMEND
	s_waitcnt lgkmcnt(0)
	;;#ASMSTART
	v_dot2_f32_f16 v57, v64, v60, v57
	;;#ASMEND
	s_nop 0
	;;#ASMSTART
	v_dot2_f32_f16 v57, v65, v61, v57
	;;#ASMEND
	s_nop 0
	;;#ASMSTART
	v_dot2_f32_f16 v57, v66, v62, v57
	;;#ASMEND
	s_nop 0
	;;#ASMSTART
	v_dot2_f32_f16 v57, v67, v63, v57
	;;#ASMEND
	ds_read_b128 v[4:7], v38 offset:32
	;; [unrolled: 35-line block ×7, first 2 shown]
	ds_read_b128 v[60:63], v29 offset:624
	ds_read_b128 v[64:67], v38 offset:4720
	s_waitcnt lgkmcnt(1)
	;;#ASMSTART
	v_dot2_f32_f16 v56, v4, v60, v56
	;;#ASMEND
	s_nop 0
	;;#ASMSTART
	v_dot2_f32_f16 v56, v5, v61, v56
	;;#ASMEND
	s_nop 0
	;; [unrolled: 4-line block ×3, first 2 shown]
	;;#ASMSTART
	v_dot2_f32_f16 v56, v7, v63, v56
	;;#ASMEND
	s_waitcnt lgkmcnt(0)
	;;#ASMSTART
	v_dot2_f32_f16 v57, v64, v60, v57
	;;#ASMEND
	s_nop 0
	;;#ASMSTART
	v_dot2_f32_f16 v57, v65, v61, v57
	;;#ASMEND
	s_nop 0
	;; [unrolled: 4-line block ×3, first 2 shown]
	;;#ASMSTART
	v_dot2_f32_f16 v57, v67, v63, v57
	;;#ASMEND
	s_barrier
	global_load_dwordx4 v[4:7], v[0:1], off offset:640
	global_load_dwordx4 v[60:63], v[2:3], off offset:640
	s_waitcnt vmcnt(1)
	ds_write_b128 v36, v[4:7]
	s_waitcnt vmcnt(0)
	ds_write_b128 v37, v[60:63]
	s_waitcnt lgkmcnt(0)
	s_barrier
	ds_read_b128 v[4:7], v38
	ds_read_b128 v[60:63], v29 offset:640
	ds_read_b128 v[64:67], v38 offset:4608
	s_waitcnt lgkmcnt(1)
	;;#ASMSTART
	v_dot2_f32_f16 v56, v4, v60, v56
	;;#ASMEND
	s_nop 0
	;;#ASMSTART
	v_dot2_f32_f16 v56, v5, v61, v56
	;;#ASMEND
	s_nop 0
	;;#ASMSTART
	v_dot2_f32_f16 v56, v6, v62, v56
	;;#ASMEND
	s_nop 0
	;;#ASMSTART
	v_dot2_f32_f16 v56, v7, v63, v56
	;;#ASMEND
	s_waitcnt lgkmcnt(0)
	;;#ASMSTART
	v_dot2_f32_f16 v57, v64, v60, v57
	;;#ASMEND
	s_nop 0
	;;#ASMSTART
	v_dot2_f32_f16 v57, v65, v61, v57
	;;#ASMEND
	s_nop 0
	;;#ASMSTART
	v_dot2_f32_f16 v57, v66, v62, v57
	;;#ASMEND
	s_nop 0
	;;#ASMSTART
	v_dot2_f32_f16 v57, v67, v63, v57
	;;#ASMEND
	ds_read_b128 v[4:7], v38 offset:16
	ds_read_b128 v[60:63], v29 offset:656
	ds_read_b128 v[64:67], v38 offset:4624
	s_waitcnt lgkmcnt(1)
	;;#ASMSTART
	v_dot2_f32_f16 v56, v4, v60, v56
	;;#ASMEND
	s_nop 0
	;;#ASMSTART
	v_dot2_f32_f16 v56, v5, v61, v56
	;;#ASMEND
	s_nop 0
	;;#ASMSTART
	v_dot2_f32_f16 v56, v6, v62, v56
	;;#ASMEND
	s_nop 0
	;;#ASMSTART
	v_dot2_f32_f16 v56, v7, v63, v56
	;;#ASMEND
	s_waitcnt lgkmcnt(0)
	;;#ASMSTART
	v_dot2_f32_f16 v57, v64, v60, v57
	;;#ASMEND
	s_nop 0
	;;#ASMSTART
	v_dot2_f32_f16 v57, v65, v61, v57
	;;#ASMEND
	s_nop 0
	;;#ASMSTART
	v_dot2_f32_f16 v57, v66, v62, v57
	;;#ASMEND
	s_nop 0
	;;#ASMSTART
	v_dot2_f32_f16 v57, v67, v63, v57
	;;#ASMEND
	ds_read_b128 v[4:7], v38 offset:32
	;; [unrolled: 35-line block ×7, first 2 shown]
	ds_read_b128 v[60:63], v29 offset:752
	ds_read_b128 v[64:67], v38 offset:4720
	s_waitcnt lgkmcnt(1)
	;;#ASMSTART
	v_dot2_f32_f16 v56, v4, v60, v56
	;;#ASMEND
	s_nop 0
	;;#ASMSTART
	v_dot2_f32_f16 v56, v5, v61, v56
	;;#ASMEND
	s_nop 0
	;; [unrolled: 4-line block ×3, first 2 shown]
	;;#ASMSTART
	v_dot2_f32_f16 v56, v7, v63, v56
	;;#ASMEND
	s_waitcnt lgkmcnt(0)
	;;#ASMSTART
	v_dot2_f32_f16 v57, v64, v60, v57
	;;#ASMEND
	s_nop 0
	;;#ASMSTART
	v_dot2_f32_f16 v57, v65, v61, v57
	;;#ASMEND
	s_nop 0
	;; [unrolled: 4-line block ×3, first 2 shown]
	;;#ASMSTART
	v_dot2_f32_f16 v57, v67, v63, v57
	;;#ASMEND
	s_barrier
	global_load_dwordx4 v[4:7], v[0:1], off offset:768
	global_load_dwordx4 v[60:63], v[2:3], off offset:768
	s_waitcnt vmcnt(1)
	ds_write_b128 v36, v[4:7]
	s_waitcnt vmcnt(0)
	ds_write_b128 v37, v[60:63]
	s_waitcnt lgkmcnt(0)
	s_barrier
	ds_read_b128 v[4:7], v38
	ds_read_b128 v[60:63], v29 offset:768
	ds_read_b128 v[64:67], v38 offset:4608
	s_waitcnt lgkmcnt(1)
	;;#ASMSTART
	v_dot2_f32_f16 v56, v4, v60, v56
	;;#ASMEND
	s_nop 0
	;;#ASMSTART
	v_dot2_f32_f16 v56, v5, v61, v56
	;;#ASMEND
	s_nop 0
	;;#ASMSTART
	v_dot2_f32_f16 v56, v6, v62, v56
	;;#ASMEND
	s_nop 0
	;;#ASMSTART
	v_dot2_f32_f16 v56, v7, v63, v56
	;;#ASMEND
	s_waitcnt lgkmcnt(0)
	;;#ASMSTART
	v_dot2_f32_f16 v57, v64, v60, v57
	;;#ASMEND
	s_nop 0
	;;#ASMSTART
	v_dot2_f32_f16 v57, v65, v61, v57
	;;#ASMEND
	s_nop 0
	;;#ASMSTART
	v_dot2_f32_f16 v57, v66, v62, v57
	;;#ASMEND
	s_nop 0
	;;#ASMSTART
	v_dot2_f32_f16 v57, v67, v63, v57
	;;#ASMEND
	ds_read_b128 v[4:7], v38 offset:16
	ds_read_b128 v[60:63], v29 offset:784
	ds_read_b128 v[64:67], v38 offset:4624
	s_waitcnt lgkmcnt(1)
	;;#ASMSTART
	v_dot2_f32_f16 v56, v4, v60, v56
	;;#ASMEND
	s_nop 0
	;;#ASMSTART
	v_dot2_f32_f16 v56, v5, v61, v56
	;;#ASMEND
	s_nop 0
	;;#ASMSTART
	v_dot2_f32_f16 v56, v6, v62, v56
	;;#ASMEND
	s_nop 0
	;;#ASMSTART
	v_dot2_f32_f16 v56, v7, v63, v56
	;;#ASMEND
	s_waitcnt lgkmcnt(0)
	;;#ASMSTART
	v_dot2_f32_f16 v57, v64, v60, v57
	;;#ASMEND
	s_nop 0
	;;#ASMSTART
	v_dot2_f32_f16 v57, v65, v61, v57
	;;#ASMEND
	s_nop 0
	;;#ASMSTART
	v_dot2_f32_f16 v57, v66, v62, v57
	;;#ASMEND
	s_nop 0
	;;#ASMSTART
	v_dot2_f32_f16 v57, v67, v63, v57
	;;#ASMEND
	ds_read_b128 v[4:7], v38 offset:32
	;; [unrolled: 35-line block ×7, first 2 shown]
	ds_read_b128 v[60:63], v29 offset:880
	ds_read_b128 v[64:67], v38 offset:4720
	s_waitcnt lgkmcnt(1)
	;;#ASMSTART
	v_dot2_f32_f16 v56, v4, v60, v56
	;;#ASMEND
	s_nop 0
	;;#ASMSTART
	v_dot2_f32_f16 v56, v5, v61, v56
	;;#ASMEND
	s_nop 0
	;; [unrolled: 4-line block ×3, first 2 shown]
	;;#ASMSTART
	v_dot2_f32_f16 v56, v7, v63, v56
	;;#ASMEND
	s_waitcnt lgkmcnt(0)
	;;#ASMSTART
	v_dot2_f32_f16 v57, v64, v60, v57
	;;#ASMEND
	v_cndmask_b32_e32 v64, v17, v32, vcc
	;;#ASMSTART
	v_dot2_f32_f16 v57, v65, v61, v57
	;;#ASMEND
	v_lshlrev_b32_e32 v58, 2, v64
	;;#ASMSTART
	v_dot2_f32_f16 v57, v66, v62, v57
	;;#ASMEND
	s_nop 0
	;;#ASMSTART
	v_dot2_f32_f16 v57, v67, v63, v57
	;;#ASMEND
	s_barrier
	global_load_dwordx4 v[4:7], v[0:1], off offset:896
	global_load_dwordx4 v[60:63], v[2:3], off offset:896
	s_waitcnt vmcnt(1)
	ds_write_b128 v36, v[4:7]
	s_waitcnt vmcnt(0)
	ds_write_b128 v37, v[60:63]
	s_waitcnt lgkmcnt(0)
	s_barrier
	ds_read_b128 v[0:3], v38
	ds_read_b128 v[4:7], v29 offset:896
	ds_read_b128 v[60:63], v38 offset:4608
	s_waitcnt lgkmcnt(1)
	;;#ASMSTART
	v_dot2_f32_f16 v56, v0, v4, v56
	;;#ASMEND
	s_nop 0
	;;#ASMSTART
	v_dot2_f32_f16 v56, v1, v5, v56
	;;#ASMEND
	s_nop 0
	;;#ASMSTART
	v_dot2_f32_f16 v56, v2, v6, v56
	;;#ASMEND
	s_nop 0
	;;#ASMSTART
	v_dot2_f32_f16 v56, v3, v7, v56
	;;#ASMEND
	s_waitcnt lgkmcnt(0)
	;;#ASMSTART
	v_dot2_f32_f16 v57, v60, v4, v57
	;;#ASMEND
	s_nop 0
	;;#ASMSTART
	v_dot2_f32_f16 v57, v61, v5, v57
	;;#ASMEND
	s_nop 0
	;;#ASMSTART
	v_dot2_f32_f16 v57, v62, v6, v57
	;;#ASMEND
	s_nop 0
	;;#ASMSTART
	v_dot2_f32_f16 v57, v63, v7, v57
	;;#ASMEND
	ds_read_b128 v[0:3], v38 offset:16
	ds_read_b128 v[4:7], v29 offset:912
	ds_read_b128 v[60:63], v38 offset:4624
	s_waitcnt lgkmcnt(1)
	;;#ASMSTART
	v_dot2_f32_f16 v56, v0, v4, v56
	;;#ASMEND
	s_nop 0
	;;#ASMSTART
	v_dot2_f32_f16 v56, v1, v5, v56
	;;#ASMEND
	s_nop 0
	;;#ASMSTART
	v_dot2_f32_f16 v56, v2, v6, v56
	;;#ASMEND
	s_nop 0
	;;#ASMSTART
	v_dot2_f32_f16 v56, v3, v7, v56
	;;#ASMEND
	s_waitcnt lgkmcnt(0)
	;;#ASMSTART
	v_dot2_f32_f16 v57, v60, v4, v57
	;;#ASMEND
	s_nop 0
	;;#ASMSTART
	v_dot2_f32_f16 v57, v61, v5, v57
	;;#ASMEND
	s_nop 0
	;;#ASMSTART
	v_dot2_f32_f16 v57, v62, v6, v57
	;;#ASMEND
	s_nop 0
	;;#ASMSTART
	v_dot2_f32_f16 v57, v63, v7, v57
	;;#ASMEND
	ds_read_b128 v[0:3], v38 offset:32
	;; [unrolled: 35-line block ×7, first 2 shown]
	ds_read_b128 v[0:3], v29 offset:1008
	ds_read_b128 v[4:7], v38 offset:4720
	s_waitcnt lgkmcnt(1)
	;;#ASMSTART
	v_dot2_f32_f16 v56, v60, v0, v56
	;;#ASMEND
	s_nop 0
	;;#ASMSTART
	v_dot2_f32_f16 v56, v61, v1, v56
	;;#ASMEND
	v_lshlrev_b32_e32 v61, 2, v24
	;;#ASMSTART
	v_dot2_f32_f16 v56, v62, v2, v56
	;;#ASMEND
	v_lshlrev_b32_e32 v62, 2, v21
	;;#ASMSTART
	v_dot2_f32_f16 v56, v63, v3, v56
	;;#ASMEND
	s_waitcnt lgkmcnt(0)
	;;#ASMSTART
	v_dot2_f32_f16 v57, v4, v0, v57
	;;#ASMEND
	v_lshlrev_b32_e32 v63, 2, v20
	;;#ASMSTART
	v_dot2_f32_f16 v57, v5, v1, v57
	;;#ASMEND
	v_lshlrev_b32_e32 v60, 2, v25
	;;#ASMSTART
	v_dot2_f32_f16 v57, v6, v2, v57
	;;#ASMEND
	v_lshl_add_u64 v[20:21], s[4:5], 2, v[18:19]
	;;#ASMSTART
	v_dot2_f32_f16 v57, v7, v3, v57
	;;#ASMEND
	global_load_ushort v0, v[22:23], off
	global_load_ushort v1, v[22:23], off offset:64
	s_barrier
	s_or_b32 s4, s2, 8
	s_or_b32 s5, s2, 16
	s_mul_hi_i32 s43, s4, s34
	s_mul_i32 s42, s4, s34
	s_mul_hi_i32 s45, s5, s34
	s_mul_i32 s44, s5, s34
	v_lshl_add_u64 v[6:7], s[42:43], 2, v[18:19]
	v_lshl_add_u64 v[24:25], s[44:45], 2, v[18:19]
	s_waitcnt vmcnt(1)
	v_cvt_f32_f16_e32 v0, v0
	s_waitcnt vmcnt(0)
	v_cvt_f32_f16_e32 v1, v1
	v_add_f32_e32 v2, v56, v0
	v_add_f32_e32 v1, v57, v1
	;; [unrolled: 1-line block ×4, first 2 shown]
	v_max3_f32 v0, v55, v0, v3
	ds_bpermute_b32 v3, v63, v0
	s_waitcnt lgkmcnt(0)
	v_max_f32_e32 v3, v3, v3
	v_max_f32_e32 v0, v0, v3
	ds_bpermute_b32 v3, v62, v0
	s_waitcnt lgkmcnt(0)
	v_max_f32_e32 v3, v3, v3
	v_max_f32_e32 v0, v0, v3
	;; [unrolled: 4-line block ×5, first 2 shown]
	v_sub_f32_e32 v56, v2, v0
	v_sub_f32_e32 v1, v1, v0
	v_mul_f32_e32 v2, 0x3fb8aa3b, v56
	v_mul_f32_e32 v3, 0x3fb8aa3b, v1
	v_fma_f32 v5, v56, s38, -v2
	v_rndne_f32_e32 v22, v2
	v_fma_f32 v23, v1, s38, -v3
	v_rndne_f32_e32 v57, v3
	v_fmac_f32_e32 v5, 0x32a5705f, v56
	v_sub_f32_e32 v2, v2, v22
	v_fmac_f32_e32 v23, 0x32a5705f, v1
	v_sub_f32_e32 v3, v3, v57
	v_sub_f32_e32 v55, v55, v0
	v_add_f32_e32 v61, v2, v5
	v_add_f32_e32 v23, v3, v23
	v_mul_f32_e32 v4, 0x3fb8aa3b, v55
	v_cvt_i32_f32_e32 v22, v22
	v_cvt_i32_f32_e32 v57, v57
	v_exp_f32_e32 v61, v61
	v_exp_f32_e32 v23, v23
	v_fma_f32 v58, v55, s38, -v4
	v_rndne_f32_e32 v60, v4
	v_fmac_f32_e32 v58, 0x32a5705f, v55
	v_sub_f32_e32 v4, v4, v60
	v_add_f32_e32 v58, v4, v58
	global_load_dwordx4 v[2:5], v[20:21], off
	v_ldexp_f32 v61, v61, v22
	v_ldexp_f32 v57, v23, v57
	global_load_dwordx4 v[20:23], v[20:21], off offset:512
	v_cvt_i32_f32_e32 v60, v60
	v_exp_f32_e32 v58, v58
	v_cmp_ngt_f32_e64 s[6:7], s39, v56
	v_cmp_ngt_f32_e32 vcc, s39, v1
	v_cmp_ngt_f32_e64 s[4:5], s39, v55
	v_ldexp_f32 v58, v58, v60
	v_cndmask_b32_e64 v60, 0, v61, s[6:7]
	v_cmp_nlt_f32_e64 s[6:7], s40, v56
	v_cndmask_b32_e32 v57, 0, v57, vcc
	v_cmp_nlt_f32_e32 vcc, s40, v1
	v_cndmask_b32_e64 v1, 0, v58, s[4:5]
	v_cmp_nlt_f32_e64 s[4:5], s40, v55
	v_cndmask_b32_e64 v55, v43, v60, s[6:7]
	v_cndmask_b32_e32 v56, v43, v57, vcc
	v_cvt_f16_f32_e32 v57, v55
	v_cvt_f16_f32_e32 v58, v56
	v_cndmask_b32_e64 v1, v43, v1, s[4:5]
	v_cvt_f16_f32_e32 v60, v1
	ds_write_b16 v40, v57
	ds_write_b16 v40, v58 offset:64
	s_waitcnt vmcnt(1)
	ds_write_b128 v41, v[2:5]
	s_waitcnt vmcnt(0)
	ds_write_b128 v42, v[20:23]
	s_waitcnt lgkmcnt(0)
	s_barrier
	ds_read_b128 v[2:5], v39
	ds_read2_b64 v[20:23], v28 offset1:32
	v_mul_u32_u24_e32 v57, 0x10001, v60
	v_pk_mul_f16 v54, v54, v57
	v_pk_mul_f16 v51, v51, v57
	s_waitcnt lgkmcnt(1)
	v_mul_u32_u24_sdwa v58, v2, s41 dst_sel:DWORD dst_unused:UNUSED_PAD src0_sel:WORD_0 src1_sel:DWORD
	s_waitcnt lgkmcnt(0)
	v_pk_mul_f16 v60, v20, v58
	v_pk_mul_f16 v61, v21, v58
	v_pk_fma_f16 v54, v22, v58, v54
	v_pk_fma_f16 v62, v23, v58, v51
	ds_read2_b64 v[20:23], v28 offset0:64 offset1:96
	v_pk_mul_f16 v50, v50, v57
	v_pk_mul_f16 v49, v49, v57
	;; [unrolled: 1-line block ×4, first 2 shown]
	s_waitcnt lgkmcnt(0)
	v_pk_fma_f16 v20, v20, v58, v50
	v_pk_fma_f16 v21, v21, v58, v49
	;; [unrolled: 1-line block ×3, first 2 shown]
	ds_read2_b64 v[48:51], v28 offset0:192 offset1:224
	v_pk_fma_f16 v47, v23, v58, v47
	v_mul_u32_u24_sdwa v2, v2, s41 dst_sel:DWORD dst_unused:UNUSED_PAD src0_sel:WORD_1 src1_sel:DWORD
	v_pk_fma_f16 v53, v53, v57, v60
	v_pk_fma_f16 v52, v52, v57, v61
	s_waitcnt lgkmcnt(0)
	v_pk_fma_f16 v20, v48, v2, v20
	v_pk_fma_f16 v21, v49, v2, v21
	;; [unrolled: 1-line block ×4, first 2 shown]
	ds_read2_b64 v[48:51], v28 offset0:128 offset1:160
	v_mul_u32_u24_sdwa v61, v5, s41 dst_sel:DWORD dst_unused:UNUSED_PAD src0_sel:WORD_1 src1_sel:DWORD
	v_lshl_add_u64 v[22:23], s[26:27], 2, v[18:19]
	s_waitcnt lgkmcnt(0)
	v_pk_fma_f16 v54, v50, v2, v54
	v_pk_fma_f16 v58, v51, v2, v62
	;; [unrolled: 1-line block ×4, first 2 shown]
	ds_read2_b64 v[48:51], v44 offset0:64 offset1:96
	v_mul_u32_u24_sdwa v52, v3, s41 dst_sel:DWORD dst_unused:UNUSED_PAD src0_sel:WORD_0 src1_sel:DWORD
	v_mul_u32_u24_sdwa v3, v3, s41 dst_sel:DWORD dst_unused:UNUSED_PAD src0_sel:WORD_1 src1_sel:DWORD
	s_waitcnt lgkmcnt(0)
	v_pk_fma_f16 v20, v48, v52, v20
	v_pk_fma_f16 v21, v49, v52, v21
	;; [unrolled: 1-line block ×4, first 2 shown]
	ds_read2_b64 v[48:51], v44 offset1:32
	s_waitcnt lgkmcnt(0)
	v_pk_fma_f16 v54, v50, v52, v54
	v_pk_fma_f16 v58, v51, v52, v58
	v_pk_fma_f16 v53, v48, v52, v53
	v_pk_fma_f16 v2, v49, v52, v2
	ds_read2_b64 v[48:51], v44 offset0:192 offset1:224
	s_waitcnt lgkmcnt(0)
	v_pk_fma_f16 v20, v48, v3, v20
	v_pk_fma_f16 v21, v49, v3, v21
	v_pk_fma_f16 v52, v50, v3, v57
	v_pk_fma_f16 v47, v51, v3, v47
	ds_read2_b64 v[48:51], v44 offset0:128 offset1:160
	;; [unrolled: 6-line block ×3, first 2 shown]
	v_mul_u32_u24_sdwa v3, v4, s41 dst_sel:DWORD dst_unused:UNUSED_PAD src0_sel:WORD_0 src1_sel:DWORD
	s_waitcnt lgkmcnt(0)
	v_pk_fma_f16 v20, v48, v3, v20
	v_pk_fma_f16 v21, v49, v3, v21
	v_pk_fma_f16 v52, v50, v3, v52
	v_pk_fma_f16 v47, v51, v3, v47
	ds_read2_b64 v[48:51], v45 offset1:32
	s_waitcnt lgkmcnt(0)
	v_pk_fma_f16 v54, v50, v3, v54
	v_pk_fma_f16 v57, v51, v3, v57
	;; [unrolled: 1-line block ×4, first 2 shown]
	ds_read2_b64 v[48:51], v45 offset0:192 offset1:224
	v_mul_u32_u24_sdwa v3, v4, s41 dst_sel:DWORD dst_unused:UNUSED_PAD src0_sel:WORD_1 src1_sel:DWORD
	s_waitcnt lgkmcnt(0)
	v_pk_fma_f16 v4, v48, v3, v20
	v_pk_fma_f16 v20, v49, v3, v21
	;; [unrolled: 1-line block ×4, first 2 shown]
	ds_read2_b64 v[48:51], v45 offset0:128 offset1:160
	s_waitcnt lgkmcnt(0)
	v_pk_fma_f16 v52, v50, v3, v54
	v_pk_fma_f16 v54, v51, v3, v57
	;; [unrolled: 1-line block ×4, first 2 shown]
	ds_read2_b64 v[48:51], v46 offset0:64 offset1:96
	v_mul_u32_u24_sdwa v3, v5, s41 dst_sel:DWORD dst_unused:UNUSED_PAD src0_sel:WORD_0 src1_sel:DWORD
	s_waitcnt lgkmcnt(0)
	v_pk_fma_f16 v4, v48, v3, v4
	v_pk_fma_f16 v57, v49, v3, v20
	;; [unrolled: 1-line block ×4, first 2 shown]
	ds_read2_b64 v[48:51], v46 offset1:32
	v_lshl_add_u64 v[20:21], s[24:25], 2, v[18:19]
	s_waitcnt lgkmcnt(0)
	v_pk_fma_f16 v52, v50, v3, v52
	v_pk_fma_f16 v54, v51, v3, v54
	;; [unrolled: 1-line block ×4, first 2 shown]
	ds_read2_b64 v[48:51], v46 offset0:192 offset1:224
	s_waitcnt lgkmcnt(0)
	v_pk_fma_f16 v62, v48, v61, v4
	ds_read2_b64 v[2:5], v46 offset0:128 offset1:160
	v_pk_fma_f16 v57, v49, v61, v57
	v_pk_fma_f16 v58, v50, v61, v58
	;; [unrolled: 1-line block ×3, first 2 shown]
	s_waitcnt lgkmcnt(0)
	s_barrier
	v_pk_fma_f16 v52, v4, v61, v52
	v_pk_fma_f16 v54, v5, v61, v54
	;; [unrolled: 1-line block ×4, first 2 shown]
	global_load_dwordx4 v[2:5], v[6:7], off
	global_load_dwordx4 v[48:51], v[6:7], off offset:512
	s_waitcnt vmcnt(1)
	ds_write_b128 v41, v[2:5]
	s_waitcnt vmcnt(0)
	ds_write_b128 v42, v[48:51]
	s_waitcnt lgkmcnt(0)
	s_barrier
	ds_read_b128 v[48:51], v39 offset:16
	ds_read2_b64 v[2:5], v28 offset1:32
	s_waitcnt lgkmcnt(1)
	v_mul_u32_u24_sdwa v6, v48, s41 dst_sel:DWORD dst_unused:UNUSED_PAD src0_sel:WORD_0 src1_sel:DWORD
	s_waitcnt lgkmcnt(0)
	v_pk_fma_f16 v7, v2, v6, v53
	v_pk_fma_f16 v53, v3, v6, v60
	v_pk_fma_f16 v52, v4, v6, v52
	v_pk_fma_f16 v54, v5, v6, v54
	ds_read2_b64 v[2:5], v28 offset0:64 offset1:96
	s_waitcnt lgkmcnt(0)
	v_pk_fma_f16 v60, v2, v6, v62
	v_pk_fma_f16 v57, v3, v6, v57
	;; [unrolled: 1-line block ×4, first 2 shown]
	ds_read2_b64 v[2:5], v28 offset0:128 offset1:160
	v_mul_u32_u24_sdwa v47, v48, s41 dst_sel:DWORD dst_unused:UNUSED_PAD src0_sel:WORD_1 src1_sel:DWORD
	s_waitcnt lgkmcnt(0)
	v_pk_fma_f16 v7, v2, v47, v7
	v_pk_fma_f16 v48, v3, v47, v53
	;; [unrolled: 1-line block ×4, first 2 shown]
	ds_read2_b64 v[2:5], v28 offset0:192 offset1:224
	s_waitcnt lgkmcnt(0)
	v_pk_fma_f16 v54, v2, v47, v60
	v_pk_fma_f16 v57, v3, v47, v57
	;; [unrolled: 1-line block ×4, first 2 shown]
	ds_read2_b64 v[2:5], v44 offset1:32
	v_mul_u32_u24_sdwa v47, v49, s41 dst_sel:DWORD dst_unused:UNUSED_PAD src0_sel:WORD_0 src1_sel:DWORD
	s_waitcnt lgkmcnt(0)
	v_pk_fma_f16 v7, v2, v47, v7
	v_pk_fma_f16 v48, v3, v47, v48
	;; [unrolled: 1-line block ×4, first 2 shown]
	ds_read2_b64 v[2:5], v44 offset0:64 offset1:96
	s_waitcnt lgkmcnt(0)
	v_pk_fma_f16 v54, v2, v47, v54
	v_pk_fma_f16 v57, v3, v47, v57
	;; [unrolled: 1-line block ×4, first 2 shown]
	ds_read2_b64 v[2:5], v44 offset0:128 offset1:160
	v_mul_u32_u24_sdwa v47, v49, s41 dst_sel:DWORD dst_unused:UNUSED_PAD src0_sel:WORD_1 src1_sel:DWORD
	s_waitcnt lgkmcnt(0)
	v_pk_fma_f16 v7, v2, v47, v7
	v_pk_fma_f16 v48, v3, v47, v48
	;; [unrolled: 1-line block ×4, first 2 shown]
	ds_read2_b64 v[2:5], v44 offset0:192 offset1:224
	s_waitcnt lgkmcnt(0)
	v_pk_fma_f16 v53, v2, v47, v54
	v_pk_fma_f16 v54, v3, v47, v57
	;; [unrolled: 1-line block ×4, first 2 shown]
	ds_read2_b64 v[2:5], v45 offset1:32
	v_mul_u32_u24_sdwa v47, v50, s41 dst_sel:DWORD dst_unused:UNUSED_PAD src0_sel:WORD_0 src1_sel:DWORD
	v_add_f32_e32 v58, v55, v56
	v_fmac_f32_e32 v58, v59, v1
	v_mul_u32_u24_sdwa v1, v50, s41 dst_sel:DWORD dst_unused:UNUSED_PAD src0_sel:WORD_1 src1_sel:DWORD
	s_waitcnt lgkmcnt(0)
	v_pk_fma_f16 v61, v3, v47, v48
	v_pk_fma_f16 v62, v4, v47, v49
	v_mul_u32_u24_sdwa v55, v51, s41 dst_sel:DWORD dst_unused:UNUSED_PAD src0_sel:WORD_0 src1_sel:DWORD
	v_mul_u32_u24_sdwa v56, v51, s41 dst_sel:DWORD dst_unused:UNUSED_PAD src0_sel:WORD_1 src1_sel:DWORD
	ds_read2_b64 v[48:51], v45 offset0:128 offset1:160
	v_pk_fma_f16 v60, v2, v47, v7
	v_pk_fma_f16 v52, v5, v47, v52
	ds_read2_b64 v[2:5], v45 offset0:64 offset1:96
	s_waitcnt lgkmcnt(1)
	v_pk_fma_f16 v59, v48, v1, v60
	v_pk_fma_f16 v60, v49, v1, v61
	;; [unrolled: 1-line block ×4, first 2 shown]
	ds_read2_b64 v[48:51], v45 offset0:192 offset1:224
	s_waitcnt lgkmcnt(1)
	v_pk_fma_f16 v53, v2, v47, v53
	v_pk_fma_f16 v54, v3, v47, v54
	;; [unrolled: 1-line block ×4, first 2 shown]
	s_waitcnt lgkmcnt(0)
	v_pk_fma_f16 v53, v48, v1, v53
	v_pk_fma_f16 v54, v49, v1, v54
	;; [unrolled: 1-line block ×4, first 2 shown]
	ds_read2_b64 v[48:51], v46 offset1:32
	v_lshl_add_u64 v[6:7], s[10:11], 2, v[18:19]
	v_lshl_add_u64 v[4:5], s[20:21], 2, v[18:19]
	;; [unrolled: 1-line block ×3, first 2 shown]
	s_waitcnt lgkmcnt(0)
	v_pk_fma_f16 v47, v48, v55, v59
	v_pk_fma_f16 v59, v49, v55, v60
	v_pk_fma_f16 v60, v50, v55, v61
	v_pk_fma_f16 v52, v51, v55, v52
	ds_read2_b64 v[48:51], v46 offset0:64 offset1:96
	s_waitcnt lgkmcnt(0)
	v_pk_fma_f16 v53, v48, v55, v53
	v_pk_fma_f16 v54, v49, v55, v54
	v_pk_fma_f16 v57, v50, v55, v57
	v_pk_fma_f16 v1, v51, v55, v1
	ds_read2_b64 v[48:51], v46 offset0:128 offset1:160
	;; [unrolled: 6-line block ×3, first 2 shown]
	s_waitcnt lgkmcnt(0)
	s_barrier
	v_pk_fma_f16 v62, v48, v56, v53
	v_pk_fma_f16 v63, v49, v56, v54
	;; [unrolled: 1-line block ×4, first 2 shown]
	global_load_dwordx4 v[48:51], v[24:25], off
	global_load_dwordx4 v[52:55], v[24:25], off offset:512
	s_waitcnt vmcnt(1)
	ds_write_b128 v41, v[48:51]
	s_waitcnt vmcnt(0)
	ds_write_b128 v42, v[52:55]
	s_waitcnt lgkmcnt(0)
	s_barrier
	ds_read_b128 v[48:51], v39 offset:32
	ds_read2_b64 v[52:55], v28 offset1:32
	s_waitcnt lgkmcnt(1)
	v_mul_u32_u24_sdwa v24, v48, s41 dst_sel:DWORD dst_unused:UNUSED_PAD src0_sel:WORD_0 src1_sel:DWORD
	s_waitcnt lgkmcnt(0)
	v_pk_fma_f16 v25, v52, v24, v47
	v_pk_fma_f16 v47, v53, v24, v59
	v_pk_fma_f16 v56, v54, v24, v60
	v_pk_fma_f16 v59, v55, v24, v61
	ds_read2_b64 v[52:55], v28 offset0:64 offset1:96
	s_waitcnt lgkmcnt(0)
	v_pk_fma_f16 v60, v52, v24, v62
	v_pk_fma_f16 v61, v53, v24, v63
	v_pk_fma_f16 v57, v54, v24, v57
	v_pk_fma_f16 v1, v55, v24, v1
	ds_read2_b64 v[52:55], v28 offset0:128 offset1:160
	v_mul_u32_u24_sdwa v24, v48, s41 dst_sel:DWORD dst_unused:UNUSED_PAD src0_sel:WORD_1 src1_sel:DWORD
	s_waitcnt lgkmcnt(0)
	v_pk_fma_f16 v25, v52, v24, v25
	v_pk_fma_f16 v47, v53, v24, v47
	v_pk_fma_f16 v48, v54, v24, v56
	v_pk_fma_f16 v56, v55, v24, v59
	ds_read2_b64 v[52:55], v28 offset0:192 offset1:224
	s_waitcnt lgkmcnt(0)
	v_pk_fma_f16 v59, v52, v24, v60
	v_pk_fma_f16 v60, v53, v24, v61
	v_pk_fma_f16 v57, v54, v24, v57
	v_pk_fma_f16 v1, v55, v24, v1
	ds_read2_b64 v[52:55], v44 offset1:32
	v_mul_u32_u24_sdwa v24, v49, s41 dst_sel:DWORD dst_unused:UNUSED_PAD src0_sel:WORD_0 src1_sel:DWORD
	s_waitcnt lgkmcnt(0)
	v_pk_fma_f16 v25, v52, v24, v25
	v_pk_fma_f16 v47, v53, v24, v47
	v_pk_fma_f16 v48, v54, v24, v48
	v_pk_fma_f16 v56, v55, v24, v56
	ds_read2_b64 v[52:55], v44 offset0:64 offset1:96
	s_waitcnt lgkmcnt(0)
	v_pk_fma_f16 v59, v52, v24, v59
	v_pk_fma_f16 v60, v53, v24, v60
	v_pk_fma_f16 v57, v54, v24, v57
	v_pk_fma_f16 v1, v55, v24, v1
	ds_read2_b64 v[52:55], v44 offset0:128 offset1:160
	v_mul_u32_u24_sdwa v24, v49, s41 dst_sel:DWORD dst_unused:UNUSED_PAD src0_sel:WORD_1 src1_sel:DWORD
	s_waitcnt lgkmcnt(0)
	v_pk_fma_f16 v25, v52, v24, v25
	v_pk_fma_f16 v47, v53, v24, v47
	v_pk_fma_f16 v48, v54, v24, v48
	v_pk_fma_f16 v49, v55, v24, v56
	ds_read2_b64 v[52:55], v44 offset0:192 offset1:224
	s_waitcnt lgkmcnt(0)
	v_pk_fma_f16 v56, v52, v24, v59
	v_pk_fma_f16 v59, v53, v24, v60
	v_pk_fma_f16 v57, v54, v24, v57
	v_pk_fma_f16 v1, v55, v24, v1
	ds_read2_b64 v[52:55], v45 offset1:32
	;; [unrolled: 26-line block ×3, first 2 shown]
	v_mul_u32_u24_sdwa v24, v51, s41 dst_sel:DWORD dst_unused:UNUSED_PAD src0_sel:WORD_0 src1_sel:DWORD
	s_waitcnt lgkmcnt(0)
	v_pk_fma_f16 v25, v52, v24, v25
	v_pk_fma_f16 v47, v53, v24, v47
	;; [unrolled: 1-line block ×4, first 2 shown]
	ds_read2_b64 v[52:55], v46 offset0:64 offset1:96
	s_waitcnt lgkmcnt(0)
	v_pk_fma_f16 v61, v52, v24, v50
	v_pk_fma_f16 v56, v53, v24, v56
	;; [unrolled: 1-line block ×4, first 2 shown]
	ds_read2_b64 v[52:55], v46 offset0:128 offset1:160
	v_mul_u32_u24_sdwa v24, v51, s41 dst_sel:DWORD dst_unused:UNUSED_PAD src0_sel:WORD_1 src1_sel:DWORD
	ds_read2_b64 v[48:51], v46 offset0:192 offset1:224
	s_waitcnt lgkmcnt(0)
	s_barrier
	v_pk_fma_f16 v62, v52, v24, v25
	v_pk_fma_f16 v47, v53, v24, v47
	;; [unrolled: 1-line block ×4, first 2 shown]
	global_load_dwordx4 v[52:55], v[22:23], off
	v_pk_fma_f16 v61, v48, v24, v61
	v_pk_fma_f16 v56, v49, v24, v56
	;; [unrolled: 1-line block ×4, first 2 shown]
	global_load_dwordx4 v[22:25], v[22:23], off offset:512
	s_waitcnt vmcnt(1)
	ds_write_b128 v41, v[52:55]
	s_waitcnt vmcnt(0)
	ds_write_b128 v42, v[22:25]
	s_waitcnt lgkmcnt(0)
	s_barrier
	ds_read_b128 v[22:25], v39 offset:48
	ds_read2_b64 v[48:51], v28 offset1:32
	s_waitcnt lgkmcnt(1)
	v_mul_u32_u24_sdwa v52, v22, s41 dst_sel:DWORD dst_unused:UNUSED_PAD src0_sel:WORD_0 src1_sel:DWORD
	s_waitcnt lgkmcnt(0)
	v_pk_fma_f16 v53, v48, v52, v62
	v_pk_fma_f16 v47, v49, v52, v47
	;; [unrolled: 1-line block ×4, first 2 shown]
	ds_read2_b64 v[48:51], v28 offset0:64 offset1:96
	v_mul_u32_u24_sdwa v22, v22, s41 dst_sel:DWORD dst_unused:UNUSED_PAD src0_sel:WORD_1 src1_sel:DWORD
	v_mul_u32_u24_sdwa v60, v25, s41 dst_sel:DWORD dst_unused:UNUSED_PAD src0_sel:WORD_0 src1_sel:DWORD
	s_waitcnt lgkmcnt(0)
	v_pk_fma_f16 v59, v48, v52, v61
	v_pk_fma_f16 v56, v49, v52, v56
	;; [unrolled: 1-line block ×4, first 2 shown]
	ds_read2_b64 v[48:51], v28 offset0:128 offset1:160
	v_mul_u32_u24_sdwa v61, v25, s41 dst_sel:DWORD dst_unused:UNUSED_PAD src0_sel:WORD_1 src1_sel:DWORD
	s_waitcnt lgkmcnt(0)
	v_pk_fma_f16 v52, v48, v22, v53
	v_pk_fma_f16 v47, v49, v22, v47
	;; [unrolled: 1-line block ×4, first 2 shown]
	ds_read2_b64 v[48:51], v28 offset0:192 offset1:224
	s_waitcnt lgkmcnt(0)
	v_pk_fma_f16 v55, v48, v22, v59
	v_pk_fma_f16 v56, v49, v22, v56
	;; [unrolled: 1-line block ×4, first 2 shown]
	ds_read2_b64 v[48:51], v44 offset1:32
	v_mul_u32_u24_sdwa v22, v23, s41 dst_sel:DWORD dst_unused:UNUSED_PAD src0_sel:WORD_0 src1_sel:DWORD
	v_mul_u32_u24_sdwa v59, v24, s41 dst_sel:DWORD dst_unused:UNUSED_PAD src0_sel:WORD_1 src1_sel:DWORD
	s_waitcnt lgkmcnt(0)
	v_pk_fma_f16 v52, v48, v22, v52
	v_pk_fma_f16 v47, v49, v22, v47
	;; [unrolled: 1-line block ×4, first 2 shown]
	ds_read2_b64 v[48:51], v44 offset0:64 offset1:96
	s_waitcnt lgkmcnt(0)
	v_pk_fma_f16 v55, v48, v22, v55
	v_pk_fma_f16 v56, v49, v22, v56
	;; [unrolled: 1-line block ×4, first 2 shown]
	ds_read2_b64 v[48:51], v44 offset0:128 offset1:160
	v_mul_u32_u24_sdwa v22, v23, s41 dst_sel:DWORD dst_unused:UNUSED_PAD src0_sel:WORD_1 src1_sel:DWORD
	s_waitcnt lgkmcnt(0)
	v_pk_fma_f16 v23, v48, v22, v52
	v_pk_fma_f16 v47, v49, v22, v47
	;; [unrolled: 1-line block ×4, first 2 shown]
	ds_read2_b64 v[48:51], v44 offset0:192 offset1:224
	s_waitcnt lgkmcnt(0)
	v_pk_fma_f16 v54, v48, v22, v55
	v_pk_fma_f16 v55, v49, v22, v56
	;; [unrolled: 1-line block ×4, first 2 shown]
	ds_read2_b64 v[48:51], v45 offset1:32
	v_mul_u32_u24_sdwa v22, v24, s41 dst_sel:DWORD dst_unused:UNUSED_PAD src0_sel:WORD_0 src1_sel:DWORD
	s_waitcnt lgkmcnt(0)
	v_pk_fma_f16 v57, v48, v22, v23
	v_pk_fma_f16 v47, v49, v22, v47
	;; [unrolled: 1-line block ×4, first 2 shown]
	ds_read2_b64 v[48:51], v45 offset0:64 offset1:96
	s_waitcnt lgkmcnt(0)
	v_pk_fma_f16 v54, v48, v22, v54
	v_pk_fma_f16 v55, v49, v22, v55
	;; [unrolled: 1-line block ×4, first 2 shown]
	ds_read2_b64 v[48:51], v45 offset0:128 offset1:160
	ds_read2_b64 v[22:25], v45 offset0:192 offset1:224
	s_waitcnt lgkmcnt(1)
	v_pk_fma_f16 v57, v48, v59, v57
	v_pk_fma_f16 v47, v49, v59, v47
	;; [unrolled: 1-line block ×4, first 2 shown]
	ds_read2_b64 v[48:51], v46 offset1:32
	s_waitcnt lgkmcnt(1)
	v_pk_fma_f16 v54, v22, v59, v54
	v_pk_fma_f16 v55, v23, v59, v55
	v_pk_fma_f16 v56, v24, v59, v56
	v_pk_fma_f16 v1, v25, v59, v1
	ds_read2_b64 v[22:25], v46 offset0:64 offset1:96
	s_waitcnt lgkmcnt(1)
	v_pk_fma_f16 v57, v48, v60, v57
	v_pk_fma_f16 v47, v49, v60, v47
	v_pk_fma_f16 v52, v50, v60, v52
	v_pk_fma_f16 v53, v51, v60, v53
	ds_read2_b64 v[48:51], v46 offset0:128 offset1:160
	;; [unrolled: 6-line block ×3, first 2 shown]
	s_waitcnt lgkmcnt(0)
	s_barrier
	v_pk_fma_f16 v57, v48, v61, v57
	v_pk_fma_f16 v47, v49, v61, v47
	;; [unrolled: 1-line block ×4, first 2 shown]
	global_load_dwordx4 v[48:51], v[20:21], off
	global_load_dwordx4 v[52:55], v[20:21], off offset:512
	v_pk_fma_f16 v59, v22, v61, v59
	v_pk_fma_f16 v62, v23, v61, v62
	s_waitcnt vmcnt(1)
	ds_write_b128 v41, v[48:51]
	s_waitcnt vmcnt(0)
	ds_write_b128 v42, v[52:55]
	s_waitcnt lgkmcnt(0)
	s_barrier
	ds_read_b128 v[20:23], v39 offset:64
	ds_read2_b64 v[48:51], v28 offset1:32
	ds_read2_b64 v[52:55], v28 offset0:64 offset1:96
	v_pk_fma_f16 v1, v25, v61, v1
	v_pk_fma_f16 v24, v24, v61, v56
	s_waitcnt lgkmcnt(2)
	v_mul_u32_u24_sdwa v25, v20, s41 dst_sel:DWORD dst_unused:UNUSED_PAD src0_sel:WORD_0 src1_sel:DWORD
	s_waitcnt lgkmcnt(1)
	v_pk_fma_f16 v56, v48, v25, v57
	v_pk_fma_f16 v47, v49, v25, v47
	v_pk_fma_f16 v57, v50, v25, v60
	v_pk_fma_f16 v60, v51, v25, v63
	ds_read2_b64 v[48:51], v28 offset0:128 offset1:160
	s_waitcnt lgkmcnt(1)
	v_pk_fma_f16 v59, v52, v25, v59
	v_pk_fma_f16 v61, v53, v25, v62
	v_pk_fma_f16 v24, v54, v25, v24
	v_pk_fma_f16 v1, v55, v25, v1
	ds_read2_b64 v[52:55], v28 offset0:192 offset1:224
	v_mul_u32_u24_sdwa v20, v20, s41 dst_sel:DWORD dst_unused:UNUSED_PAD src0_sel:WORD_1 src1_sel:DWORD
	s_waitcnt lgkmcnt(1)
	v_pk_fma_f16 v25, v48, v20, v56
	v_pk_fma_f16 v47, v49, v20, v47
	v_pk_fma_f16 v56, v50, v20, v57
	v_pk_fma_f16 v57, v51, v20, v60
	ds_read2_b64 v[48:51], v44 offset1:32
	s_waitcnt lgkmcnt(1)
	v_pk_fma_f16 v59, v52, v20, v59
	v_pk_fma_f16 v60, v53, v20, v61
	v_pk_fma_f16 v24, v54, v20, v24
	v_pk_fma_f16 v1, v55, v20, v1
	ds_read2_b64 v[52:55], v44 offset0:64 offset1:96
	v_mul_u32_u24_sdwa v20, v21, s41 dst_sel:DWORD dst_unused:UNUSED_PAD src0_sel:WORD_0 src1_sel:DWORD
	s_waitcnt lgkmcnt(1)
	v_pk_fma_f16 v25, v48, v20, v25
	v_pk_fma_f16 v47, v49, v20, v47
	v_pk_fma_f16 v56, v50, v20, v56
	v_pk_fma_f16 v57, v51, v20, v57
	ds_read2_b64 v[48:51], v44 offset0:128 offset1:160
	s_waitcnt lgkmcnt(1)
	v_pk_fma_f16 v59, v52, v20, v59
	v_pk_fma_f16 v60, v53, v20, v60
	v_pk_fma_f16 v24, v54, v20, v24
	v_pk_fma_f16 v1, v55, v20, v1
	ds_read2_b64 v[52:55], v44 offset0:192 offset1:224
	v_mul_u32_u24_sdwa v20, v21, s41 dst_sel:DWORD dst_unused:UNUSED_PAD src0_sel:WORD_1 src1_sel:DWORD
	s_waitcnt lgkmcnt(1)
	v_pk_fma_f16 v21, v48, v20, v25
	v_pk_fma_f16 v25, v49, v20, v47
	v_pk_fma_f16 v47, v50, v20, v56
	v_pk_fma_f16 v56, v51, v20, v57
	ds_read2_b64 v[48:51], v45 offset1:32
	s_waitcnt lgkmcnt(1)
	v_pk_fma_f16 v57, v52, v20, v59
	v_pk_fma_f16 v59, v53, v20, v60
	v_pk_fma_f16 v24, v54, v20, v24
	v_pk_fma_f16 v1, v55, v20, v1
	ds_read2_b64 v[52:55], v45 offset0:64 offset1:96
	;; [unrolled: 26-line block ×3, first 2 shown]
	v_mul_u32_u24_sdwa v20, v23, s41 dst_sel:DWORD dst_unused:UNUSED_PAD src0_sel:WORD_0 src1_sel:DWORD
	s_waitcnt lgkmcnt(1)
	v_pk_fma_f16 v59, v48, v20, v21
	v_pk_fma_f16 v60, v49, v20, v22
	;; [unrolled: 1-line block ×4, first 2 shown]
	ds_read2_b64 v[48:51], v46 offset0:128 offset1:160
	s_waitcnt lgkmcnt(1)
	v_pk_fma_f16 v56, v52, v20, v56
	v_pk_fma_f16 v57, v53, v20, v57
	;; [unrolled: 1-line block ×4, first 2 shown]
	ds_read2_b64 v[52:55], v46 offset0:192 offset1:224
	s_waitcnt lgkmcnt(0)
	s_barrier
	v_mul_u32_u24_sdwa v61, v23, s41 dst_sel:DWORD dst_unused:UNUSED_PAD src0_sel:WORD_1 src1_sel:DWORD
	global_load_dwordx4 v[20:23], v[6:7], off
	v_pk_fma_f16 v59, v48, v61, v59
	v_pk_fma_f16 v60, v49, v61, v60
	;; [unrolled: 1-line block ×4, first 2 shown]
	global_load_dwordx4 v[48:51], v[6:7], off offset:512
	v_pk_fma_f16 v6, v52, v61, v56
	v_pk_fma_f16 v7, v53, v61, v57
	;; [unrolled: 1-line block ×4, first 2 shown]
	s_waitcnt vmcnt(1)
	ds_write_b128 v41, v[20:23]
	s_waitcnt vmcnt(0)
	ds_write_b128 v42, v[48:51]
	s_waitcnt lgkmcnt(0)
	s_barrier
	ds_read_b128 v[20:23], v39 offset:80
	ds_read2_b64 v[48:51], v28 offset1:32
	ds_read2_b64 v[52:55], v28 offset0:64 offset1:96
	s_waitcnt lgkmcnt(2)
	v_mul_u32_u24_sdwa v56, v20, s41 dst_sel:DWORD dst_unused:UNUSED_PAD src0_sel:WORD_0 src1_sel:DWORD
	s_waitcnt lgkmcnt(1)
	v_pk_fma_f16 v57, v48, v56, v59
	v_pk_fma_f16 v59, v49, v56, v60
	;; [unrolled: 1-line block ×4, first 2 shown]
	ds_read2_b64 v[48:51], v28 offset0:128 offset1:160
	s_waitcnt lgkmcnt(1)
	v_pk_fma_f16 v6, v52, v56, v6
	v_pk_fma_f16 v7, v53, v56, v7
	v_pk_fma_f16 v24, v54, v56, v24
	v_pk_fma_f16 v1, v55, v56, v1
	ds_read2_b64 v[52:55], v28 offset0:192 offset1:224
	v_mul_u32_u24_sdwa v20, v20, s41 dst_sel:DWORD dst_unused:UNUSED_PAD src0_sel:WORD_1 src1_sel:DWORD
	s_waitcnt lgkmcnt(1)
	v_pk_fma_f16 v56, v48, v20, v57
	v_pk_fma_f16 v57, v49, v20, v59
	;; [unrolled: 1-line block ×4, first 2 shown]
	ds_read2_b64 v[48:51], v44 offset1:32
	s_waitcnt lgkmcnt(1)
	v_pk_fma_f16 v6, v52, v20, v6
	v_pk_fma_f16 v7, v53, v20, v7
	;; [unrolled: 1-line block ×4, first 2 shown]
	ds_read2_b64 v[52:55], v44 offset0:64 offset1:96
	v_mul_u32_u24_sdwa v20, v21, s41 dst_sel:DWORD dst_unused:UNUSED_PAD src0_sel:WORD_0 src1_sel:DWORD
	s_waitcnt lgkmcnt(1)
	v_pk_fma_f16 v56, v48, v20, v56
	v_pk_fma_f16 v57, v49, v20, v57
	;; [unrolled: 1-line block ×4, first 2 shown]
	ds_read2_b64 v[48:51], v44 offset0:128 offset1:160
	s_waitcnt lgkmcnt(1)
	v_pk_fma_f16 v6, v52, v20, v6
	v_pk_fma_f16 v7, v53, v20, v7
	;; [unrolled: 1-line block ×4, first 2 shown]
	ds_read2_b64 v[52:55], v44 offset0:192 offset1:224
	v_mul_u32_u24_sdwa v20, v21, s41 dst_sel:DWORD dst_unused:UNUSED_PAD src0_sel:WORD_1 src1_sel:DWORD
	s_waitcnt lgkmcnt(1)
	v_pk_fma_f16 v21, v48, v20, v56
	v_pk_fma_f16 v56, v49, v20, v57
	;; [unrolled: 1-line block ×4, first 2 shown]
	ds_read2_b64 v[48:51], v45 offset1:32
	s_waitcnt lgkmcnt(1)
	v_pk_fma_f16 v6, v52, v20, v6
	v_pk_fma_f16 v7, v53, v20, v7
	;; [unrolled: 1-line block ×4, first 2 shown]
	ds_read2_b64 v[52:55], v45 offset0:64 offset1:96
	v_mul_u32_u24_sdwa v20, v22, s41 dst_sel:DWORD dst_unused:UNUSED_PAD src0_sel:WORD_0 src1_sel:DWORD
	s_waitcnt lgkmcnt(1)
	v_pk_fma_f16 v57, v48, v20, v21
	v_pk_fma_f16 v56, v49, v20, v56
	;; [unrolled: 1-line block ×4, first 2 shown]
	ds_read2_b64 v[48:51], v45 offset0:128 offset1:160
	s_waitcnt lgkmcnt(1)
	v_pk_fma_f16 v6, v52, v20, v6
	v_pk_fma_f16 v7, v53, v20, v7
	;; [unrolled: 1-line block ×4, first 2 shown]
	ds_read2_b64 v[52:55], v45 offset0:192 offset1:224
	v_mul_u32_u24_sdwa v59, v22, s41 dst_sel:DWORD dst_unused:UNUSED_PAD src0_sel:WORD_1 src1_sel:DWORD
	v_mul_u32_u24_sdwa v60, v23, s41 dst_sel:DWORD dst_unused:UNUSED_PAD src0_sel:WORD_0 src1_sel:DWORD
	v_mul_u32_u24_sdwa v64, v23, s41 dst_sel:DWORD dst_unused:UNUSED_PAD src0_sel:WORD_1 src1_sel:DWORD
	ds_read2_b64 v[20:23], v46 offset1:32
	s_waitcnt lgkmcnt(2)
	v_pk_fma_f16 v57, v48, v59, v57
	v_pk_fma_f16 v56, v49, v59, v56
	v_pk_fma_f16 v25, v50, v59, v25
	v_pk_fma_f16 v47, v51, v59, v47
	ds_read2_b64 v[48:51], v46 offset0:64 offset1:96
	s_waitcnt lgkmcnt(2)
	v_pk_fma_f16 v6, v52, v59, v6
	v_pk_fma_f16 v7, v53, v59, v7
	v_pk_fma_f16 v24, v54, v59, v24
	v_pk_fma_f16 v1, v55, v59, v1
	ds_read2_b64 v[52:55], v46 offset0:128 offset1:160
	;; [unrolled: 6-line block ×3, first 2 shown]
	s_waitcnt lgkmcnt(0)
	s_barrier
	v_pk_fma_f16 v6, v48, v60, v6
	v_pk_fma_f16 v7, v49, v60, v7
	;; [unrolled: 1-line block ×4, first 2 shown]
	global_load_dwordx4 v[48:51], v[4:5], off
	global_load_dwordx4 v[60:63], v[4:5], off offset:512
	v_pk_fma_f16 v57, v52, v64, v57
	v_pk_fma_f16 v56, v53, v64, v56
	;; [unrolled: 1-line block ×8, first 2 shown]
	s_waitcnt vmcnt(1)
	ds_write_b128 v41, v[48:51]
	s_waitcnt vmcnt(0)
	ds_write_b128 v42, v[60:63]
	s_waitcnt lgkmcnt(0)
	s_barrier
	ds_read_b128 v[4:7], v39 offset:96
	ds_read2_b64 v[20:23], v28 offset1:32
	ds_read2_b64 v[48:51], v28 offset0:64 offset1:96
	ds_read2_b64 v[52:55], v28 offset0:128 offset1:160
	s_waitcnt lgkmcnt(3)
	v_mul_u32_u24_sdwa v60, v4, s41 dst_sel:DWORD dst_unused:UNUSED_PAD src0_sel:WORD_0 src1_sel:DWORD
	s_waitcnt lgkmcnt(2)
	v_pk_fma_f16 v57, v20, v60, v57
	v_pk_fma_f16 v56, v21, v60, v56
	;; [unrolled: 1-line block ×4, first 2 shown]
	ds_read2_b64 v[20:23], v28 offset0:192 offset1:224
	s_waitcnt lgkmcnt(2)
	v_pk_fma_f16 v59, v48, v60, v59
	v_pk_fma_f16 v61, v49, v60, v65
	;; [unrolled: 1-line block ×4, first 2 shown]
	ds_read2_b64 v[48:51], v44 offset1:32
	v_mul_u32_u24_sdwa v4, v4, s41 dst_sel:DWORD dst_unused:UNUSED_PAD src0_sel:WORD_1 src1_sel:DWORD
	s_waitcnt lgkmcnt(2)
	v_pk_fma_f16 v57, v52, v4, v57
	v_pk_fma_f16 v56, v53, v4, v56
	;; [unrolled: 1-line block ×4, first 2 shown]
	ds_read2_b64 v[52:55], v44 offset0:64 offset1:96
	s_waitcnt lgkmcnt(2)
	v_pk_fma_f16 v59, v20, v4, v59
	v_pk_fma_f16 v60, v21, v4, v61
	;; [unrolled: 1-line block ×4, first 2 shown]
	ds_read2_b64 v[20:23], v44 offset0:128 offset1:160
	v_mul_u32_u24_sdwa v4, v5, s41 dst_sel:DWORD dst_unused:UNUSED_PAD src0_sel:WORD_0 src1_sel:DWORD
	s_waitcnt lgkmcnt(2)
	v_pk_fma_f16 v57, v48, v4, v57
	v_pk_fma_f16 v56, v49, v4, v56
	;; [unrolled: 1-line block ×4, first 2 shown]
	ds_read2_b64 v[48:51], v44 offset0:192 offset1:224
	s_waitcnt lgkmcnt(2)
	v_pk_fma_f16 v59, v52, v4, v59
	v_pk_fma_f16 v60, v53, v4, v60
	;; [unrolled: 1-line block ×4, first 2 shown]
	v_mul_u32_u24_sdwa v4, v5, s41 dst_sel:DWORD dst_unused:UNUSED_PAD src0_sel:WORD_1 src1_sel:DWORD
	ds_read2_b64 v[52:55], v45 offset1:32
	s_waitcnt lgkmcnt(2)
	v_pk_fma_f16 v5, v20, v4, v57
	v_pk_fma_f16 v56, v21, v4, v56
	;; [unrolled: 1-line block ×4, first 2 shown]
	ds_read2_b64 v[20:23], v45 offset0:64 offset1:96
	s_waitcnt lgkmcnt(2)
	v_pk_fma_f16 v57, v48, v4, v59
	v_pk_fma_f16 v59, v49, v4, v60
	;; [unrolled: 1-line block ×4, first 2 shown]
	ds_read2_b64 v[48:51], v45 offset0:128 offset1:160
	v_mul_u32_u24_sdwa v4, v6, s41 dst_sel:DWORD dst_unused:UNUSED_PAD src0_sel:WORD_0 src1_sel:DWORD
	s_waitcnt lgkmcnt(2)
	v_pk_fma_f16 v5, v52, v4, v5
	v_pk_fma_f16 v56, v53, v4, v56
	;; [unrolled: 1-line block ×4, first 2 shown]
	ds_read2_b64 v[52:55], v45 offset0:192 offset1:224
	s_waitcnt lgkmcnt(2)
	v_pk_fma_f16 v57, v20, v4, v57
	v_pk_fma_f16 v59, v21, v4, v59
	;; [unrolled: 1-line block ×4, first 2 shown]
	v_mul_u32_u24_sdwa v4, v6, s41 dst_sel:DWORD dst_unused:UNUSED_PAD src0_sel:WORD_1 src1_sel:DWORD
	ds_read2_b64 v[20:23], v46 offset1:32
	s_waitcnt lgkmcnt(2)
	v_pk_fma_f16 v5, v48, v4, v5
	v_pk_fma_f16 v6, v49, v4, v56
	;; [unrolled: 1-line block ×4, first 2 shown]
	ds_read2_b64 v[48:51], v46 offset0:64 offset1:96
	s_waitcnt lgkmcnt(2)
	v_pk_fma_f16 v56, v52, v4, v57
	v_pk_fma_f16 v57, v53, v4, v59
	;; [unrolled: 1-line block ×4, first 2 shown]
	v_mul_u32_u24_sdwa v4, v7, s41 dst_sel:DWORD dst_unused:UNUSED_PAD src0_sel:WORD_0 src1_sel:DWORD
	ds_read2_b64 v[52:55], v46 offset0:128 offset1:160
	s_waitcnt lgkmcnt(2)
	v_pk_fma_f16 v59, v20, v4, v5
	v_pk_fma_f16 v6, v21, v4, v6
	;; [unrolled: 1-line block ×4, first 2 shown]
	ds_read2_b64 v[20:23], v46 offset0:192 offset1:224
	s_waitcnt lgkmcnt(0)
	s_barrier
	v_pk_fma_f16 v56, v48, v4, v56
	v_pk_fma_f16 v57, v49, v4, v57
	;; [unrolled: 1-line block ×4, first 2 shown]
	global_load_dwordx4 v[48:51], v[2:3], off
	v_mul_u32_u24_sdwa v7, v7, s41 dst_sel:DWORD dst_unused:UNUSED_PAD src0_sel:WORD_1 src1_sel:DWORD
	global_load_dwordx4 v[2:5], v[2:3], off offset:512
	v_pk_fma_f16 v59, v52, v7, v59
	v_pk_fma_f16 v6, v53, v7, v6
	v_pk_fma_f16 v25, v54, v7, v25
	v_pk_fma_f16 v47, v55, v7, v47
	v_pk_fma_f16 v56, v20, v7, v56
	v_pk_fma_f16 v57, v21, v7, v57
	v_pk_fma_f16 v24, v22, v7, v24
	v_pk_fma_f16 v1, v23, v7, v1
	s_waitcnt vmcnt(1)
	ds_write_b128 v41, v[48:51]
	s_waitcnt vmcnt(0)
	ds_write_b128 v42, v[2:5]
	s_waitcnt lgkmcnt(0)
	s_barrier
	ds_read_b128 v[2:5], v39 offset:112
	ds_read2_b64 v[20:23], v28 offset1:32
	ds_read2_b64 v[48:51], v28 offset0:64 offset1:96
	ds_read2_b64 v[52:55], v28 offset0:128 offset1:160
	;; [unrolled: 1-line block ×3, first 2 shown]
	s_waitcnt lgkmcnt(4)
	v_mul_u32_u24_sdwa v7, v2, s41 dst_sel:DWORD dst_unused:UNUSED_PAD src0_sel:WORD_0 src1_sel:DWORD
	s_waitcnt lgkmcnt(3)
	v_pk_fma_f16 v59, v20, v7, v59
	v_pk_fma_f16 v6, v21, v7, v6
	;; [unrolled: 1-line block ×4, first 2 shown]
	ds_read2_b64 v[20:23], v28 offset0:192 offset1:224
	s_waitcnt lgkmcnt(3)
	v_pk_fma_f16 v56, v48, v7, v56
	v_pk_fma_f16 v57, v49, v7, v57
	v_pk_fma_f16 v24, v50, v7, v24
	v_pk_fma_f16 v1, v51, v7, v1
	ds_read2_b64 v[48:51], v44 offset1:32
	v_mul_u32_u24_sdwa v2, v2, s41 dst_sel:DWORD dst_unused:UNUSED_PAD src0_sel:WORD_1 src1_sel:DWORD
	s_waitcnt lgkmcnt(3)
	v_pk_fma_f16 v7, v52, v2, v59
	v_pk_fma_f16 v6, v53, v2, v6
	v_pk_fma_f16 v25, v54, v2, v25
	v_pk_fma_f16 v47, v55, v2, v47
	ds_read2_b64 v[52:55], v44 offset0:64 offset1:96
	s_waitcnt lgkmcnt(2)
	v_pk_fma_f16 v56, v20, v2, v56
	v_pk_fma_f16 v57, v21, v2, v57
	;; [unrolled: 1-line block ×4, first 2 shown]
	v_mul_u32_u24_sdwa v2, v3, s41 dst_sel:DWORD dst_unused:UNUSED_PAD src0_sel:WORD_0 src1_sel:DWORD
	ds_read2_b64 v[20:23], v44 offset0:128 offset1:160
	s_waitcnt lgkmcnt(2)
	v_pk_fma_f16 v7, v48, v2, v7
	v_pk_fma_f16 v6, v49, v2, v6
	;; [unrolled: 1-line block ×4, first 2 shown]
	ds_read2_b64 v[48:51], v44 offset0:192 offset1:224
	s_waitcnt lgkmcnt(2)
	v_pk_fma_f16 v56, v52, v2, v56
	v_pk_fma_f16 v57, v53, v2, v57
	v_pk_fma_f16 v24, v54, v2, v24
	v_pk_fma_f16 v1, v55, v2, v1
	ds_read2_b64 v[52:55], v45 offset1:32
	v_mul_u32_u24_sdwa v2, v3, s41 dst_sel:DWORD dst_unused:UNUSED_PAD src0_sel:WORD_1 src1_sel:DWORD
	s_waitcnt lgkmcnt(2)
	v_pk_fma_f16 v3, v20, v2, v7
	v_pk_fma_f16 v6, v21, v2, v6
	;; [unrolled: 1-line block ×4, first 2 shown]
	ds_read2_b64 v[20:23], v45 offset0:64 offset1:96
	s_waitcnt lgkmcnt(2)
	v_pk_fma_f16 v47, v48, v2, v56
	v_pk_fma_f16 v56, v49, v2, v57
	;; [unrolled: 1-line block ×4, first 2 shown]
	ds_read2_b64 v[48:51], v45 offset0:128 offset1:160
	v_mul_u32_u24_sdwa v2, v4, s41 dst_sel:DWORD dst_unused:UNUSED_PAD src0_sel:WORD_0 src1_sel:DWORD
	s_waitcnt lgkmcnt(2)
	v_pk_fma_f16 v57, v52, v2, v3
	v_pk_fma_f16 v6, v53, v2, v6
	;; [unrolled: 1-line block ×4, first 2 shown]
	v_mul_u32_u24_sdwa v59, v4, s41 dst_sel:DWORD dst_unused:UNUSED_PAD src0_sel:WORD_1 src1_sel:DWORD
	ds_read2_b64 v[52:55], v45 offset0:192 offset1:224
	s_waitcnt lgkmcnt(2)
	v_pk_fma_f16 v47, v20, v2, v47
	v_pk_fma_f16 v56, v21, v2, v56
	;; [unrolled: 1-line block ×4, first 2 shown]
	ds_read2_b64 v[20:23], v46 offset1:32
	v_mul_u32_u24_sdwa v64, v5, s41 dst_sel:DWORD dst_unused:UNUSED_PAD src0_sel:WORD_0 src1_sel:DWORD
	v_mul_u32_u24_sdwa v65, v5, s41 dst_sel:DWORD dst_unused:UNUSED_PAD src0_sel:WORD_1 src1_sel:DWORD
	ds_read2_b64 v[2:5], v46 offset0:64 offset1:96
	s_waitcnt lgkmcnt(3)
	v_pk_fma_f16 v57, v48, v59, v57
	v_pk_fma_f16 v6, v49, v59, v6
	;; [unrolled: 1-line block ×4, first 2 shown]
	ds_read2_b64 v[48:51], v46 offset0:128 offset1:160
	s_waitcnt lgkmcnt(0)
	s_barrier
	s_load_dword s4, s[8:9], 0x4
	v_pk_fma_f16 v47, v52, v59, v47
	v_pk_fma_f16 v52, v53, v59, v56
	;; [unrolled: 1-line block ×4, first 2 shown]
	s_waitcnt lgkmcnt(0)
	s_lshl_b32 s4, s4, 6
	s_add_i32 s2, s4, s2
	v_pk_fma_f16 v20, v20, v64, v57
	v_pk_fma_f16 v6, v21, v64, v6
	;; [unrolled: 1-line block ×8, first 2 shown]
	s_cmp_ge_i32 s2, s28
	v_pk_fma_f16 v53, v48, v65, v20
	v_pk_fma_f16 v52, v49, v65, v6
	;; [unrolled: 1-line block ×8, first 2 shown]
	s_cbranch_scc0 .LBB9_9
.LBB9_10:
	v_cmp_lt_i32_e32 vcc, v35, v30
	s_cmp_lg_u64 s[12:13], 0
	s_cselect_b64 s[4:5], -1, 0
	v_cndmask_b32_e32 v1, v17, v35, vcc
	v_lshlrev_b32_e32 v1, 2, v1
	ds_bpermute_b32 v1, v1, v58
	v_cmp_lt_i32_e32 vcc, v34, v30
	s_cmp_eq_u32 s3, 0
	s_cselect_b64 s[6:7], -1, 0
	v_cndmask_b32_e32 v2, v17, v34, vcc
	v_lshlrev_b32_e32 v2, 2, v2
	s_waitcnt lgkmcnt(0)
	v_add_f32_e32 v1, v58, v1
	ds_bpermute_b32 v2, v2, v1
	v_cmp_lt_i32_e32 vcc, v33, v30
	s_and_b64 s[4:5], s[6:7], s[4:5]
	s_waitcnt lgkmcnt(0)
	v_add_f32_e32 v1, v1, v2
	v_cndmask_b32_e32 v3, v17, v33, vcc
	v_lshlrev_b32_e32 v3, 2, v3
	ds_bpermute_b32 v2, v3, v1
	v_cmp_lt_i32_e32 vcc, v31, v30
	s_waitcnt lgkmcnt(0)
	v_add_f32_e32 v1, v1, v2
	v_cndmask_b32_e32 v3, v17, v31, vcc
	v_lshlrev_b32_e32 v3, 2, v3
	ds_bpermute_b32 v3, v3, v1
	v_cmp_lt_i32_e32 vcc, v32, v30
	v_add_u32_e32 v2, s29, v26
	s_waitcnt lgkmcnt(0)
	v_add_f32_e32 v1, v1, v3
	v_cndmask_b32_e32 v4, v17, v32, vcc
	v_lshlrev_b32_e32 v4, 2, v4
	ds_bpermute_b32 v3, v4, v1
	s_and_b64 vcc, exec, s[4:5]
	s_waitcnt lgkmcnt(0)
	v_add_f32_e32 v1, v1, v3
	s_cbranch_vccz .LBB9_12
; %bb.11:
	v_ashrrev_i32_e32 v3, 31, v2
	v_lshl_add_u64 v[4:5], v[2:3], 2, s[12:13]
	global_load_dword v3, v[4:5], off
	v_max_f32_e32 v4, v0, v0
	s_mov_b32 s2, 0x3fb8aa3b
	s_mov_b32 s4, 0xc2ce8ed0
	s_waitcnt vmcnt(0)
	v_max_f32_e32 v5, v3, v3
	v_max_f32_e32 v4, v4, v5
	v_sub_f32_e32 v0, v0, v4
	v_sub_f32_e32 v3, v3, v4
	v_mul_f32_e32 v5, 0x3fb8aa3b, v0
	v_mul_f32_e32 v6, 0x3fb8aa3b, v3
	v_fma_f32 v7, v0, s2, -v5
	v_rndne_f32_e32 v10, v5
	v_fma_f32 v11, v3, s2, -v6
	v_rndne_f32_e32 v12, v6
	v_fmac_f32_e32 v7, 0x32a5705f, v0
	v_sub_f32_e32 v5, v5, v10
	v_fmac_f32_e32 v11, 0x32a5705f, v3
	v_sub_f32_e32 v6, v6, v12
	v_add_f32_e32 v5, v5, v7
	v_cvt_i32_f32_e32 v10, v10
	v_add_f32_e32 v6, v6, v11
	v_exp_f32_e32 v5, v5
	v_cvt_i32_f32_e32 v12, v12
	v_exp_f32_e32 v6, v6
	v_cmp_ngt_f32_e32 vcc, s4, v0
	v_ldexp_f32 v5, v5, v10
	s_mov_b32 s2, 0x42b17218
	v_ldexp_f32 v6, v6, v12
	v_cndmask_b32_e32 v5, 0, v5, vcc
	v_cmp_ngt_f32_e32 vcc, s4, v3
	v_mov_b32_e32 v7, 0x7f800000
	s_nop 0
	v_cndmask_b32_e32 v6, 0, v6, vcc
	v_cmp_nlt_f32_e32 vcc, s2, v0
	s_nop 1
	v_cndmask_b32_e32 v0, v7, v5, vcc
	v_cvt_f16_f32_e32 v10, v0
	v_cmp_nlt_f32_e32 vcc, s2, v3
	s_nop 1
	v_cndmask_b32_e32 v5, v7, v6, vcc
	v_fmac_f32_e32 v5, v1, v0
	v_mul_u32_u24_e32 v0, 0x10001, v10
	v_pk_mul_f16 v53, v53, v0
	v_pk_mul_f16 v52, v52, v0
	v_pk_mul_f16 v54, v54, v0
	v_pk_mul_f16 v51, v51, v0
	v_pk_mul_f16 v50, v50, v0
	v_pk_mul_f16 v49, v49, v0
	v_pk_mul_f16 v48, v48, v0
	v_pk_mul_f16 v47, v47, v0
	v_mov_b64_e32 v[0:1], v[4:5]
	s_branch .LBB9_13
.LBB9_12:
	v_mov_b32_e32 v5, v1
.LBB9_13:
	s_load_dword s2, s[0:1], 0xd4
	v_div_scale_f32 v3, s[0:1], v5, v5, 1.0
	v_rcp_f32_e32 v4, v3
	s_mul_i32 s33, s33, s22
	s_waitcnt lgkmcnt(0)
	s_cmp_lg_u32 s2, 1
	s_cselect_b64 s[0:1], -1, 0
	v_fma_f32 v6, -v3, v4, 1.0
	v_fmac_f32_e32 v4, v6, v4
	v_div_scale_f32 v6, vcc, 1.0, v5, 1.0
	v_mul_f32_e32 v7, v6, v4
	v_fma_f32 v10, -v3, v7, v6
	v_fmac_f32_e32 v7, v10, v4
	v_fma_f32 v3, -v3, v7, v6
	v_div_fmas_f32 v3, v3, v4, v7
	v_div_fixup_f32 v3, v3, v5, 1.0
	v_cndmask_b32_e64 v10, v3, 1.0, s[0:1]
	v_add_u32_e32 v3, s33, v9
	v_mad_u64_u32 v[2:3], s[4:5], v3, s23, v[2:3]
	v_cvt_f32_f16_sdwa v5, v53 dst_sel:DWORD dst_unused:UNUSED_PAD src0_sel:WORD_1
	v_cvt_f32_f16_e32 v4, v53
	v_cvt_f32_f16_sdwa v7, v52 dst_sel:DWORD dst_unused:UNUSED_PAD src0_sel:WORD_1
	v_cvt_f32_f16_e32 v6, v52
	v_mul_lo_u32 v2, s2, v2
	v_add_u32_e32 v2, s3, v2
	v_lshl_add_u32 v12, v2, 9, v27
	v_mov_b32_e32 v13, 0
	v_cmp_eq_u32_e32 vcc, 0, v8
	v_lshl_add_u64 v[8:9], v[12:13], 2, s[16:17]
	v_pk_mul_f32 v[4:5], v[10:11], v[4:5] op_sel_hi:[0,1]
	v_pk_mul_f32 v[6:7], v[10:11], v[6:7] op_sel_hi:[0,1]
	global_store_dwordx4 v[8:9], v[4:7], off
	v_cvt_f32_f16_sdwa v9, v51 dst_sel:DWORD dst_unused:UNUSED_PAD src0_sel:WORD_1
	v_cvt_f32_f16_e32 v8, v51
	v_cvt_f32_f16_sdwa v7, v54 dst_sel:DWORD dst_unused:UNUSED_PAD src0_sel:WORD_1
	v_cvt_f32_f16_e32 v6, v54
	v_add_u32_e32 v4, 0x80, v12
	v_mov_b32_e32 v5, v13
	v_lshl_add_u64 v[14:15], v[4:5], 2, s[16:17]
	v_pk_mul_f32 v[4:5], v[10:11], v[6:7] op_sel_hi:[0,1]
	v_pk_mul_f32 v[6:7], v[10:11], v[8:9] op_sel_hi:[0,1]
	global_store_dwordx4 v[14:15], v[4:7], off
	v_cvt_f32_f16_sdwa v9, v49 dst_sel:DWORD dst_unused:UNUSED_PAD src0_sel:WORD_1
	v_cvt_f32_f16_e32 v8, v49
	v_cvt_f32_f16_sdwa v7, v50 dst_sel:DWORD dst_unused:UNUSED_PAD src0_sel:WORD_1
	v_cvt_f32_f16_e32 v6, v50
	v_add_u32_e32 v4, 0x100, v12
	v_mov_b32_e32 v5, v13
	v_lshl_add_u64 v[14:15], v[4:5], 2, s[16:17]
	v_pk_mul_f32 v[4:5], v[10:11], v[6:7] op_sel_hi:[0,1]
	v_pk_mul_f32 v[6:7], v[10:11], v[8:9] op_sel_hi:[0,1]
	global_store_dwordx4 v[14:15], v[4:7], off
	v_add_u32_e32 v12, 0x180, v12
	v_lshl_add_u64 v[8:9], v[12:13], 2, s[16:17]
	v_cvt_f32_f16_sdwa v5, v48 dst_sel:DWORD dst_unused:UNUSED_PAD src0_sel:WORD_1
	v_cvt_f32_f16_e32 v4, v48
	v_cvt_f32_f16_sdwa v7, v47 dst_sel:DWORD dst_unused:UNUSED_PAD src0_sel:WORD_1
	v_cvt_f32_f16_e32 v6, v47
	s_and_b64 s[0:1], vcc, s[0:1]
	v_pk_mul_f32 v[4:5], v[10:11], v[4:5] op_sel_hi:[0,1]
	v_pk_mul_f32 v[6:7], v[10:11], v[6:7] op_sel_hi:[0,1]
	global_store_dwordx4 v[8:9], v[4:7], off
	s_and_saveexec_b64 s[2:3], s[0:1]
	s_cbranch_execz .LBB9_15
; %bb.14:
	v_mov_b32_e32 v4, s18
	v_mov_b32_e32 v5, s19
	v_ashrrev_i32_e32 v3, 31, v2
	v_lshl_add_u64 v[2:3], v[2:3], 3, v[4:5]
	global_store_dwordx2 v[2:3], v[0:1], off
.LBB9_15:
	s_endpgm
	.section	.rodata,"a",@progbits
	.p2align	6, 0x0
	.amdhsa_kernel _ZL15flash_attn_tileILi512ELi512ELi1ELi8ELb0EEvPKcS1_S1_S1_S1_PKiPfP15HIP_vector_typeIfLj2EEffffjfiS5_IjLj3EEiiiiiiiiiiiliiliiiiil
		.amdhsa_group_segment_fixed_size 18432
		.amdhsa_private_segment_fixed_size 0
		.amdhsa_kernarg_size 464
		.amdhsa_user_sgpr_count 2
		.amdhsa_user_sgpr_dispatch_ptr 0
		.amdhsa_user_sgpr_queue_ptr 0
		.amdhsa_user_sgpr_kernarg_segment_ptr 1
		.amdhsa_user_sgpr_dispatch_id 0
		.amdhsa_user_sgpr_kernarg_preload_length 0
		.amdhsa_user_sgpr_kernarg_preload_offset 0
		.amdhsa_user_sgpr_private_segment_size 0
		.amdhsa_uses_dynamic_stack 0
		.amdhsa_enable_private_segment 0
		.amdhsa_system_sgpr_workgroup_id_x 1
		.amdhsa_system_sgpr_workgroup_id_y 1
		.amdhsa_system_sgpr_workgroup_id_z 1
		.amdhsa_system_sgpr_workgroup_info 0
		.amdhsa_system_vgpr_workitem_id 1
		.amdhsa_next_free_vgpr 68
		.amdhsa_next_free_sgpr 47
		.amdhsa_accum_offset 68
		.amdhsa_reserve_vcc 1
		.amdhsa_float_round_mode_32 0
		.amdhsa_float_round_mode_16_64 0
		.amdhsa_float_denorm_mode_32 3
		.amdhsa_float_denorm_mode_16_64 3
		.amdhsa_dx10_clamp 1
		.amdhsa_ieee_mode 1
		.amdhsa_fp16_overflow 0
		.amdhsa_tg_split 0
		.amdhsa_exception_fp_ieee_invalid_op 0
		.amdhsa_exception_fp_denorm_src 0
		.amdhsa_exception_fp_ieee_div_zero 0
		.amdhsa_exception_fp_ieee_overflow 0
		.amdhsa_exception_fp_ieee_underflow 0
		.amdhsa_exception_fp_ieee_inexact 0
		.amdhsa_exception_int_div_zero 0
	.end_amdhsa_kernel
	.section	.text._ZL15flash_attn_tileILi512ELi512ELi1ELi8ELb0EEvPKcS1_S1_S1_S1_PKiPfP15HIP_vector_typeIfLj2EEffffjfiS5_IjLj3EEiiiiiiiiiiiliiliiiiil,"axG",@progbits,_ZL15flash_attn_tileILi512ELi512ELi1ELi8ELb0EEvPKcS1_S1_S1_S1_PKiPfP15HIP_vector_typeIfLj2EEffffjfiS5_IjLj3EEiiiiiiiiiiiliiliiiiil,comdat
.Lfunc_end9:
	.size	_ZL15flash_attn_tileILi512ELi512ELi1ELi8ELb0EEvPKcS1_S1_S1_S1_PKiPfP15HIP_vector_typeIfLj2EEffffjfiS5_IjLj3EEiiiiiiiiiiiliiliiiiil, .Lfunc_end9-_ZL15flash_attn_tileILi512ELi512ELi1ELi8ELb0EEvPKcS1_S1_S1_S1_PKiPfP15HIP_vector_typeIfLj2EEffffjfiS5_IjLj3EEiiiiiiiiiiiliiliiiiil
                                        ; -- End function
	.set _ZL15flash_attn_tileILi512ELi512ELi1ELi8ELb0EEvPKcS1_S1_S1_S1_PKiPfP15HIP_vector_typeIfLj2EEffffjfiS5_IjLj3EEiiiiiiiiiiiliiliiiiil.num_vgpr, 68
	.set _ZL15flash_attn_tileILi512ELi512ELi1ELi8ELb0EEvPKcS1_S1_S1_S1_PKiPfP15HIP_vector_typeIfLj2EEffffjfiS5_IjLj3EEiiiiiiiiiiiliiliiiiil.num_agpr, 0
	.set _ZL15flash_attn_tileILi512ELi512ELi1ELi8ELb0EEvPKcS1_S1_S1_S1_PKiPfP15HIP_vector_typeIfLj2EEffffjfiS5_IjLj3EEiiiiiiiiiiiliiliiiiil.numbered_sgpr, 47
	.set _ZL15flash_attn_tileILi512ELi512ELi1ELi8ELb0EEvPKcS1_S1_S1_S1_PKiPfP15HIP_vector_typeIfLj2EEffffjfiS5_IjLj3EEiiiiiiiiiiiliiliiiiil.num_named_barrier, 0
	.set _ZL15flash_attn_tileILi512ELi512ELi1ELi8ELb0EEvPKcS1_S1_S1_S1_PKiPfP15HIP_vector_typeIfLj2EEffffjfiS5_IjLj3EEiiiiiiiiiiiliiliiiiil.private_seg_size, 0
	.set _ZL15flash_attn_tileILi512ELi512ELi1ELi8ELb0EEvPKcS1_S1_S1_S1_PKiPfP15HIP_vector_typeIfLj2EEffffjfiS5_IjLj3EEiiiiiiiiiiiliiliiiiil.uses_vcc, 1
	.set _ZL15flash_attn_tileILi512ELi512ELi1ELi8ELb0EEvPKcS1_S1_S1_S1_PKiPfP15HIP_vector_typeIfLj2EEffffjfiS5_IjLj3EEiiiiiiiiiiiliiliiiiil.uses_flat_scratch, 0
	.set _ZL15flash_attn_tileILi512ELi512ELi1ELi8ELb0EEvPKcS1_S1_S1_S1_PKiPfP15HIP_vector_typeIfLj2EEffffjfiS5_IjLj3EEiiiiiiiiiiiliiliiiiil.has_dyn_sized_stack, 0
	.set _ZL15flash_attn_tileILi512ELi512ELi1ELi8ELb0EEvPKcS1_S1_S1_S1_PKiPfP15HIP_vector_typeIfLj2EEffffjfiS5_IjLj3EEiiiiiiiiiiiliiliiiiil.has_recursion, 0
	.set _ZL15flash_attn_tileILi512ELi512ELi1ELi8ELb0EEvPKcS1_S1_S1_S1_PKiPfP15HIP_vector_typeIfLj2EEffffjfiS5_IjLj3EEiiiiiiiiiiiliiliiiiil.has_indirect_call, 0
	.section	.AMDGPU.csdata,"",@progbits
; Kernel info:
; codeLenInByte = 22356
; TotalNumSgprs: 53
; NumVgprs: 68
; NumAgprs: 0
; TotalNumVgprs: 68
; ScratchSize: 0
; MemoryBound: 0
; FloatMode: 240
; IeeeMode: 1
; LDSByteSize: 18432 bytes/workgroup (compile time only)
; SGPRBlocks: 6
; VGPRBlocks: 8
; NumSGPRsForWavesPerEU: 53
; NumVGPRsForWavesPerEU: 68
; AccumOffset: 68
; Occupancy: 7
; WaveLimiterHint : 1
; COMPUTE_PGM_RSRC2:SCRATCH_EN: 0
; COMPUTE_PGM_RSRC2:USER_SGPR: 2
; COMPUTE_PGM_RSRC2:TRAP_HANDLER: 0
; COMPUTE_PGM_RSRC2:TGID_X_EN: 1
; COMPUTE_PGM_RSRC2:TGID_Y_EN: 1
; COMPUTE_PGM_RSRC2:TGID_Z_EN: 1
; COMPUTE_PGM_RSRC2:TIDIG_COMP_CNT: 1
; COMPUTE_PGM_RSRC3_GFX90A:ACCUM_OFFSET: 16
; COMPUTE_PGM_RSRC3_GFX90A:TG_SPLIT: 0
	.section	.text._ZL25flash_attn_mask_to_KV_maxILi1EEvPK7__half2Piiii,"axG",@progbits,_ZL25flash_attn_mask_to_KV_maxILi1EEvPK7__half2Piiii,comdat
	.globl	_ZL25flash_attn_mask_to_KV_maxILi1EEvPK7__half2Piiii ; -- Begin function _ZL25flash_attn_mask_to_KV_maxILi1EEvPK7__half2Piiii
	.p2align	8
	.type	_ZL25flash_attn_mask_to_KV_maxILi1EEvPK7__half2Piiii,@function
_ZL25flash_attn_mask_to_KV_maxILi1EEvPK7__half2Piiii: ; @_ZL25flash_attn_mask_to_KV_maxILi1EEvPK7__half2Piiii
; %bb.0:
	s_load_dwordx4 s[4:7], s[0:1], 0x0
	v_cmp_gt_u32_e32 vcc, 32, v0
	s_and_saveexec_b64 s[8:9], vcc
; %bb.1:
	v_lshlrev_b32_e32 v1, 2, v0
	v_mov_b32_e32 v2, 1
	ds_write_b32 v1, v2
; %bb.2:
	s_or_b64 exec, exec, s[8:9]
	s_load_dwordx4 s[16:19], s[0:1], 0x10
	s_load_dword s14, s[0:1], 0x20
	v_and_b32_e32 v2, 31, v0
	v_lshlrev_b32_e32 v4, 2, v2
	v_lshrrev_b32_e32 v1, 3, v0
	s_waitcnt lgkmcnt(0)
	s_mul_i32 s0, s18, s3
	s_mul_i32 s1, s17, s2
	s_add_i32 s0, s0, s1
	s_ashr_i32 s1, s0, 31
	s_lshl_b64 s[0:1], s[0:1], 2
	s_add_u32 s8, s4, s0
	s_addc_u32 s9, s5, s1
	v_cmp_eq_u32_e64 s[0:1], 0, v2
	v_mbcnt_lo_u32_b32 v2, -1, 0
	v_mbcnt_hi_u32_b32 v5, -1, v2
	v_and_b32_e32 v2, 0x60, v5
	s_lshl_b32 s15, s16, 8
	s_mov_b64 s[10:11], 0
	v_mov_b32_e32 v3, 0
	s_movk_i32 s16, 0x204
	v_add_u32_e32 v6, 32, v2
	v_xor_b32_e32 v7, 16, v5
	v_xor_b32_e32 v8, 8, v5
	v_xor_b32_e32 v9, 4, v5
	v_xor_b32_e32 v10, 2, v5
	v_xor_b32_e32 v11, 1, v5
	s_barrier
                                        ; implicit-def: $sgpr4_sgpr5
	s_branch .LBB10_5
.LBB10_3:                               ;   in Loop: Header=BB10_5 Depth=1
	s_or_b64 exec, exec, s[12:13]
	s_waitcnt lgkmcnt(0)
	s_barrier
	ds_read_b32 v16, v4
	s_waitcnt lgkmcnt(0)
	s_barrier
	ds_bpermute_b32 v2, v2, v16
	v_cmp_ne_u32_e32 vcc, 0, v16
	s_waitcnt lgkmcnt(0)
	v_cmp_ne_u32_e64 s[4:5], 0, v2
	s_and_b64 s[4:5], vcc, s[4:5]
	s_nop 0
	v_cndmask_b32_e64 v2, 0, 1, s[4:5]
	ds_bpermute_b32 v2, v12, v2
	s_waitcnt lgkmcnt(0)
	v_cmp_ne_u32_e32 vcc, 0, v2
	s_and_b64 s[4:5], vcc, s[4:5]
	v_cndmask_b32_e64 v2, 0, 1, s[4:5]
	ds_bpermute_b32 v2, v13, v2
	s_waitcnt lgkmcnt(0)
	v_cmp_ne_u32_e32 vcc, 0, v2
	s_and_b64 s[4:5], vcc, s[4:5]
	v_cndmask_b32_e64 v2, 0, 1, s[4:5]
	ds_bpermute_b32 v2, v14, v2
	s_waitcnt lgkmcnt(0)
	v_cmp_ne_u32_e32 vcc, 0, v2
	s_and_b64 s[4:5], vcc, s[4:5]
	v_cndmask_b32_e64 v2, 0, 1, s[4:5]
	ds_bpermute_b32 v2, v15, v2
	s_xor_b64 s[4:5], s[4:5], -1
	s_waitcnt lgkmcnt(0)
	v_cmp_eq_u32_e32 vcc, 0, v2
	s_or_b64 s[4:5], vcc, s[4:5]
.LBB10_4:                               ;   in Loop: Header=BB10_5 Depth=1
	s_and_b64 s[12:13], exec, s[4:5]
	s_or_b64 s[10:11], s[12:13], s[10:11]
	v_mov_b32_e32 v2, s15
	s_mov_b32 s15, s17
	s_andn2_b64 exec, exec, s[10:11]
	s_cbranch_execz .LBB10_10
.LBB10_5:                               ; =>This Inner Loop Header: Depth=1
	s_add_i32 s17, s15, 0xffffff00
	s_or_b64 s[4:5], s[4:5], exec
	s_cmp_lt_i32 s17, 0
	s_cbranch_scc1 .LBB10_4
; %bb.6:                                ;   in Loop: Header=BB10_5 Depth=1
	s_lshr_b32 s4, s17, 1
	v_add_u32_e32 v2, s4, v0
	v_lshl_add_u64 v[12:13], v[2:3], 2, s[8:9]
	global_load_dword v2, v[12:13], off
	v_mov_b32_e32 v12, 0
	s_waitcnt vmcnt(0)
	v_cmp_class_f16_e64 s[12:13], v2, s16
	s_and_saveexec_b64 s[4:5], s[12:13]
; %bb.7:                                ;   in Loop: Header=BB10_5 Depth=1
	v_cmp_class_f16_sdwa s[12:13], v2, s16 src0_sel:WORD_1 src1_sel:DWORD
	s_nop 1
	v_cndmask_b32_e64 v12, 0, 1, s[12:13]
; %bb.8:                                ;   in Loop: Header=BB10_5 Depth=1
	s_or_b64 exec, exec, s[4:5]
	v_cmp_lt_i32_e32 vcc, v7, v6
	s_nop 1
	v_cndmask_b32_e32 v2, v5, v7, vcc
	v_lshlrev_b32_e32 v2, 2, v2
	ds_bpermute_b32 v13, v2, v12
	v_cmp_ne_u32_e32 vcc, 0, v12
	s_waitcnt lgkmcnt(0)
	v_cmp_ne_u32_e64 s[4:5], 0, v13
	s_and_b64 s[4:5], vcc, s[4:5]
	v_cmp_lt_i32_e32 vcc, v8, v6
	v_cndmask_b32_e64 v13, 0, 1, s[4:5]
	s_nop 0
	v_cndmask_b32_e32 v12, v5, v8, vcc
	v_lshlrev_b32_e32 v12, 2, v12
	ds_bpermute_b32 v13, v12, v13
	s_waitcnt lgkmcnt(0)
	v_cmp_ne_u32_e32 vcc, 0, v13
	s_and_b64 s[4:5], vcc, s[4:5]
	v_cmp_lt_i32_e32 vcc, v9, v6
	v_cndmask_b32_e64 v14, 0, 1, s[4:5]
	s_nop 0
	v_cndmask_b32_e32 v13, v5, v9, vcc
	v_lshlrev_b32_e32 v13, 2, v13
	ds_bpermute_b32 v14, v13, v14
	s_waitcnt lgkmcnt(0)
	v_cmp_ne_u32_e32 vcc, 0, v14
	;; [unrolled: 9-line block ×3, first 2 shown]
	s_and_b64 s[4:5], vcc, s[4:5]
	v_cmp_lt_i32_e32 vcc, v11, v6
	v_cndmask_b32_e64 v16, 0, 1, s[4:5]
	s_nop 0
	v_cndmask_b32_e32 v15, v5, v11, vcc
	v_lshlrev_b32_e32 v15, 2, v15
	ds_bpermute_b32 v16, v15, v16
	s_and_saveexec_b64 s[12:13], s[0:1]
	s_cbranch_execz .LBB10_3
; %bb.9:                                ;   in Loop: Header=BB10_5 Depth=1
	s_waitcnt lgkmcnt(0)
	v_cmp_ne_u32_e32 vcc, 0, v16
	s_and_b64 s[4:5], vcc, s[4:5]
	v_cndmask_b32_e64 v16, 0, 1, s[4:5]
	ds_write_b32 v1, v16
	s_branch .LBB10_3
.LBB10_10:
	s_or_b64 exec, exec, s[10:11]
	v_cmp_eq_u32_e32 vcc, 0, v0
	s_and_saveexec_b64 s[0:1], vcc
	s_cbranch_execz .LBB10_12
; %bb.11:
	s_mul_i32 s0, s14, s3
	s_add_i32 s0, s0, s2
	s_ashr_i32 s1, s0, 31
	s_lshl_b64 s[0:1], s[0:1], 2
	s_add_u32 s0, s6, s0
	s_addc_u32 s1, s7, s1
	v_mov_b32_e32 v0, 0
	global_store_dword v0, v2, s[0:1]
.LBB10_12:
	s_endpgm
	.section	.rodata,"a",@progbits
	.p2align	6, 0x0
	.amdhsa_kernel _ZL25flash_attn_mask_to_KV_maxILi1EEvPK7__half2Piiii
		.amdhsa_group_segment_fixed_size 128
		.amdhsa_private_segment_fixed_size 0
		.amdhsa_kernarg_size 288
		.amdhsa_user_sgpr_count 2
		.amdhsa_user_sgpr_dispatch_ptr 0
		.amdhsa_user_sgpr_queue_ptr 0
		.amdhsa_user_sgpr_kernarg_segment_ptr 1
		.amdhsa_user_sgpr_dispatch_id 0
		.amdhsa_user_sgpr_kernarg_preload_length 0
		.amdhsa_user_sgpr_kernarg_preload_offset 0
		.amdhsa_user_sgpr_private_segment_size 0
		.amdhsa_uses_dynamic_stack 0
		.amdhsa_enable_private_segment 0
		.amdhsa_system_sgpr_workgroup_id_x 1
		.amdhsa_system_sgpr_workgroup_id_y 1
		.amdhsa_system_sgpr_workgroup_id_z 0
		.amdhsa_system_sgpr_workgroup_info 0
		.amdhsa_system_vgpr_workitem_id 0
		.amdhsa_next_free_vgpr 17
		.amdhsa_next_free_sgpr 20
		.amdhsa_accum_offset 20
		.amdhsa_reserve_vcc 1
		.amdhsa_float_round_mode_32 0
		.amdhsa_float_round_mode_16_64 0
		.amdhsa_float_denorm_mode_32 3
		.amdhsa_float_denorm_mode_16_64 3
		.amdhsa_dx10_clamp 1
		.amdhsa_ieee_mode 1
		.amdhsa_fp16_overflow 0
		.amdhsa_tg_split 0
		.amdhsa_exception_fp_ieee_invalid_op 0
		.amdhsa_exception_fp_denorm_src 0
		.amdhsa_exception_fp_ieee_div_zero 0
		.amdhsa_exception_fp_ieee_overflow 0
		.amdhsa_exception_fp_ieee_underflow 0
		.amdhsa_exception_fp_ieee_inexact 0
		.amdhsa_exception_int_div_zero 0
	.end_amdhsa_kernel
	.section	.text._ZL25flash_attn_mask_to_KV_maxILi1EEvPK7__half2Piiii,"axG",@progbits,_ZL25flash_attn_mask_to_KV_maxILi1EEvPK7__half2Piiii,comdat
.Lfunc_end10:
	.size	_ZL25flash_attn_mask_to_KV_maxILi1EEvPK7__half2Piiii, .Lfunc_end10-_ZL25flash_attn_mask_to_KV_maxILi1EEvPK7__half2Piiii
                                        ; -- End function
	.set _ZL25flash_attn_mask_to_KV_maxILi1EEvPK7__half2Piiii.num_vgpr, 17
	.set _ZL25flash_attn_mask_to_KV_maxILi1EEvPK7__half2Piiii.num_agpr, 0
	.set _ZL25flash_attn_mask_to_KV_maxILi1EEvPK7__half2Piiii.numbered_sgpr, 20
	.set _ZL25flash_attn_mask_to_KV_maxILi1EEvPK7__half2Piiii.num_named_barrier, 0
	.set _ZL25flash_attn_mask_to_KV_maxILi1EEvPK7__half2Piiii.private_seg_size, 0
	.set _ZL25flash_attn_mask_to_KV_maxILi1EEvPK7__half2Piiii.uses_vcc, 1
	.set _ZL25flash_attn_mask_to_KV_maxILi1EEvPK7__half2Piiii.uses_flat_scratch, 0
	.set _ZL25flash_attn_mask_to_KV_maxILi1EEvPK7__half2Piiii.has_dyn_sized_stack, 0
	.set _ZL25flash_attn_mask_to_KV_maxILi1EEvPK7__half2Piiii.has_recursion, 0
	.set _ZL25flash_attn_mask_to_KV_maxILi1EEvPK7__half2Piiii.has_indirect_call, 0
	.section	.AMDGPU.csdata,"",@progbits
; Kernel info:
; codeLenInByte = 768
; TotalNumSgprs: 26
; NumVgprs: 17
; NumAgprs: 0
; TotalNumVgprs: 17
; ScratchSize: 0
; MemoryBound: 0
; FloatMode: 240
; IeeeMode: 1
; LDSByteSize: 128 bytes/workgroup (compile time only)
; SGPRBlocks: 3
; VGPRBlocks: 2
; NumSGPRsForWavesPerEU: 26
; NumVGPRsForWavesPerEU: 17
; AccumOffset: 20
; Occupancy: 8
; WaveLimiterHint : 0
; COMPUTE_PGM_RSRC2:SCRATCH_EN: 0
; COMPUTE_PGM_RSRC2:USER_SGPR: 2
; COMPUTE_PGM_RSRC2:TRAP_HANDLER: 0
; COMPUTE_PGM_RSRC2:TGID_X_EN: 1
; COMPUTE_PGM_RSRC2:TGID_Y_EN: 1
; COMPUTE_PGM_RSRC2:TGID_Z_EN: 0
; COMPUTE_PGM_RSRC2:TIDIG_COMP_CNT: 0
; COMPUTE_PGM_RSRC3_GFX90A:ACCUM_OFFSET: 4
; COMPUTE_PGM_RSRC3_GFX90A:TG_SPLIT: 0
	.section	.text._ZL33flash_attn_stream_k_fixup_uniformILi512ELi1ELi8EEvPfPK15HIP_vector_typeIfLj2EEiiiiiiS1_IjLj3EES5_S5_,"axG",@progbits,_ZL33flash_attn_stream_k_fixup_uniformILi512ELi1ELi8EEvPfPK15HIP_vector_typeIfLj2EEiiiiiiS1_IjLj3EES5_S5_,comdat
	.globl	_ZL33flash_attn_stream_k_fixup_uniformILi512ELi1ELi8EEvPfPK15HIP_vector_typeIfLj2EEiiiiiiS1_IjLj3EES5_S5_ ; -- Begin function _ZL33flash_attn_stream_k_fixup_uniformILi512ELi1ELi8EEvPfPK15HIP_vector_typeIfLj2EEiiiiiiS1_IjLj3EES5_S5_
	.p2align	8
	.type	_ZL33flash_attn_stream_k_fixup_uniformILi512ELi1ELi8EEvPfPK15HIP_vector_typeIfLj2EEiiiiiiS1_IjLj3EES5_S5_,@function
_ZL33flash_attn_stream_k_fixup_uniformILi512ELi1ELi8EEvPfPK15HIP_vector_typeIfLj2EEiiiiiiS1_IjLj3EES5_S5_: ; @_ZL33flash_attn_stream_k_fixup_uniformILi512ELi1ELi8EEvPfPK15HIP_vector_typeIfLj2EEiiiiiiS1_IjLj3EES5_S5_
; %bb.0:
	s_load_dwordx8 s[8:15], s[0:1], 0x1c
	s_load_dwordx2 s[6:7], s[0:1], 0x10
	s_load_dwordx4 s[16:19], s[0:1], 0x3c
	s_waitcnt lgkmcnt(0)
	s_mul_hi_u32 s5, s11, s2
	s_add_i32 s5, s2, s5
	s_lshr_b32 s5, s5, s12
	s_mul_i32 s11, s5, s13
	s_sub_i32 s12, s2, s11
	s_mul_hi_u32 s11, s12, s14
	s_add_i32 s11, s12, s11
	s_lshr_b32 s11, s11, s15
	s_mul_i32 s13, s11, s16
	s_sub_i32 s12, s12, s13
	;; [unrolled: 5-line block ×3, first 2 shown]
	s_lshl_b32 s16, s13, 3
	s_add_i32 s17, s17, s3
	s_cmp_lt_i32 s17, s6
	s_cselect_b64 s[12:13], -1, 0
	s_add_i32 s16, s16, s4
	s_cmp_lt_i32 s16, s9
	s_cselect_b64 s[14:15], -1, 0
	s_and_b64 s[12:13], s[12:13], s[14:15]
	s_andn2_b64 vcc, exec, s[12:13]
	s_cbranch_vccnz .LBB11_6
; %bb.1:
	s_load_dwordx4 s[12:15], s[0:1], 0x0
	s_mul_i32 s5, s5, s6
	s_mul_i32 s11, s11, s9
	s_add_i32 s0, s17, s5
	s_mul_i32 s0, s0, s7
	s_add_i32 s1, s16, s11
	s_add_i32 s1, s1, s0
	v_lshl_or_b32 v4, s1, 9, v0
	s_waitcnt lgkmcnt(0)
	v_mov_b32_e32 v2, s12
	v_mov_b32_e32 v3, s13
	v_ashrrev_i32_e32 v5, 31, v4
	v_lshl_add_u64 v[2:3], v[4:5], 2, v[2:3]
	global_load_dword v5, v[2:3], off
	s_mul_i32 s9, s10, s2
	s_add_i32 s5, s9, s10
	s_add_i32 s0, s3, s5
	s_lshl_b32 s0, s0, 3
	s_add_i32 s0, s0, s4
	s_add_i32 s0, s0, -8
	s_ashr_i32 s1, s0, 31
	s_lshl_b64 s[0:1], s[0:1], 3
	s_add_u32 s0, s14, s0
	s_addc_u32 s1, s15, s1
	s_load_dword s12, s[0:1], 0x4
	s_add_i32 s6, s5, -2
	s_cmp_lt_i32 s6, s9
	s_cbranch_scc1 .LBB11_4
; %bb.2:
	s_lshl_b32 s6, s8, 5
	s_ashr_i32 s7, s6, 31
	s_lshl_b64 s[6:7], s[6:7], 2
	s_add_u32 s6, s14, s6
	s_addc_u32 s7, s15, s7
	s_load_dword s0, s[0:1], 0x0
	s_add_i32 s2, s2, 1
	s_lshl_b32 s1, s4, 9
	s_add_i32 s8, s3, s8
	s_mul_i32 s2, s10, s2
	s_lshl_b32 s3, s3, 12
	s_add_i32 s8, s8, s5
	s_lshl_b32 s2, s2, 12
	s_add_i32 s1, s1, s3
	s_add_i32 s11, s5, -1
	s_lshl_b32 s5, s8, 3
	s_add_i32 s1, s1, s2
	s_add_i32 s4, s4, s5
	v_or_b32_e32 v0, s1, v0
	s_add_i32 s4, s4, -16
	v_add_u32_e32 v0, 0xffffe000, v0
	s_waitcnt lgkmcnt(0)
	v_mov_b32_e32 v7, s0
	v_mov_b32_e32 v4, s12
	s_mov_b32 s2, 0x3fb8aa3b
	s_mov_b32 s3, 0xc2ce8ed0
	;; [unrolled: 1-line block ×3, first 2 shown]
	v_mov_b32_e32 v6, 0x7f800000
	s_mov_b32 s10, 0xc1a00000
.LBB11_3:                               ; =>This Inner Loop Header: Depth=1
	v_ashrrev_i32_e32 v1, 31, v0
	v_lshl_add_u64 v[8:9], v[0:1], 2, s[6:7]
	global_load_dword v9, v[8:9], off
	s_ashr_i32 s5, s4, 31
	s_lshl_b64 s[0:1], s[4:5], 3
	s_add_u32 s0, s14, s0
	s_addc_u32 s1, s15, s1
	s_load_dwordx2 s[0:1], s[0:1], 0x0
	v_max_f32_e32 v1, v7, v7
	s_add_i32 s11, s11, -1
	s_add_i32 s4, s4, -8
	v_add_u32_e32 v0, 0xfffff000, v0
	s_waitcnt lgkmcnt(0)
	v_max_f32_e64 v10, s0, s0
	v_max_f32_e32 v1, v1, v10
	v_sub_f32_e32 v11, s0, v1
	v_sub_f32_e32 v10, v7, v1
	v_mul_f32_e32 v12, 0x3fb8aa3b, v11
	v_mov_b32_e32 v7, v1
	v_mul_f32_e32 v1, 0x3fb8aa3b, v10
	v_fma_f32 v15, v11, s2, -v12
	v_rndne_f32_e32 v16, v12
	v_fma_f32 v13, v10, s2, -v1
	v_rndne_f32_e32 v14, v1
	v_fmac_f32_e32 v15, 0x32a5705f, v11
	v_sub_f32_e32 v12, v12, v16
	v_fmac_f32_e32 v13, 0x32a5705f, v10
	v_sub_f32_e32 v1, v1, v14
	v_add_f32_e32 v12, v12, v15
	v_cvt_i32_f32_e32 v16, v16
	v_add_f32_e32 v1, v1, v13
	v_exp_f32_e32 v12, v12
	v_cvt_i32_f32_e32 v14, v14
	v_exp_f32_e32 v1, v1
	v_cmp_ngt_f32_e32 vcc, s3, v11
	v_ldexp_f32 v12, v12, v16
	v_mov_b32_e32 v8, s1
	v_ldexp_f32 v1, v1, v14
	v_cmp_ngt_f32_e64 s[0:1], s3, v10
	v_cndmask_b32_e32 v12, 0, v12, vcc
	v_cmp_nlt_f32_e32 vcc, s8, v11
	v_cndmask_b32_e64 v1, 0, v1, s[0:1]
	v_cmp_nlt_f32_e64 s[0:1], s8, v10
	v_cndmask_b32_e32 v12, v6, v12, vcc
	v_cmp_le_f32_e32 vcc, s10, v11
	v_cndmask_b32_e64 v1, v6, v1, s[0:1]
	v_cmp_le_f32_e64 s[0:1], s10, v10
	v_cndmask_b32_e32 v12, 0, v12, vcc
	s_cmp_le_i32 s11, s9
	v_cndmask_b32_e64 v10, 0, v1, s[0:1]
	s_waitcnt vmcnt(0)
	v_pk_mul_f32 v[8:9], v[8:9], v[12:13] op_sel_hi:[1,0]
	s_nop 0
	v_pk_fma_f32 v[4:5], v[4:5], v[10:11], v[8:9] op_sel_hi:[1,0,1]
	s_cbranch_scc0 .LBB11_3
	s_branch .LBB11_5
.LBB11_4:
	s_waitcnt lgkmcnt(0)
	v_mov_b32_e32 v4, s12
.LBB11_5:
	s_waitcnt vmcnt(0)
	v_div_scale_f32 v0, s[0:1], v4, v4, v5
	v_rcp_f32_e32 v1, v0
	v_div_scale_f32 v6, vcc, v5, v4, v5
	v_fma_f32 v7, -v0, v1, 1.0
	v_fmac_f32_e32 v1, v7, v1
	v_mul_f32_e32 v7, v6, v1
	v_fma_f32 v8, -v0, v7, v6
	v_fmac_f32_e32 v7, v8, v1
	v_fma_f32 v0, -v0, v7, v6
	v_div_fmas_f32 v0, v0, v1, v7
	v_div_fixup_f32 v0, v0, v4, v5
	global_store_dword v[2:3], v0, off
.LBB11_6:
	s_endpgm
	.section	.rodata,"a",@progbits
	.p2align	6, 0x0
	.amdhsa_kernel _ZL33flash_attn_stream_k_fixup_uniformILi512ELi1ELi8EEvPfPK15HIP_vector_typeIfLj2EEiiiiiiS1_IjLj3EES5_S5_
		.amdhsa_group_segment_fixed_size 0
		.amdhsa_private_segment_fixed_size 0
		.amdhsa_kernarg_size 76
		.amdhsa_user_sgpr_count 2
		.amdhsa_user_sgpr_dispatch_ptr 0
		.amdhsa_user_sgpr_queue_ptr 0
		.amdhsa_user_sgpr_kernarg_segment_ptr 1
		.amdhsa_user_sgpr_dispatch_id 0
		.amdhsa_user_sgpr_kernarg_preload_length 0
		.amdhsa_user_sgpr_kernarg_preload_offset 0
		.amdhsa_user_sgpr_private_segment_size 0
		.amdhsa_uses_dynamic_stack 0
		.amdhsa_enable_private_segment 0
		.amdhsa_system_sgpr_workgroup_id_x 1
		.amdhsa_system_sgpr_workgroup_id_y 1
		.amdhsa_system_sgpr_workgroup_id_z 1
		.amdhsa_system_sgpr_workgroup_info 0
		.amdhsa_system_vgpr_workitem_id 0
		.amdhsa_next_free_vgpr 17
		.amdhsa_next_free_sgpr 20
		.amdhsa_accum_offset 20
		.amdhsa_reserve_vcc 1
		.amdhsa_float_round_mode_32 0
		.amdhsa_float_round_mode_16_64 0
		.amdhsa_float_denorm_mode_32 3
		.amdhsa_float_denorm_mode_16_64 3
		.amdhsa_dx10_clamp 1
		.amdhsa_ieee_mode 1
		.amdhsa_fp16_overflow 0
		.amdhsa_tg_split 0
		.amdhsa_exception_fp_ieee_invalid_op 0
		.amdhsa_exception_fp_denorm_src 0
		.amdhsa_exception_fp_ieee_div_zero 0
		.amdhsa_exception_fp_ieee_overflow 0
		.amdhsa_exception_fp_ieee_underflow 0
		.amdhsa_exception_fp_ieee_inexact 0
		.amdhsa_exception_int_div_zero 0
	.end_amdhsa_kernel
	.section	.text._ZL33flash_attn_stream_k_fixup_uniformILi512ELi1ELi8EEvPfPK15HIP_vector_typeIfLj2EEiiiiiiS1_IjLj3EES5_S5_,"axG",@progbits,_ZL33flash_attn_stream_k_fixup_uniformILi512ELi1ELi8EEvPfPK15HIP_vector_typeIfLj2EEiiiiiiS1_IjLj3EES5_S5_,comdat
.Lfunc_end11:
	.size	_ZL33flash_attn_stream_k_fixup_uniformILi512ELi1ELi8EEvPfPK15HIP_vector_typeIfLj2EEiiiiiiS1_IjLj3EES5_S5_, .Lfunc_end11-_ZL33flash_attn_stream_k_fixup_uniformILi512ELi1ELi8EEvPfPK15HIP_vector_typeIfLj2EEiiiiiiS1_IjLj3EES5_S5_
                                        ; -- End function
	.set _ZL33flash_attn_stream_k_fixup_uniformILi512ELi1ELi8EEvPfPK15HIP_vector_typeIfLj2EEiiiiiiS1_IjLj3EES5_S5_.num_vgpr, 17
	.set _ZL33flash_attn_stream_k_fixup_uniformILi512ELi1ELi8EEvPfPK15HIP_vector_typeIfLj2EEiiiiiiS1_IjLj3EES5_S5_.num_agpr, 0
	.set _ZL33flash_attn_stream_k_fixup_uniformILi512ELi1ELi8EEvPfPK15HIP_vector_typeIfLj2EEiiiiiiS1_IjLj3EES5_S5_.numbered_sgpr, 20
	.set _ZL33flash_attn_stream_k_fixup_uniformILi512ELi1ELi8EEvPfPK15HIP_vector_typeIfLj2EEiiiiiiS1_IjLj3EES5_S5_.num_named_barrier, 0
	.set _ZL33flash_attn_stream_k_fixup_uniformILi512ELi1ELi8EEvPfPK15HIP_vector_typeIfLj2EEiiiiiiS1_IjLj3EES5_S5_.private_seg_size, 0
	.set _ZL33flash_attn_stream_k_fixup_uniformILi512ELi1ELi8EEvPfPK15HIP_vector_typeIfLj2EEiiiiiiS1_IjLj3EES5_S5_.uses_vcc, 1
	.set _ZL33flash_attn_stream_k_fixup_uniformILi512ELi1ELi8EEvPfPK15HIP_vector_typeIfLj2EEiiiiiiS1_IjLj3EES5_S5_.uses_flat_scratch, 0
	.set _ZL33flash_attn_stream_k_fixup_uniformILi512ELi1ELi8EEvPfPK15HIP_vector_typeIfLj2EEiiiiiiS1_IjLj3EES5_S5_.has_dyn_sized_stack, 0
	.set _ZL33flash_attn_stream_k_fixup_uniformILi512ELi1ELi8EEvPfPK15HIP_vector_typeIfLj2EEiiiiiiS1_IjLj3EES5_S5_.has_recursion, 0
	.set _ZL33flash_attn_stream_k_fixup_uniformILi512ELi1ELi8EEvPfPK15HIP_vector_typeIfLj2EEiiiiiiS1_IjLj3EES5_S5_.has_indirect_call, 0
	.section	.AMDGPU.csdata,"",@progbits
; Kernel info:
; codeLenInByte = 808
; TotalNumSgprs: 26
; NumVgprs: 17
; NumAgprs: 0
; TotalNumVgprs: 17
; ScratchSize: 0
; MemoryBound: 0
; FloatMode: 240
; IeeeMode: 1
; LDSByteSize: 0 bytes/workgroup (compile time only)
; SGPRBlocks: 3
; VGPRBlocks: 2
; NumSGPRsForWavesPerEU: 26
; NumVGPRsForWavesPerEU: 17
; AccumOffset: 20
; Occupancy: 8
; WaveLimiterHint : 0
; COMPUTE_PGM_RSRC2:SCRATCH_EN: 0
; COMPUTE_PGM_RSRC2:USER_SGPR: 2
; COMPUTE_PGM_RSRC2:TRAP_HANDLER: 0
; COMPUTE_PGM_RSRC2:TGID_X_EN: 1
; COMPUTE_PGM_RSRC2:TGID_Y_EN: 1
; COMPUTE_PGM_RSRC2:TGID_Z_EN: 1
; COMPUTE_PGM_RSRC2:TIDIG_COMP_CNT: 0
; COMPUTE_PGM_RSRC3_GFX90A:ACCUM_OFFSET: 4
; COMPUTE_PGM_RSRC3_GFX90A:TG_SPLIT: 0
	.section	.text._ZL33flash_attn_stream_k_fixup_generalILi512ELi1ELi8EEvPfPK15HIP_vector_typeIfLj2EEiiiiS1_IjLj3EES5_S5_S5_,"axG",@progbits,_ZL33flash_attn_stream_k_fixup_generalILi512ELi1ELi8EEvPfPK15HIP_vector_typeIfLj2EEiiiiS1_IjLj3EES5_S5_S5_,comdat
	.globl	_ZL33flash_attn_stream_k_fixup_generalILi512ELi1ELi8EEvPfPK15HIP_vector_typeIfLj2EEiiiiS1_IjLj3EES5_S5_S5_ ; -- Begin function _ZL33flash_attn_stream_k_fixup_generalILi512ELi1ELi8EEvPfPK15HIP_vector_typeIfLj2EEiiiiS1_IjLj3EES5_S5_S5_
	.p2align	8
	.type	_ZL33flash_attn_stream_k_fixup_generalILi512ELi1ELi8EEvPfPK15HIP_vector_typeIfLj2EEiiiiS1_IjLj3EES5_S5_S5_,@function
_ZL33flash_attn_stream_k_fixup_generalILi512ELi1ELi8EEvPfPK15HIP_vector_typeIfLj2EEiiiiS1_IjLj3EES5_S5_S5_: ; @_ZL33flash_attn_stream_k_fixup_generalILi512ELi1ELi8EEvPfPK15HIP_vector_typeIfLj2EEiiiiS1_IjLj3EES5_S5_S5_
; %bb.0:
	s_load_dwordx4 s[8:11], s[0:1], 0x10
	s_load_dword s5, s[0:1], 0x50
	s_mov_b32 s12, 0
	s_waitcnt lgkmcnt(0)
	s_mul_hi_i32 s13, s11, s2
	s_cmp_lg_u64 s[12:13], 0
	s_mul_i32 s18, s11, s2
	s_cbranch_scc0 .LBB12_20
; %bb.1:
	s_add_u32 s6, s5, 0
	s_addc_u32 s7, 0, 0
	s_xor_b64 s[6:7], s[6:7], 0
	v_cvt_f32_u32_e32 v1, s6
	v_cvt_f32_u32_e32 v2, s7
	s_sub_u32 s12, 0, s6
	s_subb_u32 s19, 0, s7
	v_fmamk_f32 v1, v2, 0x4f800000, v1
	v_rcp_f32_e32 v1, v1
	s_nop 0
	v_mul_f32_e32 v1, 0x5f7ffffc, v1
	v_mul_f32_e32 v2, 0x2f800000, v1
	v_trunc_f32_e32 v2, v2
	v_fmamk_f32 v1, v2, 0xcf800000, v1
	v_cvt_u32_f32_e32 v2, v2
	v_cvt_u32_f32_e32 v1, v1
	v_readfirstlane_b32 s20, v2
	v_readfirstlane_b32 s14, v1
	s_mul_i32 s15, s12, s20
	s_mul_hi_u32 s22, s12, s14
	s_mul_i32 s21, s19, s14
	s_add_i32 s15, s22, s15
	s_add_i32 s15, s15, s21
	s_mul_i32 s23, s12, s14
	s_mul_i32 s22, s14, s15
	s_mul_hi_u32 s24, s14, s23
	s_mul_hi_u32 s21, s14, s15
	s_add_u32 s22, s24, s22
	s_addc_u32 s21, 0, s21
	s_mul_hi_u32 s25, s20, s23
	s_mul_i32 s23, s20, s23
	s_add_u32 s22, s22, s23
	s_mul_hi_u32 s24, s20, s15
	s_addc_u32 s21, s21, s25
	s_addc_u32 s22, s24, 0
	s_mul_i32 s15, s20, s15
	s_add_u32 s15, s21, s15
	s_addc_u32 s21, 0, s22
	s_add_u32 s22, s14, s15
	s_cselect_b64 s[14:15], -1, 0
	s_cmp_lg_u64 s[14:15], 0
	s_addc_u32 s20, s20, s21
	s_mul_i32 s14, s12, s20
	s_mul_hi_u32 s15, s12, s22
	s_add_i32 s14, s15, s14
	s_mul_i32 s19, s19, s22
	s_add_i32 s14, s14, s19
	s_mul_i32 s12, s12, s22
	s_mul_hi_u32 s19, s20, s12
	s_mul_i32 s21, s20, s12
	s_mul_i32 s24, s22, s14
	s_mul_hi_u32 s12, s22, s12
	s_mul_hi_u32 s23, s22, s14
	s_add_u32 s12, s12, s24
	s_addc_u32 s23, 0, s23
	s_add_u32 s12, s12, s21
	s_mul_hi_u32 s15, s20, s14
	s_addc_u32 s12, s23, s19
	s_addc_u32 s15, s15, 0
	s_mul_i32 s14, s20, s14
	s_add_u32 s12, s12, s14
	s_addc_u32 s19, 0, s15
	s_add_u32 s21, s22, s12
	s_cselect_b64 s[14:15], -1, 0
	s_cmp_lg_u64 s[14:15], 0
	s_addc_u32 s19, s20, s19
	s_ashr_i32 s14, s13, 31
	s_add_u32 s12, s18, s14
	s_mov_b32 s15, s14
	s_addc_u32 s13, s13, s14
	s_xor_b64 s[12:13], s[12:13], s[14:15]
	s_mul_i32 s22, s12, s19
	s_mul_hi_u32 s23, s12, s21
	s_mul_hi_u32 s20, s12, s19
	s_add_u32 s22, s23, s22
	s_addc_u32 s20, 0, s20
	s_mul_hi_u32 s24, s13, s21
	s_mul_i32 s21, s13, s21
	s_add_u32 s21, s22, s21
	s_mul_hi_u32 s23, s13, s19
	s_addc_u32 s20, s20, s24
	s_addc_u32 s21, s23, 0
	s_mul_i32 s19, s13, s19
	s_add_u32 s19, s20, s19
	s_addc_u32 s24, 0, s21
	s_mul_i32 s20, s6, s24
	s_mul_hi_u32 s21, s6, s19
	s_add_i32 s20, s21, s20
	s_mul_i32 s21, s7, s19
	s_add_i32 s25, s20, s21
	s_sub_i32 s22, s13, s25
	s_mul_i32 s20, s6, s19
	s_sub_u32 s12, s12, s20
	s_cselect_b64 s[20:21], -1, 0
	s_cmp_lg_u64 s[20:21], 0
	s_subb_u32 s26, s22, s7
	s_sub_u32 s27, s12, s6
	s_cselect_b64 s[22:23], -1, 0
	s_cmp_lg_u64 s[22:23], 0
	s_subb_u32 s22, s26, 0
	s_cmp_ge_u32 s22, s7
	s_cselect_b32 s23, -1, 0
	s_cmp_ge_u32 s27, s6
	s_cselect_b32 s26, -1, 0
	s_cmp_eq_u32 s22, s7
	s_cselect_b32 s22, s26, s23
	s_add_u32 s23, s19, 1
	s_addc_u32 s26, s24, 0
	s_add_u32 s27, s19, 2
	s_addc_u32 s28, s24, 0
	s_cmp_lg_u32 s22, 0
	s_cselect_b32 s22, s27, s23
	s_cselect_b32 s23, s28, s26
	s_cmp_lg_u64 s[20:21], 0
	s_subb_u32 s13, s13, s25
	s_cmp_ge_u32 s13, s7
	s_cselect_b32 s20, -1, 0
	s_cmp_ge_u32 s12, s6
	s_cselect_b32 s6, -1, 0
	s_cmp_eq_u32 s13, s7
	s_cselect_b32 s6, s6, s20
	s_cmp_lg_u32 s6, 0
	s_cselect_b32 s7, s23, s24
	s_cselect_b32 s6, s22, s19
	s_xor_b64 s[12:13], s[14:15], 0
	s_xor_b64 s[6:7], s[6:7], s[12:13]
	s_sub_u32 s6, s6, s12
	s_load_dwordx4 s[12:15], s[0:1], 0x44
	s_cbranch_execnz .LBB12_3
.LBB12_2:
	v_cvt_f32_u32_e32 v1, s5
	s_sub_i32 s6, 0, s5
	v_rcp_iflag_f32_e32 v1, v1
	s_nop 0
	v_mul_f32_e32 v1, 0x4f7ffffe, v1
	v_cvt_u32_f32_e32 v1, v1
	s_nop 0
	v_readfirstlane_b32 s7, v1
	s_mul_i32 s6, s6, s7
	s_mul_hi_u32 s6, s7, s6
	s_add_i32 s7, s7, s6
	s_mul_hi_u32 s6, s18, s7
	s_waitcnt lgkmcnt(0)
	s_mul_i32 s15, s6, s5
	s_sub_i32 s15, s18, s15
	s_add_i32 s7, s6, 1
	s_sub_i32 s16, s15, s5
	s_cmp_ge_u32 s15, s5
	s_cselect_b32 s6, s7, s6
	s_cselect_b32 s15, s16, s15
	s_add_i32 s7, s6, 1
	s_cmp_ge_u32 s15, s5
	s_cselect_b32 s6, s7, s6
.LBB12_3:
	s_add_i32 s7, s2, 1
	s_mul_hi_i32 s21, s11, s7
	s_mov_b32 s20, 0
	s_cmp_lg_u64 s[20:21], 0
	s_mul_i32 s7, s11, s7
	s_cbranch_scc0 .LBB12_21
; %bb.4:
	s_add_u32 s16, s5, 0
	s_addc_u32 s17, 0, 0
	s_xor_b64 s[18:19], s[16:17], 0
	v_cvt_f32_u32_e32 v1, s18
	v_cvt_f32_u32_e32 v2, s19
	s_waitcnt lgkmcnt(0)
	s_sub_u32 s15, 0, s18
	s_subb_u32 s20, 0, s19
	v_fmamk_f32 v1, v2, 0x4f800000, v1
	v_rcp_f32_e32 v1, v1
	s_nop 0
	v_mul_f32_e32 v1, 0x5f7ffffc, v1
	v_mul_f32_e32 v2, 0x2f800000, v1
	v_trunc_f32_e32 v2, v2
	v_fmamk_f32 v1, v2, 0xcf800000, v1
	v_cvt_u32_f32_e32 v2, v2
	v_cvt_u32_f32_e32 v1, v1
	v_readfirstlane_b32 s24, v2
	v_readfirstlane_b32 s22, v1
	s_mul_i32 s23, s15, s24
	s_mul_hi_u32 s26, s15, s22
	s_mul_i32 s25, s20, s22
	s_add_i32 s23, s26, s23
	s_add_i32 s23, s23, s25
	s_mul_i32 s27, s15, s22
	s_mul_i32 s26, s22, s23
	s_mul_hi_u32 s28, s22, s27
	s_mul_hi_u32 s25, s22, s23
	s_add_u32 s26, s28, s26
	s_addc_u32 s25, 0, s25
	s_mul_hi_u32 s29, s24, s27
	s_mul_i32 s27, s24, s27
	s_add_u32 s26, s26, s27
	s_mul_hi_u32 s28, s24, s23
	s_addc_u32 s25, s25, s29
	s_addc_u32 s26, s28, 0
	s_mul_i32 s23, s24, s23
	s_add_u32 s23, s25, s23
	s_addc_u32 s25, 0, s26
	s_add_u32 s26, s22, s23
	s_cselect_b64 s[22:23], -1, 0
	s_cmp_lg_u64 s[22:23], 0
	s_addc_u32 s24, s24, s25
	s_mul_i32 s22, s15, s24
	s_mul_hi_u32 s23, s15, s26
	s_add_i32 s22, s23, s22
	s_mul_i32 s20, s20, s26
	s_add_i32 s22, s22, s20
	s_mul_i32 s15, s15, s26
	s_mul_hi_u32 s23, s24, s15
	s_mul_i32 s25, s24, s15
	s_mul_i32 s28, s26, s22
	s_mul_hi_u32 s15, s26, s15
	s_mul_hi_u32 s27, s26, s22
	s_add_u32 s15, s15, s28
	s_addc_u32 s27, 0, s27
	s_add_u32 s15, s15, s25
	s_mul_hi_u32 s20, s24, s22
	s_addc_u32 s15, s27, s23
	s_addc_u32 s20, s20, 0
	s_mul_i32 s22, s24, s22
	s_add_u32 s15, s15, s22
	s_addc_u32 s20, 0, s20
	s_add_u32 s15, s26, s15
	s_cselect_b64 s[22:23], -1, 0
	s_cmp_lg_u64 s[22:23], 0
	s_addc_u32 s24, s24, s20
	s_ashr_i32 s22, s21, 31
	s_add_u32 s20, s7, s22
	s_mov_b32 s23, s22
	s_addc_u32 s21, s21, s22
	s_xor_b64 s[20:21], s[20:21], s[22:23]
	s_mul_i32 s26, s20, s24
	s_mul_hi_u32 s27, s20, s15
	s_mul_hi_u32 s25, s20, s24
	s_add_u32 s26, s27, s26
	s_addc_u32 s25, 0, s25
	s_mul_hi_u32 s28, s21, s15
	s_mul_i32 s15, s21, s15
	s_add_u32 s15, s26, s15
	s_mul_hi_u32 s27, s21, s24
	s_addc_u32 s15, s25, s28
	s_addc_u32 s25, s27, 0
	s_mul_i32 s24, s21, s24
	s_add_u32 s15, s15, s24
	s_addc_u32 s28, 0, s25
	s_mul_i32 s24, s18, s28
	s_mul_hi_u32 s25, s18, s15
	s_add_i32 s24, s25, s24
	s_mul_i32 s25, s19, s15
	s_add_i32 s29, s24, s25
	s_sub_i32 s26, s21, s29
	s_mul_i32 s24, s18, s15
	s_sub_u32 s20, s20, s24
	s_cselect_b64 s[24:25], -1, 0
	s_cmp_lg_u64 s[24:25], 0
	s_subb_u32 s30, s26, s19
	s_sub_u32 s31, s20, s18
	s_cselect_b64 s[26:27], -1, 0
	s_cmp_lg_u64 s[26:27], 0
	s_subb_u32 s26, s30, 0
	s_cmp_ge_u32 s26, s19
	s_cselect_b32 s27, -1, 0
	s_cmp_ge_u32 s31, s18
	s_cselect_b32 s30, -1, 0
	s_cmp_eq_u32 s26, s19
	s_cselect_b32 s26, s30, s27
	s_add_u32 s27, s15, 1
	s_addc_u32 s30, s28, 0
	s_add_u32 s31, s15, 2
	s_addc_u32 s33, s28, 0
	s_cmp_lg_u32 s26, 0
	s_cselect_b32 s26, s31, s27
	s_cselect_b32 s27, s33, s30
	s_cmp_lg_u64 s[24:25], 0
	s_subb_u32 s21, s21, s29
	s_cmp_ge_u32 s21, s19
	s_cselect_b32 s24, -1, 0
	s_cmp_ge_u32 s20, s18
	s_cselect_b32 s18, -1, 0
	s_cmp_eq_u32 s21, s19
	s_cselect_b32 s18, s18, s24
	s_cmp_lg_u32 s18, 0
	s_cselect_b32 s19, s27, s28
	s_cselect_b32 s18, s26, s15
	s_xor_b64 s[20:21], s[22:23], 0
	s_xor_b64 s[18:19], s[18:19], s[20:21]
	s_sub_u32 s18, s18, s20
	s_cbranch_execnz .LBB12_6
.LBB12_5:
	v_cvt_f32_u32_e32 v1, s5
	s_waitcnt lgkmcnt(0)
	s_sub_i32 s15, 0, s5
	v_rcp_iflag_f32_e32 v1, v1
	s_nop 0
	v_mul_f32_e32 v1, 0x4f7ffffe, v1
	v_cvt_u32_f32_e32 v1, v1
	s_nop 0
	v_readfirstlane_b32 s16, v1
	s_mul_i32 s15, s15, s16
	s_mul_hi_u32 s15, s16, s15
	s_add_i32 s16, s16, s15
	s_mul_hi_u32 s15, s7, s16
	s_mul_i32 s17, s15, s5
	s_sub_i32 s7, s7, s17
	s_add_i32 s16, s15, 1
	s_sub_i32 s17, s7, s5
	s_cmp_ge_u32 s7, s5
	s_cselect_b32 s15, s16, s15
	s_cselect_b32 s7, s17, s7
	s_add_i32 s16, s15, 1
	s_cmp_ge_u32 s7, s5
	s_cselect_b32 s18, s16, s15
.LBB12_6:
	s_cmp_eq_u32 s6, s18
	s_waitcnt lgkmcnt(0)
	s_mul_hi_u32 s7, s6, s12
	s_cselect_b64 s[16:17], -1, 0
	s_add_i32 s7, s7, s6
	s_lshr_b32 s7, s7, s13
	s_mul_i32 s15, s7, s14
	s_cmp_eq_u32 s15, s6
	s_mul_hi_u32 s15, s18, s12
	s_cselect_b64 s[20:21], -1, 0
	s_add_i32 s15, s15, s18
	s_lshr_b32 s15, s15, s13
	s_cmp_eq_u32 s7, s15
	s_mul_i32 s15, s15, s14
	s_cselect_b64 s[22:23], -1, 0
	s_cmp_lg_u32 s15, s18
	s_cselect_b64 s[18:19], -1, 0
	s_and_b64 s[18:19], s[22:23], s[18:19]
	s_or_b64 s[16:17], s[16:17], s[20:21]
	s_or_b64 s[16:17], s[16:17], s[18:19]
	s_and_b64 vcc, exec, s[16:17]
	s_cbranch_vccnz .LBB12_23
; %bb.7:
	s_load_dwordx8 s[16:23], s[0:1], 0x20
	s_load_dword s24, s[0:1], 0x40
	s_waitcnt lgkmcnt(0)
	s_mul_hi_u32 s15, s6, s16
	s_add_i32 s15, s15, s6
	s_lshr_b32 s15, s15, s17
	s_mul_i32 s16, s15, s18
	s_sub_i32 s16, s6, s16
	s_mul_hi_u32 s17, s16, s19
	s_add_i32 s17, s16, s17
	s_lshr_b32 s20, s17, s20
	s_mul_i32 s17, s20, s21
	s_sub_i32 s16, s16, s17
	;; [unrolled: 5-line block ×3, first 2 shown]
	s_lshl_b32 s22, s17, 3
	s_mul_hi_u32 s17, s16, s12
	s_add_i32 s16, s16, s17
	s_lshr_b32 s21, s16, s13
	s_add_i32 s21, s21, s3
	s_cmp_lt_i32 s21, s8
	s_cselect_b64 s[16:17], -1, 0
	s_add_i32 s22, s22, s4
	s_cmp_lt_i32 s22, s10
	s_cselect_b64 s[18:19], -1, 0
	s_and_b64 s[16:17], s[16:17], s[18:19]
	s_andn2_b64 vcc, exec, s[16:17]
	s_cbranch_vccnz .LBB12_23
; %bb.8:
	s_load_dwordx4 s[16:19], s[0:1], 0x0
	s_mov_b32 s0, 0
	s_lshl_b32 s24, s5, 5
	s_mov_b32 s25, s0
	s_mul_i32 s15, s15, s8
	s_waitcnt lgkmcnt(0)
	v_mov_b32_e32 v2, s16
	v_mov_b32_e32 v3, s17
	s_lshl_b64 s[16:17], s[24:25], 2
	s_add_u32 s16, s18, s16
	s_addc_u32 s17, s19, s17
	s_mul_i32 s20, s20, s10
	s_add_i32 s1, s21, s15
	s_mul_i32 s1, s1, s9
	s_add_i32 s8, s22, s20
	s_add_i32 s8, s8, s1
	v_lshl_or_b32 v4, s8, 9, v0
	v_ashrrev_i32_e32 v5, 31, v4
	v_lshl_add_u64 v[2:3], v[4:5], 2, v[2:3]
	global_load_dword v1, v[2:3], off
	s_add_i32 s1, s3, s2
	v_cvt_f32_u32_e32 v4, s5
	s_lshl_b32 s1, s1, 3
	s_add_i32 s8, s1, s4
	s_ashr_i32 s9, s8, 31
	s_lshl_b64 s[8:9], s[8:9], 3
	v_rcp_iflag_f32_e32 v4, v4
	s_add_u32 s8, s18, s8
	s_addc_u32 s9, s19, s9
	s_load_dwordx2 s[8:9], s[8:9], 0x0
	v_mul_f32_e32 v4, 0x4f7ffffe, v4
	v_cvt_u32_f32_e32 v7, v4
	s_add_i32 s25, s2, -1
	v_lshl_or_b32 v6, s4, 9, v0
	s_waitcnt lgkmcnt(0)
	v_mov_b32_e32 v0, s9
	v_mov_b32_e32 v9, s8
	s_mov_b32 s2, 0x3fb8aa3b
	s_mov_b32 s10, 0xc2ce8ed0
	;; [unrolled: 1-line block ×4, first 2 shown]
	v_mov_b32_e32 v8, 0x7f800000
	s_mul_hi_i32 s1, s25, s11
	s_cmp_lg_u64 s[0:1], 0
	s_mul_i32 s22, s25, s11
	s_cbranch_scc0 .LBB12_19
.LBB12_9:
	s_add_u32 s8, s5, 0
	s_addc_u32 s9, 0, 0
	s_xor_b64 s[8:9], s[8:9], 0
	v_cvt_f32_u32_e32 v4, s8
	v_cvt_f32_u32_e32 v5, s9
	s_sub_u32 s23, 0, s8
	s_subb_u32 s26, 0, s9
	v_fmac_f32_e32 v4, 0x4f800000, v5
	v_rcp_f32_e32 v4, v4
	s_nop 0
	v_mul_f32_e32 v4, 0x5f7ffffc, v4
	v_mul_f32_e32 v5, 0x2f800000, v4
	v_trunc_f32_e32 v5, v5
	v_fmac_f32_e32 v4, 0xcf800000, v5
	v_cvt_u32_f32_e32 v5, v5
	v_cvt_u32_f32_e32 v4, v4
	v_readfirstlane_b32 s27, v5
	v_readfirstlane_b32 s20, v4
	s_mul_i32 s21, s23, s27
	s_mul_hi_u32 s29, s23, s20
	s_mul_i32 s28, s26, s20
	s_add_i32 s21, s29, s21
	s_mul_i32 s30, s23, s20
	s_add_i32 s21, s21, s28
	s_mul_i32 s29, s20, s21
	s_mul_hi_u32 s31, s20, s30
	s_mul_hi_u32 s28, s20, s21
	s_add_u32 s29, s31, s29
	s_addc_u32 s28, 0, s28
	s_mul_hi_u32 s33, s27, s30
	s_mul_i32 s30, s27, s30
	s_add_u32 s29, s29, s30
	s_mul_hi_u32 s31, s27, s21
	s_addc_u32 s28, s28, s33
	s_addc_u32 s29, s31, 0
	s_mul_i32 s21, s27, s21
	s_add_u32 s21, s28, s21
	s_addc_u32 s28, 0, s29
	s_add_u32 s29, s20, s21
	s_cselect_b64 s[20:21], -1, 0
	s_cmp_lg_u64 s[20:21], 0
	s_addc_u32 s27, s27, s28
	s_mul_i32 s20, s23, s27
	s_mul_hi_u32 s21, s23, s29
	s_add_i32 s20, s21, s20
	s_mul_i32 s26, s26, s29
	s_add_i32 s20, s20, s26
	s_mul_i32 s23, s23, s29
	s_mul_hi_u32 s26, s27, s23
	s_mul_i32 s28, s27, s23
	s_mul_i32 s31, s29, s20
	s_mul_hi_u32 s23, s29, s23
	s_mul_hi_u32 s30, s29, s20
	s_add_u32 s23, s23, s31
	s_addc_u32 s30, 0, s30
	s_add_u32 s23, s23, s28
	s_mul_hi_u32 s21, s27, s20
	s_addc_u32 s23, s30, s26
	s_addc_u32 s21, s21, 0
	s_mul_i32 s20, s27, s20
	s_add_u32 s20, s23, s20
	s_addc_u32 s23, 0, s21
	s_add_u32 s28, s29, s20
	s_cselect_b64 s[20:21], -1, 0
	s_cmp_lg_u64 s[20:21], 0
	s_addc_u32 s23, s27, s23
	s_ashr_i32 s20, s1, 31
	s_add_u32 s26, s22, s20
	s_mov_b32 s21, s20
	s_addc_u32 s27, s1, s20
	s_xor_b64 s[26:27], s[26:27], s[20:21]
	s_mul_i32 s29, s26, s23
	s_mul_hi_u32 s30, s26, s28
	s_mul_hi_u32 s1, s26, s23
	s_add_u32 s29, s30, s29
	s_addc_u32 s1, 0, s1
	s_mul_hi_u32 s31, s27, s28
	s_mul_i32 s28, s27, s28
	s_add_u32 s28, s29, s28
	s_mul_hi_u32 s30, s27, s23
	s_addc_u32 s1, s1, s31
	s_addc_u32 s28, s30, 0
	s_mul_i32 s23, s27, s23
	s_add_u32 s1, s1, s23
	s_addc_u32 s23, 0, s28
	s_mul_i32 s28, s8, s23
	s_mul_hi_u32 s29, s8, s1
	s_add_i32 s28, s29, s28
	s_mul_i32 s29, s9, s1
	s_add_i32 s33, s28, s29
	s_sub_i32 s30, s27, s33
	s_mul_i32 s28, s8, s1
	s_sub_u32 s26, s26, s28
	s_cselect_b64 s[28:29], -1, 0
	s_cmp_lg_u64 s[28:29], 0
	s_subb_u32 s34, s30, s9
	s_sub_u32 s35, s26, s8
	s_cselect_b64 s[30:31], -1, 0
	s_cmp_lg_u64 s[30:31], 0
	s_subb_u32 s30, s34, 0
	s_cmp_ge_u32 s30, s9
	s_cselect_b32 s31, -1, 0
	s_cmp_ge_u32 s35, s8
	s_cselect_b32 s34, -1, 0
	s_cmp_eq_u32 s30, s9
	s_cselect_b32 s30, s34, s31
	s_add_u32 s31, s1, 1
	s_addc_u32 s34, s23, 0
	s_add_u32 s35, s1, 2
	s_addc_u32 s36, s23, 0
	s_cmp_lg_u32 s30, 0
	s_cselect_b32 s30, s35, s31
	s_cselect_b32 s31, s36, s34
	s_cmp_lg_u64 s[28:29], 0
	s_subb_u32 s27, s27, s33
	s_cmp_ge_u32 s27, s9
	s_cselect_b32 s28, -1, 0
	s_cmp_ge_u32 s26, s8
	s_cselect_b32 s8, -1, 0
	s_cmp_eq_u32 s27, s9
	s_cselect_b32 s8, s8, s28
	s_cmp_lg_u32 s8, 0
	s_cselect_b32 s9, s31, s23
	s_cselect_b32 s8, s30, s1
	s_xor_b64 s[20:21], s[20:21], 0
	s_xor_b64 s[8:9], s[8:9], s[20:21]
	s_sub_u32 s20, s8, s20
	s_cbranch_execnz .LBB12_11
.LBB12_10:
	s_sub_i32 s1, 0, s5
	v_readfirstlane_b32 s8, v7
	s_mul_i32 s1, s1, s8
	s_mul_hi_u32 s1, s8, s1
	s_add_i32 s8, s8, s1
	s_mul_hi_u32 s1, s22, s8
	s_mul_i32 s9, s1, s5
	s_sub_i32 s9, s22, s9
	s_add_i32 s8, s1, 1
	s_sub_i32 s20, s9, s5
	s_cmp_ge_u32 s9, s5
	s_cselect_b32 s1, s8, s1
	s_cselect_b32 s9, s20, s9
	s_add_i32 s8, s1, 1
	s_cmp_ge_u32 s9, s5
	s_cselect_b32 s20, s8, s1
.LBB12_11:
	s_cmp_lg_u32 s6, s20
	s_cbranch_scc0 .LBB12_15
; %bb.12:
	s_add_i32 s21, s25, s3
	s_add_i32 s1, s21, s5
	s_lshl_b32 s1, s1, 3
	s_add_i32 s8, s1, s4
	s_mov_b32 s9, s0
	s_lshl_b64 s[8:9], s[8:9], 3
	s_add_u32 s22, s18, s8
	s_mul_hi_u32 s1, s20, s12
	s_addc_u32 s23, s19, s9
	s_add_i32 s1, s1, s20
	s_lshr_b32 s1, s1, s13
	s_mul_i32 s8, s1, s14
	s_cmp_eq_u32 s8, s20
	s_cselect_b64 s[8:9], -1, 0
	s_cmp_lt_u32 s1, s7
	s_cselect_b64 s[26:27], -1, 0
	s_or_b64 s[26:27], s[26:27], s[8:9]
	s_mov_b64 s[8:9], -1
	s_and_b64 vcc, exec, s[26:27]
	s_mov_b32 s1, s25
	s_mov_b32 s26, s6
	s_cbranch_vccnz .LBB12_14
; %bb.13:
	s_add_i32 s1, s25, -1
	s_mov_b64 s[8:9], 0
	s_mov_b32 s26, s20
.LBB12_14:
	v_lshl_add_u32 v4, s21, 12, v6
	v_ashrrev_i32_e32 v5, 31, v4
	v_lshl_add_u64 v[4:5], v[4:5], 2, s[16:17]
	global_load_dword v5, v[4:5], off
	s_load_dwordx2 s[20:21], s[22:23], 0x0
	v_max_f32_e32 v4, v9, v9
	s_waitcnt lgkmcnt(0)
	v_max_f32_e64 v10, s20, s20
	v_max_f32_e32 v10, v4, v10
	v_sub_f32_e32 v11, v9, v10
	v_sub_f32_e32 v13, s20, v10
	v_mul_f32_e32 v4, 0x3fb8aa3b, v11
	v_mul_f32_e32 v12, 0x3fb8aa3b, v13
	v_fma_f32 v14, v11, s2, -v4
	v_rndne_f32_e32 v15, v4
	v_fma_f32 v16, v13, s2, -v12
	v_rndne_f32_e32 v17, v12
	v_fmac_f32_e32 v14, 0x32a5705f, v11
	v_sub_f32_e32 v4, v4, v15
	v_fmac_f32_e32 v16, 0x32a5705f, v13
	v_sub_f32_e32 v12, v12, v17
	v_add_f32_e32 v4, v4, v14
	v_cvt_i32_f32_e32 v15, v15
	v_add_f32_e32 v12, v12, v16
	v_exp_f32_e32 v14, v4
	v_cvt_i32_f32_e32 v17, v17
	v_exp_f32_e32 v12, v12
	v_cmp_ngt_f32_e32 vcc, s10, v11
	v_ldexp_f32 v14, v14, v15
	v_mov_b32_e32 v4, s21
	v_ldexp_f32 v12, v12, v17
	v_cndmask_b32_e32 v14, 0, v14, vcc
	v_cmp_ngt_f32_e32 vcc, s10, v13
	s_nop 1
	v_cndmask_b32_e32 v12, 0, v12, vcc
	v_cmp_nlt_f32_e32 vcc, s15, v11
	s_nop 1
	v_cndmask_b32_e32 v14, v8, v14, vcc
	v_cmp_nlt_f32_e32 vcc, s15, v13
	s_nop 1
	v_cndmask_b32_e32 v15, v8, v12, vcc
	v_cmp_le_f32_e32 vcc, s24, v11
	s_nop 1
	v_cndmask_b32_e32 v12, 0, v14, vcc
	v_cmp_le_f32_e32 vcc, s24, v13
	s_nop 1
	v_cndmask_b32_e32 v14, 0, v15, vcc
	s_waitcnt vmcnt(0)
	v_pk_mul_f32 v[4:5], v[4:5], v[14:15] op_sel_hi:[1,0]
	s_nop 0
	v_pk_fma_f32 v[4:5], v[0:1], v[12:13], v[4:5] op_sel_hi:[1,0,1]
	s_cbranch_execz .LBB12_16
	s_branch .LBB12_17
.LBB12_15:
                                        ; implicit-def: $vgpr4_vgpr5
                                        ; implicit-def: $sgpr8_sgpr9
                                        ; implicit-def: $vgpr10
                                        ; implicit-def: $sgpr1
                                        ; implicit-def: $sgpr26
.LBB12_16:
	s_add_i32 s1, s25, -1
	s_mov_b64 s[8:9], 0
	s_mov_b32 s26, s6
	v_mov_b32_e32 v10, v9
	s_waitcnt vmcnt(0)
	v_mov_b64_e32 v[4:5], v[0:1]
.LBB12_17:
	s_andn2_b64 vcc, exec, s[8:9]
	s_cbranch_vccz .LBB12_22
; %bb.18:
	s_mov_b32 s6, s26
	s_mov_b32 s25, s1
	v_mov_b32_e32 v9, v10
	s_waitcnt vmcnt(0)
	v_mov_b64_e32 v[0:1], v[4:5]
	s_mul_hi_i32 s1, s25, s11
	s_cmp_lg_u64 s[0:1], 0
	s_mul_i32 s22, s25, s11
	s_cbranch_scc1 .LBB12_9
.LBB12_19:
                                        ; implicit-def: $sgpr20_sgpr21
	s_branch .LBB12_10
.LBB12_20:
                                        ; implicit-def: $sgpr6_sgpr7
	s_load_dwordx4 s[12:15], s[0:1], 0x44
	s_branch .LBB12_2
.LBB12_21:
                                        ; implicit-def: $sgpr18_sgpr19
	s_branch .LBB12_5
.LBB12_22:
	v_div_scale_f32 v0, s[0:1], v4, v4, v5
	s_waitcnt vmcnt(0)
	v_rcp_f32_e32 v1, v0
	v_div_scale_f32 v6, vcc, v5, v4, v5
	v_fma_f32 v7, -v0, v1, 1.0
	v_fmac_f32_e32 v1, v7, v1
	v_mul_f32_e32 v7, v6, v1
	v_fma_f32 v8, -v0, v7, v6
	v_fmac_f32_e32 v7, v8, v1
	v_fma_f32 v0, -v0, v7, v6
	v_div_fmas_f32 v0, v0, v1, v7
	v_div_fixup_f32 v0, v0, v4, v5
	global_store_dword v[2:3], v0, off
.LBB12_23:
	s_endpgm
	.section	.rodata,"a",@progbits
	.p2align	6, 0x0
	.amdhsa_kernel _ZL33flash_attn_stream_k_fixup_generalILi512ELi1ELi8EEvPfPK15HIP_vector_typeIfLj2EEiiiiS1_IjLj3EES5_S5_S5_
		.amdhsa_group_segment_fixed_size 0
		.amdhsa_private_segment_fixed_size 0
		.amdhsa_kernarg_size 336
		.amdhsa_user_sgpr_count 2
		.amdhsa_user_sgpr_dispatch_ptr 0
		.amdhsa_user_sgpr_queue_ptr 0
		.amdhsa_user_sgpr_kernarg_segment_ptr 1
		.amdhsa_user_sgpr_dispatch_id 0
		.amdhsa_user_sgpr_kernarg_preload_length 0
		.amdhsa_user_sgpr_kernarg_preload_offset 0
		.amdhsa_user_sgpr_private_segment_size 0
		.amdhsa_uses_dynamic_stack 0
		.amdhsa_enable_private_segment 0
		.amdhsa_system_sgpr_workgroup_id_x 1
		.amdhsa_system_sgpr_workgroup_id_y 1
		.amdhsa_system_sgpr_workgroup_id_z 1
		.amdhsa_system_sgpr_workgroup_info 0
		.amdhsa_system_vgpr_workitem_id 0
		.amdhsa_next_free_vgpr 18
		.amdhsa_next_free_sgpr 37
		.amdhsa_accum_offset 20
		.amdhsa_reserve_vcc 1
		.amdhsa_float_round_mode_32 0
		.amdhsa_float_round_mode_16_64 0
		.amdhsa_float_denorm_mode_32 3
		.amdhsa_float_denorm_mode_16_64 3
		.amdhsa_dx10_clamp 1
		.amdhsa_ieee_mode 1
		.amdhsa_fp16_overflow 0
		.amdhsa_tg_split 0
		.amdhsa_exception_fp_ieee_invalid_op 0
		.amdhsa_exception_fp_denorm_src 0
		.amdhsa_exception_fp_ieee_div_zero 0
		.amdhsa_exception_fp_ieee_overflow 0
		.amdhsa_exception_fp_ieee_underflow 0
		.amdhsa_exception_fp_ieee_inexact 0
		.amdhsa_exception_int_div_zero 0
	.end_amdhsa_kernel
	.section	.text._ZL33flash_attn_stream_k_fixup_generalILi512ELi1ELi8EEvPfPK15HIP_vector_typeIfLj2EEiiiiS1_IjLj3EES5_S5_S5_,"axG",@progbits,_ZL33flash_attn_stream_k_fixup_generalILi512ELi1ELi8EEvPfPK15HIP_vector_typeIfLj2EEiiiiS1_IjLj3EES5_S5_S5_,comdat
.Lfunc_end12:
	.size	_ZL33flash_attn_stream_k_fixup_generalILi512ELi1ELi8EEvPfPK15HIP_vector_typeIfLj2EEiiiiS1_IjLj3EES5_S5_S5_, .Lfunc_end12-_ZL33flash_attn_stream_k_fixup_generalILi512ELi1ELi8EEvPfPK15HIP_vector_typeIfLj2EEiiiiS1_IjLj3EES5_S5_S5_
                                        ; -- End function
	.set _ZL33flash_attn_stream_k_fixup_generalILi512ELi1ELi8EEvPfPK15HIP_vector_typeIfLj2EEiiiiS1_IjLj3EES5_S5_S5_.num_vgpr, 18
	.set _ZL33flash_attn_stream_k_fixup_generalILi512ELi1ELi8EEvPfPK15HIP_vector_typeIfLj2EEiiiiS1_IjLj3EES5_S5_S5_.num_agpr, 0
	.set _ZL33flash_attn_stream_k_fixup_generalILi512ELi1ELi8EEvPfPK15HIP_vector_typeIfLj2EEiiiiS1_IjLj3EES5_S5_S5_.numbered_sgpr, 37
	.set _ZL33flash_attn_stream_k_fixup_generalILi512ELi1ELi8EEvPfPK15HIP_vector_typeIfLj2EEiiiiS1_IjLj3EES5_S5_S5_.num_named_barrier, 0
	.set _ZL33flash_attn_stream_k_fixup_generalILi512ELi1ELi8EEvPfPK15HIP_vector_typeIfLj2EEiiiiS1_IjLj3EES5_S5_S5_.private_seg_size, 0
	.set _ZL33flash_attn_stream_k_fixup_generalILi512ELi1ELi8EEvPfPK15HIP_vector_typeIfLj2EEiiiiS1_IjLj3EES5_S5_S5_.uses_vcc, 1
	.set _ZL33flash_attn_stream_k_fixup_generalILi512ELi1ELi8EEvPfPK15HIP_vector_typeIfLj2EEiiiiS1_IjLj3EES5_S5_S5_.uses_flat_scratch, 0
	.set _ZL33flash_attn_stream_k_fixup_generalILi512ELi1ELi8EEvPfPK15HIP_vector_typeIfLj2EEiiiiS1_IjLj3EES5_S5_S5_.has_dyn_sized_stack, 0
	.set _ZL33flash_attn_stream_k_fixup_generalILi512ELi1ELi8EEvPfPK15HIP_vector_typeIfLj2EEiiiiS1_IjLj3EES5_S5_S5_.has_recursion, 0
	.set _ZL33flash_attn_stream_k_fixup_generalILi512ELi1ELi8EEvPfPK15HIP_vector_typeIfLj2EEiiiiS1_IjLj3EES5_S5_S5_.has_indirect_call, 0
	.section	.AMDGPU.csdata,"",@progbits
; Kernel info:
; codeLenInByte = 2924
; TotalNumSgprs: 43
; NumVgprs: 18
; NumAgprs: 0
; TotalNumVgprs: 18
; ScratchSize: 0
; MemoryBound: 0
; FloatMode: 240
; IeeeMode: 1
; LDSByteSize: 0 bytes/workgroup (compile time only)
; SGPRBlocks: 5
; VGPRBlocks: 2
; NumSGPRsForWavesPerEU: 43
; NumVGPRsForWavesPerEU: 18
; AccumOffset: 20
; Occupancy: 8
; WaveLimiterHint : 0
; COMPUTE_PGM_RSRC2:SCRATCH_EN: 0
; COMPUTE_PGM_RSRC2:USER_SGPR: 2
; COMPUTE_PGM_RSRC2:TRAP_HANDLER: 0
; COMPUTE_PGM_RSRC2:TGID_X_EN: 1
; COMPUTE_PGM_RSRC2:TGID_Y_EN: 1
; COMPUTE_PGM_RSRC2:TGID_Z_EN: 1
; COMPUTE_PGM_RSRC2:TIDIG_COMP_CNT: 0
; COMPUTE_PGM_RSRC3_GFX90A:ACCUM_OFFSET: 4
; COMPUTE_PGM_RSRC3_GFX90A:TG_SPLIT: 0
	.section	.text._ZL15flash_attn_tileILi512ELi512ELi8ELi4ELb0EEvPKcS1_S1_S1_S1_PKiPfP15HIP_vector_typeIfLj2EEffffjfiS5_IjLj3EEiiiiiiiiiiiliiliiiiil,"axG",@progbits,_ZL15flash_attn_tileILi512ELi512ELi8ELi4ELb0EEvPKcS1_S1_S1_S1_PKiPfP15HIP_vector_typeIfLj2EEffffjfiS5_IjLj3EEiiiiiiiiiiiliiliiiiil,comdat
	.globl	_ZL15flash_attn_tileILi512ELi512ELi8ELi4ELb0EEvPKcS1_S1_S1_S1_PKiPfP15HIP_vector_typeIfLj2EEffffjfiS5_IjLj3EEiiiiiiiiiiiliiliiiiil ; -- Begin function _ZL15flash_attn_tileILi512ELi512ELi8ELi4ELb0EEvPKcS1_S1_S1_S1_PKiPfP15HIP_vector_typeIfLj2EEffffjfiS5_IjLj3EEiiiiiiiiiiiliiliiiiil
	.p2align	8
	.type	_ZL15flash_attn_tileILi512ELi512ELi8ELi4ELb0EEvPKcS1_S1_S1_S1_PKiPfP15HIP_vector_typeIfLj2EEffffjfiS5_IjLj3EEiiiiiiiiiiiliiliiiiil,@function
_ZL15flash_attn_tileILi512ELi512ELi8ELi4ELb0EEvPKcS1_S1_S1_S1_PKiPfP15HIP_vector_typeIfLj2EEffffjfiS5_IjLj3EEiiiiiiiiiiiliiliiiiil: ; @_ZL15flash_attn_tileILi512ELi512ELi8ELi4ELb0EEvPKcS1_S1_S1_S1_PKiPfP15HIP_vector_typeIfLj2EEffffjfiS5_IjLj3EEiiiiiiiiiiiliiliiiiil
; %bb.0:
	s_load_dwordx4 s[20:23], s[0:1], 0x5c
	s_load_dwordx2 s[24:25], s[0:1], 0x80
	s_load_dwordx2 s[28:29], s[0:1], 0xb8
	s_mov_b64 s[26:27], 0
	s_waitcnt lgkmcnt(0)
	s_ashr_i32 s5, s23, 31
	s_lshr_b32 s5, s5, 30
	s_add_i32 s5, s23, s5
	s_ashr_i32 s5, s5, 2
	v_cvt_f32_u32_e32 v1, s5
	s_sub_i32 s6, 0, s5
	v_rcp_iflag_f32_e32 v1, v1
	s_nop 0
	v_mul_f32_e32 v1, 0x4f7ffffe, v1
	v_cvt_u32_f32_e32 v1, v1
	s_nop 0
	v_readfirstlane_b32 s7, v1
	s_mul_i32 s6, s6, s7
	s_mul_hi_u32 s6, s7, s6
	s_add_i32 s7, s7, s6
	s_mul_hi_u32 s6, s4, s7
	s_mul_i32 s7, s6, s5
	s_sub_i32 s7, s4, s7
	s_add_i32 s8, s6, 1
	s_sub_i32 s9, s7, s5
	s_cmp_ge_u32 s7, s5
	s_cselect_b32 s6, s8, s6
	s_cselect_b32 s7, s9, s7
	s_add_i32 s8, s6, 1
	s_cmp_ge_u32 s7, s5
	s_cselect_b32 s30, s8, s6
	s_abs_i32 s5, s25
	v_cvt_f32_u32_e32 v1, s5
	s_lshl_b32 s4, s4, 2
	s_mul_i32 s8, s30, s23
	s_xor_b32 s6, s23, s25
	v_rcp_iflag_f32_e32 v1, v1
	s_sub_i32 s9, 0, s5
	s_sub_i32 s25, s4, s8
	s_abs_i32 s7, s23
	v_mul_f32_e32 v1, 0x4f7ffffe, v1
	v_cvt_u32_f32_e32 v1, v1
	s_ashr_i32 s6, s6, 31
	v_readfirstlane_b32 s4, v1
	s_mul_i32 s9, s9, s4
	s_mul_hi_u32 s8, s4, s9
	s_add_i32 s4, s4, s8
	s_mul_hi_u32 s4, s7, s4
	s_mul_i32 s8, s4, s5
	s_sub_i32 s7, s7, s8
	s_add_i32 s9, s4, 1
	s_sub_i32 s8, s7, s5
	s_cmp_ge_u32 s7, s5
	s_cselect_b32 s4, s9, s4
	s_cselect_b32 s7, s8, s7
	s_add_i32 s8, s4, 1
	s_cmp_ge_u32 s7, s5
	s_cselect_b32 s4, s8, s4
	s_xor_b32 s4, s4, s6
	s_sub_i32 s33, s4, s6
	s_abs_i32 s31, s33
	v_cvt_f32_u32_e32 v1, s31
	s_load_dwordx16 s[4:19], s[0:1], 0x0
	v_rcp_iflag_f32_e32 v1, v1
	s_waitcnt lgkmcnt(0)
	s_cmp_eq_u64 s[10:11], 0
	v_mul_f32_e32 v1, 0x4f7ffffe, v1
	v_cvt_u32_f32_e32 v1, v1
	s_nop 0
	v_readfirstlane_b32 s34, v1
	s_cbranch_scc1 .LBB13_2
; %bb.1:
	s_abs_i32 s28, s28
	v_cvt_f32_u32_e32 v1, s28
	s_sub_i32 s37, 0, s28
	s_abs_i32 s36, s30
	s_ashr_i32 s35, s30, 31
	v_rcp_iflag_f32_e32 v1, v1
	s_load_dwordx2 s[26:27], s[0:1], 0xc8
	v_mul_f32_e32 v1, 0x4f7ffffe, v1
	v_cvt_u32_f32_e32 v1, v1
	s_nop 0
	v_readfirstlane_b32 s38, v1
	s_mul_i32 s37, s37, s38
	s_mul_hi_u32 s37, s38, s37
	s_add_i32 s38, s38, s37
	s_mul_hi_u32 s37, s36, s38
	s_mul_i32 s37, s37, s28
	s_sub_i32 s36, s36, s37
	s_sub_i32 s37, s36, s28
	s_cmp_ge_u32 s36, s28
	s_cselect_b32 s36, s37, s36
	s_sub_i32 s37, s36, s28
	s_cmp_ge_u32 s36, s28
	s_cselect_b32 s28, s37, s36
	s_xor_b32 s28, s28, s35
	s_sub_i32 s28, s28, s35
	s_ashr_i32 s35, s28, 31
	s_waitcnt lgkmcnt(0)
	s_mul_hi_u32 s36, s26, s28
	s_mul_i32 s35, s26, s35
	s_mul_i32 s27, s27, s28
	s_add_i32 s35, s36, s35
	s_add_i32 s35, s35, s27
	s_mul_i32 s26, s26, s28
	s_add_u32 s26, s10, s26
	s_addc_u32 s27, s11, s35
.LBB13_2:
	s_load_dwordx4 s[36:39], s[0:1], 0x70
	v_lshrrev_b32_e32 v2, 10, v0
	v_bfe_u32 v2, v2, 1, 9
	v_lshl_add_u32 v13, s2, 3, v2
	v_mul_hi_u32 v2, s20, v13
	s_waitcnt lgkmcnt(0)
	s_mul_i32 s10, s30, s38
	s_ashr_i32 s28, s10, 31
	s_mul_i32 s11, s25, s37
	s_add_u32 s4, s4, s10
	s_addc_u32 s5, s5, s28
	s_ashr_i32 s10, s11, 31
	v_add_u32_e32 v2, v13, v2
	s_add_u32 s4, s4, s11
	v_lshrrev_b32_e32 v2, s21, v2
	s_addc_u32 s5, s5, s10
	s_ashr_i32 s11, s37, 31
	s_mov_b32 s10, s37
	v_mul_lo_u32 v2, v2, s22
	s_ashr_i32 s37, s36, 31
	v_sub_u32_e32 v2, v13, v2
	s_lshr_b64 s[20:21], s[36:37], 2
	v_mad_u64_u32 v[4:5], s[20:21], s20, v2, 0
	s_lshr_b64 s[38:39], s[10:11], 2
	v_mov_b32_e32 v6, v5
	s_lshr_b32 s10, s37, 2
	v_bfe_u32 v1, v0, 10, 10
	v_mad_u64_u32 v[6:7], s[20:21], s10, v2, v[6:7]
	v_lshlrev_b32_e32 v3, 1, v1
	v_mov_b32_e32 v5, v6
	v_and_b32_e32 v12, 0x3ff, v0
	v_mov_b32_e32 v7, 0
	v_lshl_add_u64 v[4:5], v[4:5], 2, s[4:5]
	v_lshlrev_b32_e32 v6, 4, v12
	v_and_b32_e32 v28, 2, v3
	s_lshr_b32 s10, s11, 2
	v_lshl_add_u64 v[22:23], v[4:5], 0, v[6:7]
	v_mul_lo_u32 v0, s10, v28
	v_mad_u64_u32 v[4:5], s[4:5], s38, v28, 0
	v_or_b32_e32 v5, v5, v0
	v_lshl_add_u64 v[24:25], v[4:5], 2, v[22:23]
	global_load_dwordx4 v[4:7], v[24:25], off
	global_load_dwordx4 v[8:11], v[24:25], off offset:512
	global_load_dwordx4 v[14:17], v[24:25], off offset:1024
	;; [unrolled: 1-line block ×3, first 2 shown]
	v_bitop3_b32 v26, v3, 3, 1 bitop3:0xc8
	v_mad_u64_u32 v[24:25], s[4:5], s38, v26, 0
	v_mov_b32_e32 v0, v25
	v_mad_u64_u32 v[26:27], s[4:5], s10, v26, v[0:1]
	v_mov_b32_e32 v25, v26
	v_lshl_add_u64 v[26:27], v[24:25], 2, v[22:23]
	global_load_dwordx4 v[22:25], v[26:27], off
	global_load_dwordx4 v[32:35], v[26:27], off offset:512
	global_load_dwordx4 v[36:39], v[26:27], off offset:1024
	;; [unrolled: 1-line block ×3, first 2 shown]
	s_load_dword s4, s[0:1], 0x40
	v_lshlrev_b32_e32 v0, 3, v12
	v_lshlrev_b32_e32 v30, 11, v1
	v_add_u32_e32 v29, v0, v30
	v_or_b32_e32 v3, 1, v3
	v_lshl_add_u32 v3, v3, 10, v0
	s_cmp_eq_u64 s[14:15], 0
	s_waitcnt vmcnt(7) lgkmcnt(0)
	v_fma_mixlo_f16 v4, s4, v4, 0
	v_fma_mixlo_f16 v5, s4, v5, 0
	;; [unrolled: 1-line block ×4, first 2 shown]
	s_waitcnt vmcnt(6)
	v_fma_mixlo_f16 v8, s4, v8, 0
	v_fma_mixlo_f16 v9, s4, v9, 0
	;; [unrolled: 1-line block ×4, first 2 shown]
	v_lshlrev_b32_e32 v5, 16, v5
	v_and_b32_e32 v4, 0xffff, v4
	v_lshlrev_b32_e32 v7, 16, v7
	v_and_b32_e32 v6, 0xffff, v6
	;; [unrolled: 2-line block ×3, first 2 shown]
	s_waitcnt vmcnt(5)
	v_fma_mixlo_f16 v14, s4, v14, 0
	v_fma_mixlo_f16 v15, s4, v15, 0
	s_waitcnt vmcnt(4)
	v_fma_mixlo_f16 v18, s4, v18, 0
	v_fma_mixlo_f16 v19, s4, v19, 0
	v_lshlrev_b32_e32 v11, 16, v11
	v_and_b32_e32 v10, 0xffff, v10
	v_or_b32_e32 v4, v5, v4
	v_or3_b32 v5, v7, v6, 0
	v_or_b32_e32 v6, v9, v8
	v_fma_mixlo_f16 v16, s4, v16, 0
	v_fma_mixlo_f16 v17, s4, v17, 0
	;; [unrolled: 1-line block ×4, first 2 shown]
	v_lshlrev_b32_e32 v15, 16, v15
	v_and_b32_e32 v14, 0xffff, v14
	v_lshlrev_b32_e32 v19, 16, v19
	v_and_b32_e32 v18, 0xffff, v18
	v_or3_b32 v7, v11, v10, 0
	v_or3_b32 v4, 0, 0, v4
	;; [unrolled: 1-line block ×3, first 2 shown]
	v_lshlrev_b32_e32 v17, 16, v17
	v_and_b32_e32 v16, 0xffff, v16
	v_or_b32_e32 v8, v15, v14
	v_or_b32_e32 v10, v19, v18
	ds_write2_b64 v29, v[4:5], v[6:7] offset1:32
	v_lshlrev_b32_e32 v4, 16, v21
	v_and_b32_e32 v5, 0xffff, v20
	v_or3_b32 v9, v17, v16, 0
	v_or3_b32 v8, 0, 0, v8
	;; [unrolled: 1-line block ×4, first 2 shown]
	ds_write2_b64 v29, v[8:9], v[4:5] offset0:64 offset1:96
	s_waitcnt vmcnt(3)
	v_fma_mixlo_f16 v4, s4, v22, 0
	v_fma_mixlo_f16 v5, s4, v23, 0
	v_lshlrev_b32_e32 v5, 16, v5
	v_and_b32_e32 v4, 0xffff, v4
	v_or_b32_e32 v4, v5, v4
	v_fma_mixlo_f16 v5, s4, v24, 0
	v_fma_mixlo_f16 v6, s4, v25, 0
	v_lshlrev_b32_e32 v6, 16, v6
	v_and_b32_e32 v5, 0xffff, v5
	v_or3_b32 v5, v6, v5, 0
	s_waitcnt vmcnt(2)
	v_fma_mixlo_f16 v6, s4, v32, 0
	v_fma_mixlo_f16 v7, s4, v33, 0
	v_lshlrev_b32_e32 v7, 16, v7
	v_and_b32_e32 v6, 0xffff, v6
	v_or_b32_e32 v6, v7, v6
	v_fma_mixlo_f16 v7, s4, v34, 0
	v_fma_mixlo_f16 v8, s4, v35, 0
	v_lshlrev_b32_e32 v8, 16, v8
	v_and_b32_e32 v7, 0xffff, v7
	v_or3_b32 v4, 0, 0, v4
	v_or3_b32 v7, v8, v7, 0
	;; [unrolled: 1-line block ×3, first 2 shown]
	ds_write2_b64 v3, v[4:5], v[6:7] offset1:32
	s_waitcnt vmcnt(1)
	v_fma_mixlo_f16 v4, s4, v36, 0
	v_fma_mixlo_f16 v5, s4, v37, 0
	v_lshlrev_b32_e32 v5, 16, v5
	v_and_b32_e32 v4, 0xffff, v4
	v_or_b32_e32 v4, v5, v4
	v_fma_mixlo_f16 v5, s4, v38, 0
	v_fma_mixlo_f16 v6, s4, v39, 0
	v_lshlrev_b32_e32 v6, 16, v6
	v_and_b32_e32 v5, 0xffff, v5
	v_or3_b32 v5, v6, v5, 0
	s_waitcnt vmcnt(0)
	v_fma_mixlo_f16 v6, s4, v40, 0
	v_fma_mixlo_f16 v7, s4, v41, 0
	v_lshlrev_b32_e32 v7, 16, v7
	v_and_b32_e32 v6, 0xffff, v6
	v_or_b32_e32 v6, v7, v6
	v_fma_mixlo_f16 v7, s4, v42, 0
	v_fma_mixlo_f16 v8, s4, v43, 0
	v_lshlrev_b32_e32 v8, 16, v8
	v_and_b32_e32 v7, 0xffff, v7
	v_or3_b32 v4, 0, 0, v4
	v_or3_b32 v7, v8, v7, 0
	v_or3_b32 v6, 0, 0, v6
	ds_write2_b64 v3, v[4:5], v[6:7] offset0:64 offset1:96
	s_waitcnt lgkmcnt(0)
	s_barrier
	s_cbranch_scc1 .LBB13_4
; %bb.3:
	s_load_dword s4, s[0:1], 0xd0
	s_mov_b32 s5, 0
	s_waitcnt lgkmcnt(0)
	s_mul_i32 s4, s4, s30
	s_add_i32 s4, s4, s2
	s_lshl_b64 s[4:5], s[4:5], 2
	s_add_u32 s4, s14, s4
	s_addc_u32 s5, s15, s5
	s_load_dword s24, s[4:5], 0x0
.LBB13_4:
	s_lshl_b32 s2, s3, 7
	v_lshlrev_b32_e32 v29, 2, v12
	s_waitcnt lgkmcnt(0)
	s_cmp_lt_i32 s2, s24
	v_mbcnt_lo_u32_b32 v3, -1, 0
	s_cbranch_scc1 .LBB13_7
; %bb.5:
	v_mbcnt_hi_u32_b32 v23, -1, v3
	v_and_b32_e32 v4, 0x60, v23
	v_add_u32_e32 v31, 32, v4
	v_xor_b32_e32 v36, 16, v23
	v_xor_b32_e32 v35, 8, v23
	;; [unrolled: 1-line block ×5, first 2 shown]
	s_cbranch_execz .LBB13_8
; %bb.6:
	v_mov_b32_e32 v15, 0
	v_mov_b32_e32 v27, 0xfeffffff
	;; [unrolled: 1-line block ×20, first 2 shown]
	s_branch .LBB13_10
.LBB13_7:
                                        ; implicit-def: $vgpr23
                                        ; implicit-def: $vgpr31
                                        ; implicit-def: $vgpr36
                                        ; implicit-def: $vgpr35
                                        ; implicit-def: $vgpr34
                                        ; implicit-def: $vgpr33
                                        ; implicit-def: $vgpr32
.LBB13_8:
	s_sub_i32 s4, 0, s31
	s_mul_i32 s4, s4, s34
	s_mul_hi_u32 s4, s34, s4
	s_add_i32 s34, s34, s4
	s_load_dwordx2 s[4:5], s[0:1], 0x8c
	s_load_dwordx4 s[36:39], s[0:1], 0x98
	s_abs_i32 s20, s25
	s_mul_hi_u32 s21, s20, s34
	s_ashr_i32 s28, s25, 31
	s_waitcnt lgkmcnt(0)
	s_ashr_i32 s11, s4, 2
	s_ashr_i32 s4, s30, 31
	s_mul_hi_u32 s34, s36, s30
	s_mul_i32 s35, s36, s4
	s_add_i32 s34, s34, s35
	s_mul_i32 s35, s37, s30
	s_ashr_i32 s33, s33, 31
	s_ashr_i32 s10, s38, 2
	;; [unrolled: 1-line block ×3, first 2 shown]
	s_add_i32 s34, s34, s35
	s_mul_i32 s35, s36, s30
	s_add_u32 s6, s6, s35
	s_addc_u32 s7, s7, s34
	s_xor_b32 s28, s28, s33
	s_mul_i32 s33, s21, s31
	s_sub_i32 s20, s20, s33
	s_add_i32 s33, s21, 1
	s_sub_i32 s34, s20, s31
	s_cmp_ge_u32 s20, s31
	s_cselect_b32 s21, s33, s21
	s_cselect_b32 s20, s34, s20
	s_add_i32 s33, s21, 1
	s_cmp_ge_u32 s20, s31
	s_load_dwordx2 s[14:15], s[0:1], 0xa8
	s_cselect_b32 s20, s33, s21
	s_xor_b32 s20, s20, s28
	s_sub_i32 s20, s20, s28
	s_mul_i32 s5, s20, s5
	s_ashr_i32 s21, s5, 31
	s_add_u32 s6, s6, s5
	s_waitcnt lgkmcnt(0)
	s_mul_hi_u32 s5, s14, s30
	s_mul_i32 s4, s14, s4
	s_addc_u32 s7, s7, s21
	s_add_i32 s4, s5, s4
	s_mul_i32 s5, s15, s30
	s_add_i32 s4, s4, s5
	s_mul_i32 s5, s14, s30
	s_add_u32 s5, s8, s5
	s_mul_i32 s20, s20, s39
	s_addc_u32 s8, s9, s4
	s_ashr_i32 s9, s20, 31
	v_lshrrev_b32_e32 v4, 3, v12
	s_add_u32 s4, s5, s20
	v_lshl_add_u32 v5, v1, 2, v4
	v_and_b32_e32 v4, 28, v29
	s_addc_u32 s5, s8, s9
	v_lshlrev_b32_e32 v6, 2, v4
	s_movk_i32 s8, 0x90
	v_mad_u32_u24 v6, v5, s8, v6
	v_mul_lo_u32 v18, s11, v5
	v_mov_b32_e32 v5, 0x8000
	v_add_u32_e32 v37, 0x8000, v6
	v_add_u32_e32 v38, 0xa400, v6
	v_mad_u32_u24 v39, v12, s8, v5
	v_mad_u64_u32 v[22:23], s[8:9], v2, s29, v[12:13]
	v_mul_lo_u32 v6, s10, v1
	v_mov_b32_e32 v2, 0xc800
	v_lshlrev_b32_e32 v16, 2, v29
	v_ashrrev_i32_e32 v7, 31, v6
	v_mbcnt_hi_u32_b32 v23, -1, v3
	v_mov_b32_e32 v17, 0
	v_lshl_add_u32 v20, s11, 6, v18
	v_lshl_add_u32 v40, v1, 9, v2
	;; [unrolled: 1-line block ×3, first 2 shown]
	v_lshl_add_u64 v[6:7], v[6:7], 2, s[4:5]
	v_or_b32_e32 v43, 0x8000, v0
	s_add_u32 s4, s0, 0xd0
	v_mov_b32_e32 v26, 0xfeffffff
	v_and_b32_e32 v0, 0x60, v23
	v_ashrrev_i32_e32 v19, 31, v18
	v_ashrrev_i32_e32 v21, 31, v20
	v_add_u32_e32 v41, 0x8000, v2
	v_add_u32_e32 v42, 0x8200, v2
	s_addc_u32 s5, s1, 0
	v_lshl_add_u64 v[24:25], v[6:7], 0, v[16:17]
	v_lshlrev_b32_e32 v16, 2, v4
	v_add_u32_e32 v31, 32, v0
	v_xor_b32_e32 v36, 16, v23
	v_xor_b32_e32 v35, 8, v23
	;; [unrolled: 1-line block ×5, first 2 shown]
	s_mov_b32 s8, 0x3fb8aa3b
	s_mov_b32 s9, 0xc2ce8ed0
	;; [unrolled: 1-line block ×3, first 2 shown]
	v_mov_b32_e32 v44, 0x7f800000
	s_mov_b32 s15, 0x10001
	v_add_u32_e32 v45, v40, v29
	v_add_u32_e32 v46, 0x800, v43
	;; [unrolled: 1-line block ×8, first 2 shown]
	v_mov_b32_e32 v7, v17
	v_mov_b32_e32 v8, v17
	;; [unrolled: 1-line block ×19, first 2 shown]
.LBB13_9:                               ; =>This Inner Loop Header: Depth=1
	s_mul_hi_i32 s21, s2, s11
	s_mul_i32 s20, s2, s11
	s_lshl_b64 s[20:21], s[20:21], 2
	s_add_u32 s20, s6, s20
	s_addc_u32 s21, s7, s21
	v_lshl_add_u64 v[0:1], v[18:19], 2, s[20:21]
	v_lshl_add_u64 v[0:1], v[0:1], 0, v[16:17]
	global_load_dwordx4 v[64:67], v[0:1], off
	v_lshl_add_u64 v[2:3], v[20:21], 2, s[20:21]
	v_lshl_add_u64 v[2:3], v[2:3], 0, v[16:17]
	v_mov_b32_e32 v62, v26
	v_mov_b32_e32 v26, 0
	;; [unrolled: 1-line block ×5, first 2 shown]
	v_cmp_lt_i32_e32 vcc, v36, v31
	s_mul_hi_i32 s21, s2, s10
	s_mul_i32 s20, s2, s10
	s_waitcnt vmcnt(0)
	ds_write_b128 v37, v[64:67]
	global_load_dwordx4 v[64:67], v[2:3], off
	s_waitcnt vmcnt(0)
	ds_write_b128 v38, v[64:67]
	s_waitcnt lgkmcnt(0)
	s_barrier
	ds_read_b128 v[64:67], v39
	ds_read_b128 v[68:71], v39 offset:4608
	ds_read_b128 v[72:75], v39 offset:9216
	ds_read_b128 v[76:79], v39 offset:13824
	ds_read_b128 v[80:83], v30
	ds_read_b128 v[84:87], v30 offset:1024
	s_waitcnt lgkmcnt(1)
	;;#ASMSTART
	v_dot2_f32_f16 v26, v64, v80, v26
	;;#ASMEND
	s_nop 0
	;;#ASMSTART
	v_dot2_f32_f16 v26, v65, v81, v26
	;;#ASMEND
	s_nop 0
	;; [unrolled: 4-line block ×3, first 2 shown]
	;;#ASMSTART
	v_dot2_f32_f16 v26, v67, v83, v26
	;;#ASMEND
	s_waitcnt lgkmcnt(0)
	;;#ASMSTART
	v_dot2_f32_f16 v27, v64, v84, v27
	;;#ASMEND
	v_mov_b32_e32 v64, 0
	;;#ASMSTART
	v_dot2_f32_f16 v27, v65, v85, v27
	;;#ASMEND
	v_mov_b32_e32 v65, 0
	;; [unrolled: 4-line block ×3, first 2 shown]
	;;#ASMSTART
	v_dot2_f32_f16 v27, v67, v87, v27
	;;#ASMEND
	;;#ASMSTART
	v_dot2_f32_f16 v64, v68, v80, v64
	;;#ASMEND
	v_mov_b32_e32 v67, 0
	;;#ASMSTART
	v_dot2_f32_f16 v64, v69, v81, v64
	;;#ASMEND
	s_nop 0
	;;#ASMSTART
	v_dot2_f32_f16 v64, v70, v82, v64
	;;#ASMEND
	s_nop 0
	;;#ASMSTART
	v_dot2_f32_f16 v64, v71, v83, v64
	;;#ASMEND
	;;#ASMSTART
	v_dot2_f32_f16 v63, v68, v84, v63
	;;#ASMEND
	v_mov_b32_e32 v68, 0
	;;#ASMSTART
	v_dot2_f32_f16 v63, v69, v85, v63
	;;#ASMEND
	s_nop 0
	;;#ASMSTART
	v_dot2_f32_f16 v63, v70, v86, v63
	;;#ASMEND
	s_nop 0
	;;#ASMSTART
	v_dot2_f32_f16 v63, v71, v87, v63
	;;#ASMEND
	;;#ASMSTART
	v_dot2_f32_f16 v66, v72, v80, v66
	;;#ASMEND
	s_nop 0
	;;#ASMSTART
	v_dot2_f32_f16 v66, v73, v81, v66
	;;#ASMEND
	s_nop 0
	;;#ASMSTART
	v_dot2_f32_f16 v66, v74, v82, v66
	;;#ASMEND
	s_nop 0
	;;#ASMSTART
	v_dot2_f32_f16 v66, v75, v83, v66
	;;#ASMEND
	;;#ASMSTART
	v_dot2_f32_f16 v65, v72, v84, v65
	;;#ASMEND
	s_nop 0
	;;#ASMSTART
	v_dot2_f32_f16 v65, v73, v85, v65
	;;#ASMEND
	s_nop 0
	;;#ASMSTART
	v_dot2_f32_f16 v65, v74, v86, v65
	;;#ASMEND
	s_nop 0
	;;#ASMSTART
	v_dot2_f32_f16 v65, v75, v87, v65
	;;#ASMEND
	;;#ASMSTART
	v_dot2_f32_f16 v68, v76, v80, v68
	;;#ASMEND
	s_nop 0
	;;#ASMSTART
	v_dot2_f32_f16 v68, v77, v81, v68
	;;#ASMEND
	s_nop 0
	;;#ASMSTART
	v_dot2_f32_f16 v68, v78, v82, v68
	;;#ASMEND
	s_nop 0
	;;#ASMSTART
	v_dot2_f32_f16 v68, v79, v83, v68
	;;#ASMEND
	;;#ASMSTART
	v_dot2_f32_f16 v67, v76, v84, v67
	;;#ASMEND
	s_nop 0
	;;#ASMSTART
	v_dot2_f32_f16 v67, v77, v85, v67
	;;#ASMEND
	s_nop 0
	;;#ASMSTART
	v_dot2_f32_f16 v67, v78, v86, v67
	;;#ASMEND
	s_nop 0
	;;#ASMSTART
	v_dot2_f32_f16 v67, v79, v87, v67
	;;#ASMEND
	ds_read_b128 v[70:73], v39 offset:16
	ds_read_b128 v[74:77], v39 offset:4624
	ds_read_b128 v[78:81], v39 offset:9232
	ds_read_b128 v[82:85], v39 offset:13840
	ds_read_b128 v[86:89], v30 offset:16
	ds_read_b128 v[90:93], v30 offset:1040
	s_waitcnt lgkmcnt(1)
	;;#ASMSTART
	v_dot2_f32_f16 v26, v70, v86, v26
	;;#ASMEND
	s_nop 0
	;;#ASMSTART
	v_dot2_f32_f16 v26, v71, v87, v26
	;;#ASMEND
	s_nop 0
	;; [unrolled: 4-line block ×3, first 2 shown]
	;;#ASMSTART
	v_dot2_f32_f16 v26, v73, v89, v26
	;;#ASMEND
	s_waitcnt lgkmcnt(0)
	;;#ASMSTART
	v_dot2_f32_f16 v27, v70, v90, v27
	;;#ASMEND
	s_nop 0
	;;#ASMSTART
	v_dot2_f32_f16 v27, v71, v91, v27
	;;#ASMEND
	s_nop 0
	;;#ASMSTART
	v_dot2_f32_f16 v27, v72, v92, v27
	;;#ASMEND
	s_nop 0
	;;#ASMSTART
	v_dot2_f32_f16 v27, v73, v93, v27
	;;#ASMEND
	;;#ASMSTART
	v_dot2_f32_f16 v64, v74, v86, v64
	;;#ASMEND
	s_nop 0
	;;#ASMSTART
	v_dot2_f32_f16 v64, v75, v87, v64
	;;#ASMEND
	s_nop 0
	;;#ASMSTART
	v_dot2_f32_f16 v64, v76, v88, v64
	;;#ASMEND
	s_nop 0
	;;#ASMSTART
	v_dot2_f32_f16 v64, v77, v89, v64
	;;#ASMEND
	;; [unrolled: 15-line block ×7, first 2 shown]
	ds_read_b128 v[70:73], v39 offset:32
	ds_read_b128 v[74:77], v39 offset:4640
	;; [unrolled: 1-line block ×6, first 2 shown]
	s_waitcnt lgkmcnt(1)
	;;#ASMSTART
	v_dot2_f32_f16 v26, v70, v86, v26
	;;#ASMEND
	s_nop 0
	;;#ASMSTART
	v_dot2_f32_f16 v26, v71, v87, v26
	;;#ASMEND
	s_nop 0
	;; [unrolled: 4-line block ×3, first 2 shown]
	;;#ASMSTART
	v_dot2_f32_f16 v26, v73, v89, v26
	;;#ASMEND
	s_waitcnt lgkmcnt(0)
	;;#ASMSTART
	v_dot2_f32_f16 v27, v70, v90, v27
	;;#ASMEND
	s_nop 0
	;;#ASMSTART
	v_dot2_f32_f16 v27, v71, v91, v27
	;;#ASMEND
	s_nop 0
	;;#ASMSTART
	v_dot2_f32_f16 v27, v72, v92, v27
	;;#ASMEND
	s_nop 0
	;;#ASMSTART
	v_dot2_f32_f16 v27, v73, v93, v27
	;;#ASMEND
	;;#ASMSTART
	v_dot2_f32_f16 v64, v74, v86, v64
	;;#ASMEND
	s_nop 0
	;;#ASMSTART
	v_dot2_f32_f16 v64, v75, v87, v64
	;;#ASMEND
	s_nop 0
	;;#ASMSTART
	v_dot2_f32_f16 v64, v76, v88, v64
	;;#ASMEND
	s_nop 0
	;;#ASMSTART
	v_dot2_f32_f16 v64, v77, v89, v64
	;;#ASMEND
	;; [unrolled: 15-line block ×7, first 2 shown]
	ds_read_b128 v[70:73], v39 offset:48
	ds_read_b128 v[74:77], v39 offset:4656
	;; [unrolled: 1-line block ×6, first 2 shown]
	s_waitcnt lgkmcnt(1)
	;;#ASMSTART
	v_dot2_f32_f16 v26, v70, v86, v26
	;;#ASMEND
	s_nop 0
	;;#ASMSTART
	v_dot2_f32_f16 v26, v71, v87, v26
	;;#ASMEND
	s_nop 0
	;;#ASMSTART
	v_dot2_f32_f16 v26, v72, v88, v26
	;;#ASMEND
	s_nop 0
	;;#ASMSTART
	v_dot2_f32_f16 v26, v73, v89, v26
	;;#ASMEND
	s_waitcnt lgkmcnt(0)
	;;#ASMSTART
	v_dot2_f32_f16 v27, v70, v90, v27
	;;#ASMEND
	s_nop 0
	;;#ASMSTART
	v_dot2_f32_f16 v27, v71, v91, v27
	;;#ASMEND
	s_nop 0
	;;#ASMSTART
	v_dot2_f32_f16 v27, v72, v92, v27
	;;#ASMEND
	s_nop 0
	;;#ASMSTART
	v_dot2_f32_f16 v27, v73, v93, v27
	;;#ASMEND
	;;#ASMSTART
	v_dot2_f32_f16 v64, v74, v86, v64
	;;#ASMEND
	s_nop 0
	;;#ASMSTART
	v_dot2_f32_f16 v64, v75, v87, v64
	;;#ASMEND
	s_nop 0
	;;#ASMSTART
	v_dot2_f32_f16 v64, v76, v88, v64
	;;#ASMEND
	s_nop 0
	;;#ASMSTART
	v_dot2_f32_f16 v64, v77, v89, v64
	;;#ASMEND
	;; [unrolled: 15-line block ×7, first 2 shown]
	ds_read_b128 v[70:73], v39 offset:64
	ds_read_b128 v[74:77], v39 offset:4672
	;; [unrolled: 1-line block ×6, first 2 shown]
	s_waitcnt lgkmcnt(1)
	;;#ASMSTART
	v_dot2_f32_f16 v26, v70, v86, v26
	;;#ASMEND
	s_nop 0
	;;#ASMSTART
	v_dot2_f32_f16 v26, v71, v87, v26
	;;#ASMEND
	s_nop 0
	;; [unrolled: 4-line block ×3, first 2 shown]
	;;#ASMSTART
	v_dot2_f32_f16 v26, v73, v89, v26
	;;#ASMEND
	s_waitcnt lgkmcnt(0)
	;;#ASMSTART
	v_dot2_f32_f16 v27, v70, v90, v27
	;;#ASMEND
	s_nop 0
	;;#ASMSTART
	v_dot2_f32_f16 v27, v71, v91, v27
	;;#ASMEND
	s_nop 0
	;;#ASMSTART
	v_dot2_f32_f16 v27, v72, v92, v27
	;;#ASMEND
	s_nop 0
	;;#ASMSTART
	v_dot2_f32_f16 v27, v73, v93, v27
	;;#ASMEND
	;;#ASMSTART
	v_dot2_f32_f16 v64, v74, v86, v64
	;;#ASMEND
	s_nop 0
	;;#ASMSTART
	v_dot2_f32_f16 v64, v75, v87, v64
	;;#ASMEND
	s_nop 0
	;;#ASMSTART
	v_dot2_f32_f16 v64, v76, v88, v64
	;;#ASMEND
	s_nop 0
	;;#ASMSTART
	v_dot2_f32_f16 v64, v77, v89, v64
	;;#ASMEND
	;; [unrolled: 15-line block ×7, first 2 shown]
	ds_read_b128 v[70:73], v39 offset:80
	ds_read_b128 v[74:77], v39 offset:4688
	;; [unrolled: 1-line block ×6, first 2 shown]
	s_waitcnt lgkmcnt(1)
	;;#ASMSTART
	v_dot2_f32_f16 v26, v70, v86, v26
	;;#ASMEND
	s_nop 0
	;;#ASMSTART
	v_dot2_f32_f16 v26, v71, v87, v26
	;;#ASMEND
	s_nop 0
	;; [unrolled: 4-line block ×3, first 2 shown]
	;;#ASMSTART
	v_dot2_f32_f16 v26, v73, v89, v26
	;;#ASMEND
	s_waitcnt lgkmcnt(0)
	;;#ASMSTART
	v_dot2_f32_f16 v27, v70, v90, v27
	;;#ASMEND
	s_nop 0
	;;#ASMSTART
	v_dot2_f32_f16 v27, v71, v91, v27
	;;#ASMEND
	s_nop 0
	;;#ASMSTART
	v_dot2_f32_f16 v27, v72, v92, v27
	;;#ASMEND
	s_nop 0
	;;#ASMSTART
	v_dot2_f32_f16 v27, v73, v93, v27
	;;#ASMEND
	;;#ASMSTART
	v_dot2_f32_f16 v64, v74, v86, v64
	;;#ASMEND
	s_nop 0
	;;#ASMSTART
	v_dot2_f32_f16 v64, v75, v87, v64
	;;#ASMEND
	s_nop 0
	;;#ASMSTART
	v_dot2_f32_f16 v64, v76, v88, v64
	;;#ASMEND
	s_nop 0
	;;#ASMSTART
	v_dot2_f32_f16 v64, v77, v89, v64
	;;#ASMEND
	;;#ASMSTART
	v_dot2_f32_f16 v63, v74, v90, v63
	;;#ASMEND
	s_nop 0
	;;#ASMSTART
	v_dot2_f32_f16 v63, v75, v91, v63
	;;#ASMEND
	s_nop 0
	;;#ASMSTART
	v_dot2_f32_f16 v63, v76, v92, v63
	;;#ASMEND
	s_nop 0
	;;#ASMSTART
	v_dot2_f32_f16 v63, v77, v93, v63
	;;#ASMEND
	;;#ASMSTART
	v_dot2_f32_f16 v66, v78, v86, v66
	;;#ASMEND
	s_nop 0
	;;#ASMSTART
	v_dot2_f32_f16 v66, v79, v87, v66
	;;#ASMEND
	s_nop 0
	;;#ASMSTART
	v_dot2_f32_f16 v66, v80, v88, v66
	;;#ASMEND
	s_nop 0
	;;#ASMSTART
	v_dot2_f32_f16 v66, v81, v89, v66
	;;#ASMEND
	;;#ASMSTART
	v_dot2_f32_f16 v65, v78, v90, v65
	;;#ASMEND
	s_nop 0
	;;#ASMSTART
	v_dot2_f32_f16 v65, v79, v91, v65
	;;#ASMEND
	s_nop 0
	;;#ASMSTART
	v_dot2_f32_f16 v65, v80, v92, v65
	;;#ASMEND
	s_nop 0
	;;#ASMSTART
	v_dot2_f32_f16 v65, v81, v93, v65
	;;#ASMEND
	;;#ASMSTART
	v_dot2_f32_f16 v68, v82, v86, v68
	;;#ASMEND
	s_nop 0
	;;#ASMSTART
	v_dot2_f32_f16 v68, v83, v87, v68
	;;#ASMEND
	s_nop 0
	;;#ASMSTART
	v_dot2_f32_f16 v68, v84, v88, v68
	;;#ASMEND
	s_nop 0
	;;#ASMSTART
	v_dot2_f32_f16 v68, v85, v89, v68
	;;#ASMEND
	;;#ASMSTART
	v_dot2_f32_f16 v67, v82, v90, v67
	;;#ASMEND
	s_nop 0
	;;#ASMSTART
	v_dot2_f32_f16 v67, v83, v91, v67
	;;#ASMEND
	s_nop 0
	;;#ASMSTART
	v_dot2_f32_f16 v67, v84, v92, v67
	;;#ASMEND
	s_nop 0
	;;#ASMSTART
	v_dot2_f32_f16 v67, v85, v93, v67
	;;#ASMEND
	ds_read_b128 v[70:73], v39 offset:96
	ds_read_b128 v[74:77], v39 offset:4704
	;; [unrolled: 1-line block ×6, first 2 shown]
	s_waitcnt lgkmcnt(1)
	;;#ASMSTART
	v_dot2_f32_f16 v26, v70, v86, v26
	;;#ASMEND
	s_nop 0
	;;#ASMSTART
	v_dot2_f32_f16 v26, v71, v87, v26
	;;#ASMEND
	s_nop 0
	;; [unrolled: 4-line block ×3, first 2 shown]
	;;#ASMSTART
	v_dot2_f32_f16 v26, v73, v89, v26
	;;#ASMEND
	s_waitcnt lgkmcnt(0)
	;;#ASMSTART
	v_dot2_f32_f16 v27, v70, v90, v27
	;;#ASMEND
	s_nop 0
	;;#ASMSTART
	v_dot2_f32_f16 v27, v71, v91, v27
	;;#ASMEND
	s_nop 0
	;;#ASMSTART
	v_dot2_f32_f16 v27, v72, v92, v27
	;;#ASMEND
	s_nop 0
	;;#ASMSTART
	v_dot2_f32_f16 v27, v73, v93, v27
	;;#ASMEND
	;;#ASMSTART
	v_dot2_f32_f16 v64, v74, v86, v64
	;;#ASMEND
	s_nop 0
	;;#ASMSTART
	v_dot2_f32_f16 v64, v75, v87, v64
	;;#ASMEND
	s_nop 0
	;;#ASMSTART
	v_dot2_f32_f16 v64, v76, v88, v64
	;;#ASMEND
	s_nop 0
	;;#ASMSTART
	v_dot2_f32_f16 v64, v77, v89, v64
	;;#ASMEND
	;; [unrolled: 15-line block ×7, first 2 shown]
	ds_read_b128 v[70:73], v39 offset:112
	ds_read_b128 v[74:77], v39 offset:4720
	;; [unrolled: 1-line block ×6, first 2 shown]
	s_waitcnt lgkmcnt(1)
	;;#ASMSTART
	v_dot2_f32_f16 v26, v70, v86, v26
	;;#ASMEND
	s_nop 0
	;;#ASMSTART
	v_dot2_f32_f16 v26, v71, v87, v26
	;;#ASMEND
	s_nop 0
	;; [unrolled: 4-line block ×3, first 2 shown]
	;;#ASMSTART
	v_dot2_f32_f16 v26, v73, v89, v26
	;;#ASMEND
	s_waitcnt lgkmcnt(0)
	;;#ASMSTART
	v_dot2_f32_f16 v27, v70, v90, v27
	;;#ASMEND
	s_nop 0
	;;#ASMSTART
	v_dot2_f32_f16 v27, v71, v91, v27
	;;#ASMEND
	s_nop 0
	;;#ASMSTART
	v_dot2_f32_f16 v27, v72, v92, v27
	;;#ASMEND
	s_nop 0
	;;#ASMSTART
	v_dot2_f32_f16 v27, v73, v93, v27
	;;#ASMEND
	;;#ASMSTART
	v_dot2_f32_f16 v64, v74, v86, v64
	;;#ASMEND
	s_nop 0
	;;#ASMSTART
	v_dot2_f32_f16 v64, v75, v87, v64
	;;#ASMEND
	s_nop 0
	;;#ASMSTART
	v_dot2_f32_f16 v64, v76, v88, v64
	;;#ASMEND
	s_nop 0
	;;#ASMSTART
	v_dot2_f32_f16 v64, v77, v89, v64
	;;#ASMEND
	;; [unrolled: 15-line block ×7, first 2 shown]
	s_barrier
	global_load_dwordx4 v[70:73], v[0:1], off offset:128
	s_waitcnt vmcnt(0)
	ds_write_b128 v37, v[70:73]
	global_load_dwordx4 v[70:73], v[2:3], off offset:128
	s_waitcnt vmcnt(0)
	ds_write_b128 v38, v[70:73]
	s_waitcnt lgkmcnt(0)
	s_barrier
	ds_read_b128 v[70:73], v39
	ds_read_b128 v[74:77], v39 offset:4608
	ds_read_b128 v[78:81], v39 offset:9216
	;; [unrolled: 1-line block ×5, first 2 shown]
	s_waitcnt lgkmcnt(1)
	;;#ASMSTART
	v_dot2_f32_f16 v26, v70, v86, v26
	;;#ASMEND
	s_nop 0
	;;#ASMSTART
	v_dot2_f32_f16 v26, v71, v87, v26
	;;#ASMEND
	s_nop 0
	;; [unrolled: 4-line block ×3, first 2 shown]
	;;#ASMSTART
	v_dot2_f32_f16 v26, v73, v89, v26
	;;#ASMEND
	s_waitcnt lgkmcnt(0)
	;;#ASMSTART
	v_dot2_f32_f16 v27, v70, v90, v27
	;;#ASMEND
	s_nop 0
	;;#ASMSTART
	v_dot2_f32_f16 v27, v71, v91, v27
	;;#ASMEND
	s_nop 0
	;;#ASMSTART
	v_dot2_f32_f16 v27, v72, v92, v27
	;;#ASMEND
	s_nop 0
	;;#ASMSTART
	v_dot2_f32_f16 v27, v73, v93, v27
	;;#ASMEND
	;;#ASMSTART
	v_dot2_f32_f16 v64, v74, v86, v64
	;;#ASMEND
	s_nop 0
	;;#ASMSTART
	v_dot2_f32_f16 v64, v75, v87, v64
	;;#ASMEND
	s_nop 0
	;;#ASMSTART
	v_dot2_f32_f16 v64, v76, v88, v64
	;;#ASMEND
	s_nop 0
	;;#ASMSTART
	v_dot2_f32_f16 v64, v77, v89, v64
	;;#ASMEND
	;; [unrolled: 15-line block ×7, first 2 shown]
	ds_read_b128 v[70:73], v39 offset:16
	ds_read_b128 v[74:77], v39 offset:4624
	ds_read_b128 v[78:81], v39 offset:9232
	ds_read_b128 v[82:85], v39 offset:13840
	ds_read_b128 v[86:89], v30 offset:144
	ds_read_b128 v[90:93], v30 offset:1168
	s_waitcnt lgkmcnt(1)
	;;#ASMSTART
	v_dot2_f32_f16 v26, v70, v86, v26
	;;#ASMEND
	s_nop 0
	;;#ASMSTART
	v_dot2_f32_f16 v26, v71, v87, v26
	;;#ASMEND
	s_nop 0
	;; [unrolled: 4-line block ×3, first 2 shown]
	;;#ASMSTART
	v_dot2_f32_f16 v26, v73, v89, v26
	;;#ASMEND
	s_waitcnt lgkmcnt(0)
	;;#ASMSTART
	v_dot2_f32_f16 v27, v70, v90, v27
	;;#ASMEND
	s_nop 0
	;;#ASMSTART
	v_dot2_f32_f16 v27, v71, v91, v27
	;;#ASMEND
	s_nop 0
	;;#ASMSTART
	v_dot2_f32_f16 v27, v72, v92, v27
	;;#ASMEND
	s_nop 0
	;;#ASMSTART
	v_dot2_f32_f16 v27, v73, v93, v27
	;;#ASMEND
	;;#ASMSTART
	v_dot2_f32_f16 v64, v74, v86, v64
	;;#ASMEND
	s_nop 0
	;;#ASMSTART
	v_dot2_f32_f16 v64, v75, v87, v64
	;;#ASMEND
	s_nop 0
	;;#ASMSTART
	v_dot2_f32_f16 v64, v76, v88, v64
	;;#ASMEND
	s_nop 0
	;;#ASMSTART
	v_dot2_f32_f16 v64, v77, v89, v64
	;;#ASMEND
	;; [unrolled: 15-line block ×7, first 2 shown]
	ds_read_b128 v[70:73], v39 offset:32
	ds_read_b128 v[74:77], v39 offset:4640
	;; [unrolled: 1-line block ×6, first 2 shown]
	s_waitcnt lgkmcnt(1)
	;;#ASMSTART
	v_dot2_f32_f16 v26, v70, v86, v26
	;;#ASMEND
	s_nop 0
	;;#ASMSTART
	v_dot2_f32_f16 v26, v71, v87, v26
	;;#ASMEND
	s_nop 0
	;; [unrolled: 4-line block ×3, first 2 shown]
	;;#ASMSTART
	v_dot2_f32_f16 v26, v73, v89, v26
	;;#ASMEND
	s_waitcnt lgkmcnt(0)
	;;#ASMSTART
	v_dot2_f32_f16 v27, v70, v90, v27
	;;#ASMEND
	s_nop 0
	;;#ASMSTART
	v_dot2_f32_f16 v27, v71, v91, v27
	;;#ASMEND
	s_nop 0
	;;#ASMSTART
	v_dot2_f32_f16 v27, v72, v92, v27
	;;#ASMEND
	s_nop 0
	;;#ASMSTART
	v_dot2_f32_f16 v27, v73, v93, v27
	;;#ASMEND
	;;#ASMSTART
	v_dot2_f32_f16 v64, v74, v86, v64
	;;#ASMEND
	s_nop 0
	;;#ASMSTART
	v_dot2_f32_f16 v64, v75, v87, v64
	;;#ASMEND
	s_nop 0
	;;#ASMSTART
	v_dot2_f32_f16 v64, v76, v88, v64
	;;#ASMEND
	s_nop 0
	;;#ASMSTART
	v_dot2_f32_f16 v64, v77, v89, v64
	;;#ASMEND
	;; [unrolled: 15-line block ×7, first 2 shown]
	ds_read_b128 v[70:73], v39 offset:48
	ds_read_b128 v[74:77], v39 offset:4656
	;; [unrolled: 1-line block ×6, first 2 shown]
	s_waitcnt lgkmcnt(1)
	;;#ASMSTART
	v_dot2_f32_f16 v26, v70, v86, v26
	;;#ASMEND
	s_nop 0
	;;#ASMSTART
	v_dot2_f32_f16 v26, v71, v87, v26
	;;#ASMEND
	s_nop 0
	;; [unrolled: 4-line block ×3, first 2 shown]
	;;#ASMSTART
	v_dot2_f32_f16 v26, v73, v89, v26
	;;#ASMEND
	s_waitcnt lgkmcnt(0)
	;;#ASMSTART
	v_dot2_f32_f16 v27, v70, v90, v27
	;;#ASMEND
	s_nop 0
	;;#ASMSTART
	v_dot2_f32_f16 v27, v71, v91, v27
	;;#ASMEND
	s_nop 0
	;;#ASMSTART
	v_dot2_f32_f16 v27, v72, v92, v27
	;;#ASMEND
	s_nop 0
	;;#ASMSTART
	v_dot2_f32_f16 v27, v73, v93, v27
	;;#ASMEND
	;;#ASMSTART
	v_dot2_f32_f16 v64, v74, v86, v64
	;;#ASMEND
	s_nop 0
	;;#ASMSTART
	v_dot2_f32_f16 v64, v75, v87, v64
	;;#ASMEND
	s_nop 0
	;;#ASMSTART
	v_dot2_f32_f16 v64, v76, v88, v64
	;;#ASMEND
	s_nop 0
	;;#ASMSTART
	v_dot2_f32_f16 v64, v77, v89, v64
	;;#ASMEND
	;; [unrolled: 15-line block ×7, first 2 shown]
	ds_read_b128 v[70:73], v39 offset:64
	ds_read_b128 v[74:77], v39 offset:4672
	ds_read_b128 v[78:81], v39 offset:9280
	ds_read_b128 v[82:85], v39 offset:13888
	ds_read_b128 v[86:89], v30 offset:192
	ds_read_b128 v[90:93], v30 offset:1216
	s_waitcnt lgkmcnt(1)
	;;#ASMSTART
	v_dot2_f32_f16 v26, v70, v86, v26
	;;#ASMEND
	s_nop 0
	;;#ASMSTART
	v_dot2_f32_f16 v26, v71, v87, v26
	;;#ASMEND
	s_nop 0
	;; [unrolled: 4-line block ×3, first 2 shown]
	;;#ASMSTART
	v_dot2_f32_f16 v26, v73, v89, v26
	;;#ASMEND
	s_waitcnt lgkmcnt(0)
	;;#ASMSTART
	v_dot2_f32_f16 v27, v70, v90, v27
	;;#ASMEND
	s_nop 0
	;;#ASMSTART
	v_dot2_f32_f16 v27, v71, v91, v27
	;;#ASMEND
	s_nop 0
	;;#ASMSTART
	v_dot2_f32_f16 v27, v72, v92, v27
	;;#ASMEND
	s_nop 0
	;;#ASMSTART
	v_dot2_f32_f16 v27, v73, v93, v27
	;;#ASMEND
	;;#ASMSTART
	v_dot2_f32_f16 v64, v74, v86, v64
	;;#ASMEND
	s_nop 0
	;;#ASMSTART
	v_dot2_f32_f16 v64, v75, v87, v64
	;;#ASMEND
	s_nop 0
	;;#ASMSTART
	v_dot2_f32_f16 v64, v76, v88, v64
	;;#ASMEND
	s_nop 0
	;;#ASMSTART
	v_dot2_f32_f16 v64, v77, v89, v64
	;;#ASMEND
	;;#ASMSTART
	v_dot2_f32_f16 v63, v74, v90, v63
	;;#ASMEND
	s_nop 0
	;;#ASMSTART
	v_dot2_f32_f16 v63, v75, v91, v63
	;;#ASMEND
	s_nop 0
	;;#ASMSTART
	v_dot2_f32_f16 v63, v76, v92, v63
	;;#ASMEND
	s_nop 0
	;;#ASMSTART
	v_dot2_f32_f16 v63, v77, v93, v63
	;;#ASMEND
	;;#ASMSTART
	v_dot2_f32_f16 v66, v78, v86, v66
	;;#ASMEND
	s_nop 0
	;;#ASMSTART
	v_dot2_f32_f16 v66, v79, v87, v66
	;;#ASMEND
	s_nop 0
	;;#ASMSTART
	v_dot2_f32_f16 v66, v80, v88, v66
	;;#ASMEND
	s_nop 0
	;;#ASMSTART
	v_dot2_f32_f16 v66, v81, v89, v66
	;;#ASMEND
	;;#ASMSTART
	v_dot2_f32_f16 v65, v78, v90, v65
	;;#ASMEND
	s_nop 0
	;;#ASMSTART
	v_dot2_f32_f16 v65, v79, v91, v65
	;;#ASMEND
	s_nop 0
	;;#ASMSTART
	v_dot2_f32_f16 v65, v80, v92, v65
	;;#ASMEND
	s_nop 0
	;;#ASMSTART
	v_dot2_f32_f16 v65, v81, v93, v65
	;;#ASMEND
	;;#ASMSTART
	v_dot2_f32_f16 v68, v82, v86, v68
	;;#ASMEND
	s_nop 0
	;;#ASMSTART
	v_dot2_f32_f16 v68, v83, v87, v68
	;;#ASMEND
	s_nop 0
	;;#ASMSTART
	v_dot2_f32_f16 v68, v84, v88, v68
	;;#ASMEND
	s_nop 0
	;;#ASMSTART
	v_dot2_f32_f16 v68, v85, v89, v68
	;;#ASMEND
	;;#ASMSTART
	v_dot2_f32_f16 v67, v82, v90, v67
	;;#ASMEND
	s_nop 0
	;;#ASMSTART
	v_dot2_f32_f16 v67, v83, v91, v67
	;;#ASMEND
	s_nop 0
	;;#ASMSTART
	v_dot2_f32_f16 v67, v84, v92, v67
	;;#ASMEND
	s_nop 0
	;;#ASMSTART
	v_dot2_f32_f16 v67, v85, v93, v67
	;;#ASMEND
	ds_read_b128 v[70:73], v39 offset:80
	ds_read_b128 v[74:77], v39 offset:4688
	;; [unrolled: 1-line block ×6, first 2 shown]
	s_waitcnt lgkmcnt(1)
	;;#ASMSTART
	v_dot2_f32_f16 v26, v70, v86, v26
	;;#ASMEND
	s_nop 0
	;;#ASMSTART
	v_dot2_f32_f16 v26, v71, v87, v26
	;;#ASMEND
	s_nop 0
	;; [unrolled: 4-line block ×3, first 2 shown]
	;;#ASMSTART
	v_dot2_f32_f16 v26, v73, v89, v26
	;;#ASMEND
	s_waitcnt lgkmcnt(0)
	;;#ASMSTART
	v_dot2_f32_f16 v27, v70, v90, v27
	;;#ASMEND
	s_nop 0
	;;#ASMSTART
	v_dot2_f32_f16 v27, v71, v91, v27
	;;#ASMEND
	s_nop 0
	;;#ASMSTART
	v_dot2_f32_f16 v27, v72, v92, v27
	;;#ASMEND
	s_nop 0
	;;#ASMSTART
	v_dot2_f32_f16 v27, v73, v93, v27
	;;#ASMEND
	;;#ASMSTART
	v_dot2_f32_f16 v64, v74, v86, v64
	;;#ASMEND
	s_nop 0
	;;#ASMSTART
	v_dot2_f32_f16 v64, v75, v87, v64
	;;#ASMEND
	s_nop 0
	;;#ASMSTART
	v_dot2_f32_f16 v64, v76, v88, v64
	;;#ASMEND
	s_nop 0
	;;#ASMSTART
	v_dot2_f32_f16 v64, v77, v89, v64
	;;#ASMEND
	;; [unrolled: 15-line block ×7, first 2 shown]
	ds_read_b128 v[70:73], v39 offset:96
	ds_read_b128 v[74:77], v39 offset:4704
	;; [unrolled: 1-line block ×6, first 2 shown]
	s_waitcnt lgkmcnt(1)
	;;#ASMSTART
	v_dot2_f32_f16 v26, v70, v86, v26
	;;#ASMEND
	s_nop 0
	;;#ASMSTART
	v_dot2_f32_f16 v26, v71, v87, v26
	;;#ASMEND
	s_nop 0
	;; [unrolled: 4-line block ×3, first 2 shown]
	;;#ASMSTART
	v_dot2_f32_f16 v26, v73, v89, v26
	;;#ASMEND
	s_waitcnt lgkmcnt(0)
	;;#ASMSTART
	v_dot2_f32_f16 v27, v70, v90, v27
	;;#ASMEND
	s_nop 0
	;;#ASMSTART
	v_dot2_f32_f16 v27, v71, v91, v27
	;;#ASMEND
	s_nop 0
	;;#ASMSTART
	v_dot2_f32_f16 v27, v72, v92, v27
	;;#ASMEND
	s_nop 0
	;;#ASMSTART
	v_dot2_f32_f16 v27, v73, v93, v27
	;;#ASMEND
	;;#ASMSTART
	v_dot2_f32_f16 v64, v74, v86, v64
	;;#ASMEND
	s_nop 0
	;;#ASMSTART
	v_dot2_f32_f16 v64, v75, v87, v64
	;;#ASMEND
	s_nop 0
	;;#ASMSTART
	v_dot2_f32_f16 v64, v76, v88, v64
	;;#ASMEND
	s_nop 0
	;;#ASMSTART
	v_dot2_f32_f16 v64, v77, v89, v64
	;;#ASMEND
	;; [unrolled: 15-line block ×7, first 2 shown]
	ds_read_b128 v[70:73], v39 offset:112
	ds_read_b128 v[74:77], v39 offset:4720
	;; [unrolled: 1-line block ×6, first 2 shown]
	s_waitcnt lgkmcnt(1)
	;;#ASMSTART
	v_dot2_f32_f16 v26, v70, v86, v26
	;;#ASMEND
	s_nop 0
	;;#ASMSTART
	v_dot2_f32_f16 v26, v71, v87, v26
	;;#ASMEND
	s_nop 0
	;; [unrolled: 4-line block ×3, first 2 shown]
	;;#ASMSTART
	v_dot2_f32_f16 v26, v73, v89, v26
	;;#ASMEND
	s_waitcnt lgkmcnt(0)
	;;#ASMSTART
	v_dot2_f32_f16 v27, v70, v90, v27
	;;#ASMEND
	s_nop 0
	;;#ASMSTART
	v_dot2_f32_f16 v27, v71, v91, v27
	;;#ASMEND
	s_nop 0
	;;#ASMSTART
	v_dot2_f32_f16 v27, v72, v92, v27
	;;#ASMEND
	s_nop 0
	;;#ASMSTART
	v_dot2_f32_f16 v27, v73, v93, v27
	;;#ASMEND
	;;#ASMSTART
	v_dot2_f32_f16 v64, v74, v86, v64
	;;#ASMEND
	s_nop 0
	;;#ASMSTART
	v_dot2_f32_f16 v64, v75, v87, v64
	;;#ASMEND
	s_nop 0
	;;#ASMSTART
	v_dot2_f32_f16 v64, v76, v88, v64
	;;#ASMEND
	s_nop 0
	;;#ASMSTART
	v_dot2_f32_f16 v64, v77, v89, v64
	;;#ASMEND
	;; [unrolled: 15-line block ×7, first 2 shown]
	s_barrier
	global_load_dwordx4 v[70:73], v[0:1], off offset:256
	s_waitcnt vmcnt(0)
	ds_write_b128 v37, v[70:73]
	global_load_dwordx4 v[70:73], v[2:3], off offset:256
	s_waitcnt vmcnt(0)
	ds_write_b128 v38, v[70:73]
	s_waitcnt lgkmcnt(0)
	s_barrier
	ds_read_b128 v[70:73], v39
	ds_read_b128 v[74:77], v39 offset:4608
	ds_read_b128 v[78:81], v39 offset:9216
	;; [unrolled: 1-line block ×5, first 2 shown]
	s_waitcnt lgkmcnt(1)
	;;#ASMSTART
	v_dot2_f32_f16 v26, v70, v86, v26
	;;#ASMEND
	s_nop 0
	;;#ASMSTART
	v_dot2_f32_f16 v26, v71, v87, v26
	;;#ASMEND
	s_nop 0
	;;#ASMSTART
	v_dot2_f32_f16 v26, v72, v88, v26
	;;#ASMEND
	s_nop 0
	;;#ASMSTART
	v_dot2_f32_f16 v26, v73, v89, v26
	;;#ASMEND
	s_waitcnt lgkmcnt(0)
	;;#ASMSTART
	v_dot2_f32_f16 v27, v70, v90, v27
	;;#ASMEND
	s_nop 0
	;;#ASMSTART
	v_dot2_f32_f16 v27, v71, v91, v27
	;;#ASMEND
	s_nop 0
	;;#ASMSTART
	v_dot2_f32_f16 v27, v72, v92, v27
	;;#ASMEND
	s_nop 0
	;;#ASMSTART
	v_dot2_f32_f16 v27, v73, v93, v27
	;;#ASMEND
	;;#ASMSTART
	v_dot2_f32_f16 v64, v74, v86, v64
	;;#ASMEND
	s_nop 0
	;;#ASMSTART
	v_dot2_f32_f16 v64, v75, v87, v64
	;;#ASMEND
	s_nop 0
	;;#ASMSTART
	v_dot2_f32_f16 v64, v76, v88, v64
	;;#ASMEND
	s_nop 0
	;;#ASMSTART
	v_dot2_f32_f16 v64, v77, v89, v64
	;;#ASMEND
	;; [unrolled: 15-line block ×7, first 2 shown]
	ds_read_b128 v[70:73], v39 offset:16
	ds_read_b128 v[74:77], v39 offset:4624
	;; [unrolled: 1-line block ×6, first 2 shown]
	s_waitcnt lgkmcnt(1)
	;;#ASMSTART
	v_dot2_f32_f16 v26, v70, v86, v26
	;;#ASMEND
	s_nop 0
	;;#ASMSTART
	v_dot2_f32_f16 v26, v71, v87, v26
	;;#ASMEND
	s_nop 0
	;; [unrolled: 4-line block ×3, first 2 shown]
	;;#ASMSTART
	v_dot2_f32_f16 v26, v73, v89, v26
	;;#ASMEND
	s_waitcnt lgkmcnt(0)
	;;#ASMSTART
	v_dot2_f32_f16 v27, v70, v90, v27
	;;#ASMEND
	s_nop 0
	;;#ASMSTART
	v_dot2_f32_f16 v27, v71, v91, v27
	;;#ASMEND
	s_nop 0
	;;#ASMSTART
	v_dot2_f32_f16 v27, v72, v92, v27
	;;#ASMEND
	s_nop 0
	;;#ASMSTART
	v_dot2_f32_f16 v27, v73, v93, v27
	;;#ASMEND
	;;#ASMSTART
	v_dot2_f32_f16 v64, v74, v86, v64
	;;#ASMEND
	s_nop 0
	;;#ASMSTART
	v_dot2_f32_f16 v64, v75, v87, v64
	;;#ASMEND
	s_nop 0
	;;#ASMSTART
	v_dot2_f32_f16 v64, v76, v88, v64
	;;#ASMEND
	s_nop 0
	;;#ASMSTART
	v_dot2_f32_f16 v64, v77, v89, v64
	;;#ASMEND
	;; [unrolled: 15-line block ×7, first 2 shown]
	ds_read_b128 v[70:73], v39 offset:32
	ds_read_b128 v[74:77], v39 offset:4640
	;; [unrolled: 1-line block ×6, first 2 shown]
	s_waitcnt lgkmcnt(1)
	;;#ASMSTART
	v_dot2_f32_f16 v26, v70, v86, v26
	;;#ASMEND
	s_nop 0
	;;#ASMSTART
	v_dot2_f32_f16 v26, v71, v87, v26
	;;#ASMEND
	s_nop 0
	;; [unrolled: 4-line block ×3, first 2 shown]
	;;#ASMSTART
	v_dot2_f32_f16 v26, v73, v89, v26
	;;#ASMEND
	s_waitcnt lgkmcnt(0)
	;;#ASMSTART
	v_dot2_f32_f16 v27, v70, v90, v27
	;;#ASMEND
	s_nop 0
	;;#ASMSTART
	v_dot2_f32_f16 v27, v71, v91, v27
	;;#ASMEND
	s_nop 0
	;;#ASMSTART
	v_dot2_f32_f16 v27, v72, v92, v27
	;;#ASMEND
	s_nop 0
	;;#ASMSTART
	v_dot2_f32_f16 v27, v73, v93, v27
	;;#ASMEND
	;;#ASMSTART
	v_dot2_f32_f16 v64, v74, v86, v64
	;;#ASMEND
	s_nop 0
	;;#ASMSTART
	v_dot2_f32_f16 v64, v75, v87, v64
	;;#ASMEND
	s_nop 0
	;;#ASMSTART
	v_dot2_f32_f16 v64, v76, v88, v64
	;;#ASMEND
	s_nop 0
	;;#ASMSTART
	v_dot2_f32_f16 v64, v77, v89, v64
	;;#ASMEND
	;; [unrolled: 15-line block ×7, first 2 shown]
	ds_read_b128 v[70:73], v39 offset:48
	ds_read_b128 v[74:77], v39 offset:4656
	;; [unrolled: 1-line block ×6, first 2 shown]
	s_waitcnt lgkmcnt(1)
	;;#ASMSTART
	v_dot2_f32_f16 v26, v70, v86, v26
	;;#ASMEND
	s_nop 0
	;;#ASMSTART
	v_dot2_f32_f16 v26, v71, v87, v26
	;;#ASMEND
	s_nop 0
	;; [unrolled: 4-line block ×3, first 2 shown]
	;;#ASMSTART
	v_dot2_f32_f16 v26, v73, v89, v26
	;;#ASMEND
	s_waitcnt lgkmcnt(0)
	;;#ASMSTART
	v_dot2_f32_f16 v27, v70, v90, v27
	;;#ASMEND
	s_nop 0
	;;#ASMSTART
	v_dot2_f32_f16 v27, v71, v91, v27
	;;#ASMEND
	s_nop 0
	;;#ASMSTART
	v_dot2_f32_f16 v27, v72, v92, v27
	;;#ASMEND
	s_nop 0
	;;#ASMSTART
	v_dot2_f32_f16 v27, v73, v93, v27
	;;#ASMEND
	;;#ASMSTART
	v_dot2_f32_f16 v64, v74, v86, v64
	;;#ASMEND
	s_nop 0
	;;#ASMSTART
	v_dot2_f32_f16 v64, v75, v87, v64
	;;#ASMEND
	s_nop 0
	;;#ASMSTART
	v_dot2_f32_f16 v64, v76, v88, v64
	;;#ASMEND
	s_nop 0
	;;#ASMSTART
	v_dot2_f32_f16 v64, v77, v89, v64
	;;#ASMEND
	;; [unrolled: 15-line block ×7, first 2 shown]
	ds_read_b128 v[70:73], v39 offset:64
	ds_read_b128 v[74:77], v39 offset:4672
	ds_read_b128 v[78:81], v39 offset:9280
	ds_read_b128 v[82:85], v39 offset:13888
	ds_read_b128 v[86:89], v30 offset:320
	ds_read_b128 v[90:93], v30 offset:1344
	s_waitcnt lgkmcnt(1)
	;;#ASMSTART
	v_dot2_f32_f16 v26, v70, v86, v26
	;;#ASMEND
	s_nop 0
	;;#ASMSTART
	v_dot2_f32_f16 v26, v71, v87, v26
	;;#ASMEND
	s_nop 0
	;; [unrolled: 4-line block ×3, first 2 shown]
	;;#ASMSTART
	v_dot2_f32_f16 v26, v73, v89, v26
	;;#ASMEND
	s_waitcnt lgkmcnt(0)
	;;#ASMSTART
	v_dot2_f32_f16 v27, v70, v90, v27
	;;#ASMEND
	s_nop 0
	;;#ASMSTART
	v_dot2_f32_f16 v27, v71, v91, v27
	;;#ASMEND
	s_nop 0
	;;#ASMSTART
	v_dot2_f32_f16 v27, v72, v92, v27
	;;#ASMEND
	s_nop 0
	;;#ASMSTART
	v_dot2_f32_f16 v27, v73, v93, v27
	;;#ASMEND
	;;#ASMSTART
	v_dot2_f32_f16 v64, v74, v86, v64
	;;#ASMEND
	s_nop 0
	;;#ASMSTART
	v_dot2_f32_f16 v64, v75, v87, v64
	;;#ASMEND
	s_nop 0
	;;#ASMSTART
	v_dot2_f32_f16 v64, v76, v88, v64
	;;#ASMEND
	s_nop 0
	;;#ASMSTART
	v_dot2_f32_f16 v64, v77, v89, v64
	;;#ASMEND
	;; [unrolled: 15-line block ×7, first 2 shown]
	ds_read_b128 v[70:73], v39 offset:80
	ds_read_b128 v[74:77], v39 offset:4688
	;; [unrolled: 1-line block ×6, first 2 shown]
	s_waitcnt lgkmcnt(1)
	;;#ASMSTART
	v_dot2_f32_f16 v26, v70, v86, v26
	;;#ASMEND
	s_nop 0
	;;#ASMSTART
	v_dot2_f32_f16 v26, v71, v87, v26
	;;#ASMEND
	s_nop 0
	;; [unrolled: 4-line block ×3, first 2 shown]
	;;#ASMSTART
	v_dot2_f32_f16 v26, v73, v89, v26
	;;#ASMEND
	s_waitcnt lgkmcnt(0)
	;;#ASMSTART
	v_dot2_f32_f16 v27, v70, v90, v27
	;;#ASMEND
	s_nop 0
	;;#ASMSTART
	v_dot2_f32_f16 v27, v71, v91, v27
	;;#ASMEND
	s_nop 0
	;;#ASMSTART
	v_dot2_f32_f16 v27, v72, v92, v27
	;;#ASMEND
	s_nop 0
	;;#ASMSTART
	v_dot2_f32_f16 v27, v73, v93, v27
	;;#ASMEND
	;;#ASMSTART
	v_dot2_f32_f16 v64, v74, v86, v64
	;;#ASMEND
	s_nop 0
	;;#ASMSTART
	v_dot2_f32_f16 v64, v75, v87, v64
	;;#ASMEND
	s_nop 0
	;;#ASMSTART
	v_dot2_f32_f16 v64, v76, v88, v64
	;;#ASMEND
	s_nop 0
	;;#ASMSTART
	v_dot2_f32_f16 v64, v77, v89, v64
	;;#ASMEND
	;; [unrolled: 15-line block ×7, first 2 shown]
	ds_read_b128 v[70:73], v39 offset:96
	ds_read_b128 v[74:77], v39 offset:4704
	;; [unrolled: 1-line block ×6, first 2 shown]
	s_waitcnt lgkmcnt(1)
	;;#ASMSTART
	v_dot2_f32_f16 v26, v70, v86, v26
	;;#ASMEND
	s_nop 0
	;;#ASMSTART
	v_dot2_f32_f16 v26, v71, v87, v26
	;;#ASMEND
	s_nop 0
	;; [unrolled: 4-line block ×3, first 2 shown]
	;;#ASMSTART
	v_dot2_f32_f16 v26, v73, v89, v26
	;;#ASMEND
	s_waitcnt lgkmcnt(0)
	;;#ASMSTART
	v_dot2_f32_f16 v27, v70, v90, v27
	;;#ASMEND
	s_nop 0
	;;#ASMSTART
	v_dot2_f32_f16 v27, v71, v91, v27
	;;#ASMEND
	s_nop 0
	;;#ASMSTART
	v_dot2_f32_f16 v27, v72, v92, v27
	;;#ASMEND
	s_nop 0
	;;#ASMSTART
	v_dot2_f32_f16 v27, v73, v93, v27
	;;#ASMEND
	;;#ASMSTART
	v_dot2_f32_f16 v64, v74, v86, v64
	;;#ASMEND
	s_nop 0
	;;#ASMSTART
	v_dot2_f32_f16 v64, v75, v87, v64
	;;#ASMEND
	s_nop 0
	;;#ASMSTART
	v_dot2_f32_f16 v64, v76, v88, v64
	;;#ASMEND
	s_nop 0
	;;#ASMSTART
	v_dot2_f32_f16 v64, v77, v89, v64
	;;#ASMEND
	;; [unrolled: 15-line block ×7, first 2 shown]
	ds_read_b128 v[70:73], v39 offset:112
	ds_read_b128 v[74:77], v39 offset:4720
	;; [unrolled: 1-line block ×6, first 2 shown]
	s_waitcnt lgkmcnt(1)
	;;#ASMSTART
	v_dot2_f32_f16 v26, v70, v86, v26
	;;#ASMEND
	s_nop 0
	;;#ASMSTART
	v_dot2_f32_f16 v26, v71, v87, v26
	;;#ASMEND
	s_nop 0
	;; [unrolled: 4-line block ×3, first 2 shown]
	;;#ASMSTART
	v_dot2_f32_f16 v26, v73, v89, v26
	;;#ASMEND
	s_waitcnt lgkmcnt(0)
	;;#ASMSTART
	v_dot2_f32_f16 v27, v70, v90, v27
	;;#ASMEND
	s_nop 0
	;;#ASMSTART
	v_dot2_f32_f16 v27, v71, v91, v27
	;;#ASMEND
	s_nop 0
	;;#ASMSTART
	v_dot2_f32_f16 v27, v72, v92, v27
	;;#ASMEND
	s_nop 0
	;;#ASMSTART
	v_dot2_f32_f16 v27, v73, v93, v27
	;;#ASMEND
	;;#ASMSTART
	v_dot2_f32_f16 v64, v74, v86, v64
	;;#ASMEND
	s_nop 0
	;;#ASMSTART
	v_dot2_f32_f16 v64, v75, v87, v64
	;;#ASMEND
	s_nop 0
	;;#ASMSTART
	v_dot2_f32_f16 v64, v76, v88, v64
	;;#ASMEND
	s_nop 0
	;;#ASMSTART
	v_dot2_f32_f16 v64, v77, v89, v64
	;;#ASMEND
	;; [unrolled: 15-line block ×7, first 2 shown]
	s_barrier
	global_load_dwordx4 v[70:73], v[0:1], off offset:384
	s_waitcnt vmcnt(0)
	ds_write_b128 v37, v[70:73]
	global_load_dwordx4 v[70:73], v[2:3], off offset:384
	s_waitcnt vmcnt(0)
	ds_write_b128 v38, v[70:73]
	s_waitcnt lgkmcnt(0)
	s_barrier
	ds_read_b128 v[70:73], v39
	ds_read_b128 v[74:77], v39 offset:4608
	ds_read_b128 v[78:81], v39 offset:9216
	;; [unrolled: 1-line block ×5, first 2 shown]
	s_waitcnt lgkmcnt(1)
	;;#ASMSTART
	v_dot2_f32_f16 v26, v70, v86, v26
	;;#ASMEND
	s_nop 0
	;;#ASMSTART
	v_dot2_f32_f16 v26, v71, v87, v26
	;;#ASMEND
	s_nop 0
	;; [unrolled: 4-line block ×3, first 2 shown]
	;;#ASMSTART
	v_dot2_f32_f16 v26, v73, v89, v26
	;;#ASMEND
	s_waitcnt lgkmcnt(0)
	;;#ASMSTART
	v_dot2_f32_f16 v27, v70, v90, v27
	;;#ASMEND
	s_nop 0
	;;#ASMSTART
	v_dot2_f32_f16 v27, v71, v91, v27
	;;#ASMEND
	s_nop 0
	;;#ASMSTART
	v_dot2_f32_f16 v27, v72, v92, v27
	;;#ASMEND
	s_nop 0
	;;#ASMSTART
	v_dot2_f32_f16 v27, v73, v93, v27
	;;#ASMEND
	;;#ASMSTART
	v_dot2_f32_f16 v64, v74, v86, v64
	;;#ASMEND
	s_nop 0
	;;#ASMSTART
	v_dot2_f32_f16 v64, v75, v87, v64
	;;#ASMEND
	s_nop 0
	;;#ASMSTART
	v_dot2_f32_f16 v64, v76, v88, v64
	;;#ASMEND
	s_nop 0
	;;#ASMSTART
	v_dot2_f32_f16 v64, v77, v89, v64
	;;#ASMEND
	;;#ASMSTART
	v_dot2_f32_f16 v63, v74, v90, v63
	;;#ASMEND
	s_nop 0
	;;#ASMSTART
	v_dot2_f32_f16 v63, v75, v91, v63
	;;#ASMEND
	s_nop 0
	;;#ASMSTART
	v_dot2_f32_f16 v63, v76, v92, v63
	;;#ASMEND
	s_nop 0
	;;#ASMSTART
	v_dot2_f32_f16 v63, v77, v93, v63
	;;#ASMEND
	;;#ASMSTART
	v_dot2_f32_f16 v66, v78, v86, v66
	;;#ASMEND
	s_nop 0
	;;#ASMSTART
	v_dot2_f32_f16 v66, v79, v87, v66
	;;#ASMEND
	s_nop 0
	;;#ASMSTART
	v_dot2_f32_f16 v66, v80, v88, v66
	;;#ASMEND
	s_nop 0
	;;#ASMSTART
	v_dot2_f32_f16 v66, v81, v89, v66
	;;#ASMEND
	;;#ASMSTART
	v_dot2_f32_f16 v65, v78, v90, v65
	;;#ASMEND
	s_nop 0
	;;#ASMSTART
	v_dot2_f32_f16 v65, v79, v91, v65
	;;#ASMEND
	s_nop 0
	;;#ASMSTART
	v_dot2_f32_f16 v65, v80, v92, v65
	;;#ASMEND
	s_nop 0
	;;#ASMSTART
	v_dot2_f32_f16 v65, v81, v93, v65
	;;#ASMEND
	;;#ASMSTART
	v_dot2_f32_f16 v68, v82, v86, v68
	;;#ASMEND
	s_nop 0
	;;#ASMSTART
	v_dot2_f32_f16 v68, v83, v87, v68
	;;#ASMEND
	s_nop 0
	;;#ASMSTART
	v_dot2_f32_f16 v68, v84, v88, v68
	;;#ASMEND
	s_nop 0
	;;#ASMSTART
	v_dot2_f32_f16 v68, v85, v89, v68
	;;#ASMEND
	;;#ASMSTART
	v_dot2_f32_f16 v67, v82, v90, v67
	;;#ASMEND
	s_nop 0
	;;#ASMSTART
	v_dot2_f32_f16 v67, v83, v91, v67
	;;#ASMEND
	s_nop 0
	;;#ASMSTART
	v_dot2_f32_f16 v67, v84, v92, v67
	;;#ASMEND
	s_nop 0
	;;#ASMSTART
	v_dot2_f32_f16 v67, v85, v93, v67
	;;#ASMEND
	ds_read_b128 v[70:73], v39 offset:16
	ds_read_b128 v[74:77], v39 offset:4624
	;; [unrolled: 1-line block ×6, first 2 shown]
	s_waitcnt lgkmcnt(1)
	;;#ASMSTART
	v_dot2_f32_f16 v26, v70, v86, v26
	;;#ASMEND
	s_nop 0
	;;#ASMSTART
	v_dot2_f32_f16 v26, v71, v87, v26
	;;#ASMEND
	s_nop 0
	;;#ASMSTART
	v_dot2_f32_f16 v26, v72, v88, v26
	;;#ASMEND
	s_nop 0
	;;#ASMSTART
	v_dot2_f32_f16 v26, v73, v89, v26
	;;#ASMEND
	s_waitcnt lgkmcnt(0)
	;;#ASMSTART
	v_dot2_f32_f16 v27, v70, v90, v27
	;;#ASMEND
	s_nop 0
	;;#ASMSTART
	v_dot2_f32_f16 v27, v71, v91, v27
	;;#ASMEND
	s_nop 0
	;;#ASMSTART
	v_dot2_f32_f16 v27, v72, v92, v27
	;;#ASMEND
	s_nop 0
	;;#ASMSTART
	v_dot2_f32_f16 v27, v73, v93, v27
	;;#ASMEND
	;;#ASMSTART
	v_dot2_f32_f16 v64, v74, v86, v64
	;;#ASMEND
	s_nop 0
	;;#ASMSTART
	v_dot2_f32_f16 v64, v75, v87, v64
	;;#ASMEND
	s_nop 0
	;;#ASMSTART
	v_dot2_f32_f16 v64, v76, v88, v64
	;;#ASMEND
	s_nop 0
	;;#ASMSTART
	v_dot2_f32_f16 v64, v77, v89, v64
	;;#ASMEND
	;;#ASMSTART
	v_dot2_f32_f16 v63, v74, v90, v63
	;;#ASMEND
	s_nop 0
	;;#ASMSTART
	v_dot2_f32_f16 v63, v75, v91, v63
	;;#ASMEND
	s_nop 0
	;;#ASMSTART
	v_dot2_f32_f16 v63, v76, v92, v63
	;;#ASMEND
	s_nop 0
	;;#ASMSTART
	v_dot2_f32_f16 v63, v77, v93, v63
	;;#ASMEND
	;;#ASMSTART
	v_dot2_f32_f16 v66, v78, v86, v66
	;;#ASMEND
	s_nop 0
	;;#ASMSTART
	v_dot2_f32_f16 v66, v79, v87, v66
	;;#ASMEND
	s_nop 0
	;;#ASMSTART
	v_dot2_f32_f16 v66, v80, v88, v66
	;;#ASMEND
	s_nop 0
	;;#ASMSTART
	v_dot2_f32_f16 v66, v81, v89, v66
	;;#ASMEND
	;;#ASMSTART
	v_dot2_f32_f16 v65, v78, v90, v65
	;;#ASMEND
	s_nop 0
	;;#ASMSTART
	v_dot2_f32_f16 v65, v79, v91, v65
	;;#ASMEND
	s_nop 0
	;;#ASMSTART
	v_dot2_f32_f16 v65, v80, v92, v65
	;;#ASMEND
	s_nop 0
	;;#ASMSTART
	v_dot2_f32_f16 v65, v81, v93, v65
	;;#ASMEND
	;;#ASMSTART
	v_dot2_f32_f16 v68, v82, v86, v68
	;;#ASMEND
	s_nop 0
	;;#ASMSTART
	v_dot2_f32_f16 v68, v83, v87, v68
	;;#ASMEND
	s_nop 0
	;;#ASMSTART
	v_dot2_f32_f16 v68, v84, v88, v68
	;;#ASMEND
	s_nop 0
	;;#ASMSTART
	v_dot2_f32_f16 v68, v85, v89, v68
	;;#ASMEND
	;;#ASMSTART
	v_dot2_f32_f16 v67, v82, v90, v67
	;;#ASMEND
	s_nop 0
	;;#ASMSTART
	v_dot2_f32_f16 v67, v83, v91, v67
	;;#ASMEND
	s_nop 0
	;;#ASMSTART
	v_dot2_f32_f16 v67, v84, v92, v67
	;;#ASMEND
	s_nop 0
	;;#ASMSTART
	v_dot2_f32_f16 v67, v85, v93, v67
	;;#ASMEND
	ds_read_b128 v[70:73], v39 offset:32
	ds_read_b128 v[74:77], v39 offset:4640
	;; [unrolled: 1-line block ×6, first 2 shown]
	s_waitcnt lgkmcnt(1)
	;;#ASMSTART
	v_dot2_f32_f16 v26, v70, v86, v26
	;;#ASMEND
	s_nop 0
	;;#ASMSTART
	v_dot2_f32_f16 v26, v71, v87, v26
	;;#ASMEND
	s_nop 0
	;;#ASMSTART
	v_dot2_f32_f16 v26, v72, v88, v26
	;;#ASMEND
	s_nop 0
	;;#ASMSTART
	v_dot2_f32_f16 v26, v73, v89, v26
	;;#ASMEND
	s_waitcnt lgkmcnt(0)
	;;#ASMSTART
	v_dot2_f32_f16 v27, v70, v90, v27
	;;#ASMEND
	s_nop 0
	;;#ASMSTART
	v_dot2_f32_f16 v27, v71, v91, v27
	;;#ASMEND
	s_nop 0
	;;#ASMSTART
	v_dot2_f32_f16 v27, v72, v92, v27
	;;#ASMEND
	s_nop 0
	;;#ASMSTART
	v_dot2_f32_f16 v27, v73, v93, v27
	;;#ASMEND
	;;#ASMSTART
	v_dot2_f32_f16 v64, v74, v86, v64
	;;#ASMEND
	s_nop 0
	;;#ASMSTART
	v_dot2_f32_f16 v64, v75, v87, v64
	;;#ASMEND
	s_nop 0
	;;#ASMSTART
	v_dot2_f32_f16 v64, v76, v88, v64
	;;#ASMEND
	s_nop 0
	;;#ASMSTART
	v_dot2_f32_f16 v64, v77, v89, v64
	;;#ASMEND
	;; [unrolled: 15-line block ×7, first 2 shown]
	ds_read_b128 v[70:73], v39 offset:48
	ds_read_b128 v[74:77], v39 offset:4656
	;; [unrolled: 1-line block ×6, first 2 shown]
	s_waitcnt lgkmcnt(1)
	;;#ASMSTART
	v_dot2_f32_f16 v26, v70, v86, v26
	;;#ASMEND
	s_nop 0
	;;#ASMSTART
	v_dot2_f32_f16 v26, v71, v87, v26
	;;#ASMEND
	s_nop 0
	;; [unrolled: 4-line block ×3, first 2 shown]
	;;#ASMSTART
	v_dot2_f32_f16 v26, v73, v89, v26
	;;#ASMEND
	s_waitcnt lgkmcnt(0)
	;;#ASMSTART
	v_dot2_f32_f16 v27, v70, v90, v27
	;;#ASMEND
	s_nop 0
	;;#ASMSTART
	v_dot2_f32_f16 v27, v71, v91, v27
	;;#ASMEND
	s_nop 0
	;;#ASMSTART
	v_dot2_f32_f16 v27, v72, v92, v27
	;;#ASMEND
	s_nop 0
	;;#ASMSTART
	v_dot2_f32_f16 v27, v73, v93, v27
	;;#ASMEND
	;;#ASMSTART
	v_dot2_f32_f16 v64, v74, v86, v64
	;;#ASMEND
	s_nop 0
	;;#ASMSTART
	v_dot2_f32_f16 v64, v75, v87, v64
	;;#ASMEND
	s_nop 0
	;;#ASMSTART
	v_dot2_f32_f16 v64, v76, v88, v64
	;;#ASMEND
	s_nop 0
	;;#ASMSTART
	v_dot2_f32_f16 v64, v77, v89, v64
	;;#ASMEND
	;; [unrolled: 15-line block ×7, first 2 shown]
	ds_read_b128 v[70:73], v39 offset:64
	ds_read_b128 v[74:77], v39 offset:4672
	;; [unrolled: 1-line block ×6, first 2 shown]
	s_waitcnt lgkmcnt(1)
	;;#ASMSTART
	v_dot2_f32_f16 v26, v70, v86, v26
	;;#ASMEND
	s_nop 0
	;;#ASMSTART
	v_dot2_f32_f16 v26, v71, v87, v26
	;;#ASMEND
	s_nop 0
	;; [unrolled: 4-line block ×3, first 2 shown]
	;;#ASMSTART
	v_dot2_f32_f16 v26, v73, v89, v26
	;;#ASMEND
	s_waitcnt lgkmcnt(0)
	;;#ASMSTART
	v_dot2_f32_f16 v27, v70, v90, v27
	;;#ASMEND
	s_nop 0
	;;#ASMSTART
	v_dot2_f32_f16 v27, v71, v91, v27
	;;#ASMEND
	s_nop 0
	;;#ASMSTART
	v_dot2_f32_f16 v27, v72, v92, v27
	;;#ASMEND
	s_nop 0
	;;#ASMSTART
	v_dot2_f32_f16 v27, v73, v93, v27
	;;#ASMEND
	;;#ASMSTART
	v_dot2_f32_f16 v64, v74, v86, v64
	;;#ASMEND
	s_nop 0
	;;#ASMSTART
	v_dot2_f32_f16 v64, v75, v87, v64
	;;#ASMEND
	s_nop 0
	;;#ASMSTART
	v_dot2_f32_f16 v64, v76, v88, v64
	;;#ASMEND
	s_nop 0
	;;#ASMSTART
	v_dot2_f32_f16 v64, v77, v89, v64
	;;#ASMEND
	;; [unrolled: 15-line block ×7, first 2 shown]
	ds_read_b128 v[70:73], v39 offset:80
	ds_read_b128 v[74:77], v39 offset:4688
	;; [unrolled: 1-line block ×6, first 2 shown]
	s_waitcnt lgkmcnt(1)
	;;#ASMSTART
	v_dot2_f32_f16 v26, v70, v86, v26
	;;#ASMEND
	s_nop 0
	;;#ASMSTART
	v_dot2_f32_f16 v26, v71, v87, v26
	;;#ASMEND
	s_nop 0
	;; [unrolled: 4-line block ×3, first 2 shown]
	;;#ASMSTART
	v_dot2_f32_f16 v26, v73, v89, v26
	;;#ASMEND
	s_waitcnt lgkmcnt(0)
	;;#ASMSTART
	v_dot2_f32_f16 v27, v70, v90, v27
	;;#ASMEND
	s_nop 0
	;;#ASMSTART
	v_dot2_f32_f16 v27, v71, v91, v27
	;;#ASMEND
	s_nop 0
	;;#ASMSTART
	v_dot2_f32_f16 v27, v72, v92, v27
	;;#ASMEND
	s_nop 0
	;;#ASMSTART
	v_dot2_f32_f16 v27, v73, v93, v27
	;;#ASMEND
	;;#ASMSTART
	v_dot2_f32_f16 v64, v74, v86, v64
	;;#ASMEND
	s_nop 0
	;;#ASMSTART
	v_dot2_f32_f16 v64, v75, v87, v64
	;;#ASMEND
	s_nop 0
	;;#ASMSTART
	v_dot2_f32_f16 v64, v76, v88, v64
	;;#ASMEND
	s_nop 0
	;;#ASMSTART
	v_dot2_f32_f16 v64, v77, v89, v64
	;;#ASMEND
	;; [unrolled: 15-line block ×7, first 2 shown]
	ds_read_b128 v[70:73], v39 offset:96
	ds_read_b128 v[74:77], v39 offset:4704
	;; [unrolled: 1-line block ×6, first 2 shown]
	s_waitcnt lgkmcnt(1)
	;;#ASMSTART
	v_dot2_f32_f16 v26, v70, v86, v26
	;;#ASMEND
	s_nop 0
	;;#ASMSTART
	v_dot2_f32_f16 v26, v71, v87, v26
	;;#ASMEND
	s_nop 0
	;;#ASMSTART
	v_dot2_f32_f16 v26, v72, v88, v26
	;;#ASMEND
	s_nop 0
	;;#ASMSTART
	v_dot2_f32_f16 v26, v73, v89, v26
	;;#ASMEND
	s_waitcnt lgkmcnt(0)
	;;#ASMSTART
	v_dot2_f32_f16 v27, v70, v90, v27
	;;#ASMEND
	s_nop 0
	;;#ASMSTART
	v_dot2_f32_f16 v27, v71, v91, v27
	;;#ASMEND
	s_nop 0
	;;#ASMSTART
	v_dot2_f32_f16 v27, v72, v92, v27
	;;#ASMEND
	s_nop 0
	;;#ASMSTART
	v_dot2_f32_f16 v27, v73, v93, v27
	;;#ASMEND
	;;#ASMSTART
	v_dot2_f32_f16 v64, v74, v86, v64
	;;#ASMEND
	s_nop 0
	;;#ASMSTART
	v_dot2_f32_f16 v64, v75, v87, v64
	;;#ASMEND
	s_nop 0
	;;#ASMSTART
	v_dot2_f32_f16 v64, v76, v88, v64
	;;#ASMEND
	s_nop 0
	;;#ASMSTART
	v_dot2_f32_f16 v64, v77, v89, v64
	;;#ASMEND
	;; [unrolled: 15-line block ×7, first 2 shown]
	ds_read_b128 v[70:73], v39 offset:112
	ds_read_b128 v[74:77], v39 offset:4720
	;; [unrolled: 1-line block ×6, first 2 shown]
	s_waitcnt lgkmcnt(1)
	;;#ASMSTART
	v_dot2_f32_f16 v26, v70, v86, v26
	;;#ASMEND
	s_nop 0
	;;#ASMSTART
	v_dot2_f32_f16 v26, v71, v87, v26
	;;#ASMEND
	s_nop 0
	;;#ASMSTART
	v_dot2_f32_f16 v26, v72, v88, v26
	;;#ASMEND
	s_nop 0
	;;#ASMSTART
	v_dot2_f32_f16 v26, v73, v89, v26
	;;#ASMEND
	s_waitcnt lgkmcnt(0)
	;;#ASMSTART
	v_dot2_f32_f16 v27, v70, v90, v27
	;;#ASMEND
	s_nop 0
	;;#ASMSTART
	v_dot2_f32_f16 v27, v71, v91, v27
	;;#ASMEND
	s_nop 0
	;;#ASMSTART
	v_dot2_f32_f16 v27, v72, v92, v27
	;;#ASMEND
	s_nop 0
	;;#ASMSTART
	v_dot2_f32_f16 v27, v73, v93, v27
	;;#ASMEND
	;;#ASMSTART
	v_dot2_f32_f16 v64, v74, v86, v64
	;;#ASMEND
	s_nop 0
	;;#ASMSTART
	v_dot2_f32_f16 v64, v75, v87, v64
	;;#ASMEND
	s_nop 0
	;;#ASMSTART
	v_dot2_f32_f16 v64, v76, v88, v64
	;;#ASMEND
	s_nop 0
	;;#ASMSTART
	v_dot2_f32_f16 v64, v77, v89, v64
	;;#ASMEND
	;; [unrolled: 15-line block ×7, first 2 shown]
	s_barrier
	global_load_dwordx4 v[70:73], v[0:1], off offset:512
	s_waitcnt vmcnt(0)
	ds_write_b128 v37, v[70:73]
	global_load_dwordx4 v[70:73], v[2:3], off offset:512
	s_waitcnt vmcnt(0)
	ds_write_b128 v38, v[70:73]
	s_waitcnt lgkmcnt(0)
	s_barrier
	ds_read_b128 v[70:73], v39
	ds_read_b128 v[74:77], v39 offset:4608
	ds_read_b128 v[78:81], v39 offset:9216
	;; [unrolled: 1-line block ×5, first 2 shown]
	s_waitcnt lgkmcnt(1)
	;;#ASMSTART
	v_dot2_f32_f16 v26, v70, v86, v26
	;;#ASMEND
	s_nop 0
	;;#ASMSTART
	v_dot2_f32_f16 v26, v71, v87, v26
	;;#ASMEND
	s_nop 0
	;; [unrolled: 4-line block ×3, first 2 shown]
	;;#ASMSTART
	v_dot2_f32_f16 v26, v73, v89, v26
	;;#ASMEND
	s_waitcnt lgkmcnt(0)
	;;#ASMSTART
	v_dot2_f32_f16 v27, v70, v90, v27
	;;#ASMEND
	s_nop 0
	;;#ASMSTART
	v_dot2_f32_f16 v27, v71, v91, v27
	;;#ASMEND
	s_nop 0
	;;#ASMSTART
	v_dot2_f32_f16 v27, v72, v92, v27
	;;#ASMEND
	s_nop 0
	;;#ASMSTART
	v_dot2_f32_f16 v27, v73, v93, v27
	;;#ASMEND
	;;#ASMSTART
	v_dot2_f32_f16 v64, v74, v86, v64
	;;#ASMEND
	s_nop 0
	;;#ASMSTART
	v_dot2_f32_f16 v64, v75, v87, v64
	;;#ASMEND
	s_nop 0
	;;#ASMSTART
	v_dot2_f32_f16 v64, v76, v88, v64
	;;#ASMEND
	s_nop 0
	;;#ASMSTART
	v_dot2_f32_f16 v64, v77, v89, v64
	;;#ASMEND
	;; [unrolled: 15-line block ×7, first 2 shown]
	ds_read_b128 v[70:73], v39 offset:16
	ds_read_b128 v[74:77], v39 offset:4624
	ds_read_b128 v[78:81], v39 offset:9232
	ds_read_b128 v[82:85], v39 offset:13840
	ds_read_b128 v[86:89], v30 offset:528
	ds_read_b128 v[90:93], v30 offset:1552
	s_waitcnt lgkmcnt(1)
	;;#ASMSTART
	v_dot2_f32_f16 v26, v70, v86, v26
	;;#ASMEND
	s_nop 0
	;;#ASMSTART
	v_dot2_f32_f16 v26, v71, v87, v26
	;;#ASMEND
	s_nop 0
	;; [unrolled: 4-line block ×3, first 2 shown]
	;;#ASMSTART
	v_dot2_f32_f16 v26, v73, v89, v26
	;;#ASMEND
	s_waitcnt lgkmcnt(0)
	;;#ASMSTART
	v_dot2_f32_f16 v27, v70, v90, v27
	;;#ASMEND
	s_nop 0
	;;#ASMSTART
	v_dot2_f32_f16 v27, v71, v91, v27
	;;#ASMEND
	s_nop 0
	;;#ASMSTART
	v_dot2_f32_f16 v27, v72, v92, v27
	;;#ASMEND
	s_nop 0
	;;#ASMSTART
	v_dot2_f32_f16 v27, v73, v93, v27
	;;#ASMEND
	;;#ASMSTART
	v_dot2_f32_f16 v64, v74, v86, v64
	;;#ASMEND
	s_nop 0
	;;#ASMSTART
	v_dot2_f32_f16 v64, v75, v87, v64
	;;#ASMEND
	s_nop 0
	;;#ASMSTART
	v_dot2_f32_f16 v64, v76, v88, v64
	;;#ASMEND
	s_nop 0
	;;#ASMSTART
	v_dot2_f32_f16 v64, v77, v89, v64
	;;#ASMEND
	;; [unrolled: 15-line block ×7, first 2 shown]
	ds_read_b128 v[70:73], v39 offset:32
	ds_read_b128 v[74:77], v39 offset:4640
	;; [unrolled: 1-line block ×6, first 2 shown]
	s_waitcnt lgkmcnt(1)
	;;#ASMSTART
	v_dot2_f32_f16 v26, v70, v86, v26
	;;#ASMEND
	s_nop 0
	;;#ASMSTART
	v_dot2_f32_f16 v26, v71, v87, v26
	;;#ASMEND
	s_nop 0
	;; [unrolled: 4-line block ×3, first 2 shown]
	;;#ASMSTART
	v_dot2_f32_f16 v26, v73, v89, v26
	;;#ASMEND
	s_waitcnt lgkmcnt(0)
	;;#ASMSTART
	v_dot2_f32_f16 v27, v70, v90, v27
	;;#ASMEND
	s_nop 0
	;;#ASMSTART
	v_dot2_f32_f16 v27, v71, v91, v27
	;;#ASMEND
	s_nop 0
	;;#ASMSTART
	v_dot2_f32_f16 v27, v72, v92, v27
	;;#ASMEND
	s_nop 0
	;;#ASMSTART
	v_dot2_f32_f16 v27, v73, v93, v27
	;;#ASMEND
	;;#ASMSTART
	v_dot2_f32_f16 v64, v74, v86, v64
	;;#ASMEND
	s_nop 0
	;;#ASMSTART
	v_dot2_f32_f16 v64, v75, v87, v64
	;;#ASMEND
	s_nop 0
	;;#ASMSTART
	v_dot2_f32_f16 v64, v76, v88, v64
	;;#ASMEND
	s_nop 0
	;;#ASMSTART
	v_dot2_f32_f16 v64, v77, v89, v64
	;;#ASMEND
	;; [unrolled: 15-line block ×7, first 2 shown]
	ds_read_b128 v[70:73], v39 offset:48
	ds_read_b128 v[74:77], v39 offset:4656
	;; [unrolled: 1-line block ×6, first 2 shown]
	s_waitcnt lgkmcnt(1)
	;;#ASMSTART
	v_dot2_f32_f16 v26, v70, v86, v26
	;;#ASMEND
	s_nop 0
	;;#ASMSTART
	v_dot2_f32_f16 v26, v71, v87, v26
	;;#ASMEND
	s_nop 0
	;; [unrolled: 4-line block ×3, first 2 shown]
	;;#ASMSTART
	v_dot2_f32_f16 v26, v73, v89, v26
	;;#ASMEND
	s_waitcnt lgkmcnt(0)
	;;#ASMSTART
	v_dot2_f32_f16 v27, v70, v90, v27
	;;#ASMEND
	s_nop 0
	;;#ASMSTART
	v_dot2_f32_f16 v27, v71, v91, v27
	;;#ASMEND
	s_nop 0
	;;#ASMSTART
	v_dot2_f32_f16 v27, v72, v92, v27
	;;#ASMEND
	s_nop 0
	;;#ASMSTART
	v_dot2_f32_f16 v27, v73, v93, v27
	;;#ASMEND
	;;#ASMSTART
	v_dot2_f32_f16 v64, v74, v86, v64
	;;#ASMEND
	s_nop 0
	;;#ASMSTART
	v_dot2_f32_f16 v64, v75, v87, v64
	;;#ASMEND
	s_nop 0
	;;#ASMSTART
	v_dot2_f32_f16 v64, v76, v88, v64
	;;#ASMEND
	s_nop 0
	;;#ASMSTART
	v_dot2_f32_f16 v64, v77, v89, v64
	;;#ASMEND
	;; [unrolled: 15-line block ×7, first 2 shown]
	ds_read_b128 v[70:73], v39 offset:64
	ds_read_b128 v[74:77], v39 offset:4672
	;; [unrolled: 1-line block ×6, first 2 shown]
	s_waitcnt lgkmcnt(1)
	;;#ASMSTART
	v_dot2_f32_f16 v26, v70, v86, v26
	;;#ASMEND
	s_nop 0
	;;#ASMSTART
	v_dot2_f32_f16 v26, v71, v87, v26
	;;#ASMEND
	s_nop 0
	;; [unrolled: 4-line block ×3, first 2 shown]
	;;#ASMSTART
	v_dot2_f32_f16 v26, v73, v89, v26
	;;#ASMEND
	s_waitcnt lgkmcnt(0)
	;;#ASMSTART
	v_dot2_f32_f16 v27, v70, v90, v27
	;;#ASMEND
	s_nop 0
	;;#ASMSTART
	v_dot2_f32_f16 v27, v71, v91, v27
	;;#ASMEND
	s_nop 0
	;;#ASMSTART
	v_dot2_f32_f16 v27, v72, v92, v27
	;;#ASMEND
	s_nop 0
	;;#ASMSTART
	v_dot2_f32_f16 v27, v73, v93, v27
	;;#ASMEND
	;;#ASMSTART
	v_dot2_f32_f16 v64, v74, v86, v64
	;;#ASMEND
	s_nop 0
	;;#ASMSTART
	v_dot2_f32_f16 v64, v75, v87, v64
	;;#ASMEND
	s_nop 0
	;;#ASMSTART
	v_dot2_f32_f16 v64, v76, v88, v64
	;;#ASMEND
	s_nop 0
	;;#ASMSTART
	v_dot2_f32_f16 v64, v77, v89, v64
	;;#ASMEND
	;; [unrolled: 15-line block ×7, first 2 shown]
	ds_read_b128 v[70:73], v39 offset:80
	ds_read_b128 v[74:77], v39 offset:4688
	;; [unrolled: 1-line block ×6, first 2 shown]
	s_waitcnt lgkmcnt(1)
	;;#ASMSTART
	v_dot2_f32_f16 v26, v70, v86, v26
	;;#ASMEND
	s_nop 0
	;;#ASMSTART
	v_dot2_f32_f16 v26, v71, v87, v26
	;;#ASMEND
	s_nop 0
	;; [unrolled: 4-line block ×3, first 2 shown]
	;;#ASMSTART
	v_dot2_f32_f16 v26, v73, v89, v26
	;;#ASMEND
	s_waitcnt lgkmcnt(0)
	;;#ASMSTART
	v_dot2_f32_f16 v27, v70, v90, v27
	;;#ASMEND
	s_nop 0
	;;#ASMSTART
	v_dot2_f32_f16 v27, v71, v91, v27
	;;#ASMEND
	s_nop 0
	;;#ASMSTART
	v_dot2_f32_f16 v27, v72, v92, v27
	;;#ASMEND
	s_nop 0
	;;#ASMSTART
	v_dot2_f32_f16 v27, v73, v93, v27
	;;#ASMEND
	;;#ASMSTART
	v_dot2_f32_f16 v64, v74, v86, v64
	;;#ASMEND
	s_nop 0
	;;#ASMSTART
	v_dot2_f32_f16 v64, v75, v87, v64
	;;#ASMEND
	s_nop 0
	;;#ASMSTART
	v_dot2_f32_f16 v64, v76, v88, v64
	;;#ASMEND
	s_nop 0
	;;#ASMSTART
	v_dot2_f32_f16 v64, v77, v89, v64
	;;#ASMEND
	;; [unrolled: 15-line block ×7, first 2 shown]
	ds_read_b128 v[70:73], v39 offset:96
	ds_read_b128 v[74:77], v39 offset:4704
	;; [unrolled: 1-line block ×6, first 2 shown]
	s_waitcnt lgkmcnt(1)
	;;#ASMSTART
	v_dot2_f32_f16 v26, v70, v86, v26
	;;#ASMEND
	s_nop 0
	;;#ASMSTART
	v_dot2_f32_f16 v26, v71, v87, v26
	;;#ASMEND
	s_nop 0
	;;#ASMSTART
	v_dot2_f32_f16 v26, v72, v88, v26
	;;#ASMEND
	s_nop 0
	;;#ASMSTART
	v_dot2_f32_f16 v26, v73, v89, v26
	;;#ASMEND
	s_waitcnt lgkmcnt(0)
	;;#ASMSTART
	v_dot2_f32_f16 v27, v70, v90, v27
	;;#ASMEND
	s_nop 0
	;;#ASMSTART
	v_dot2_f32_f16 v27, v71, v91, v27
	;;#ASMEND
	s_nop 0
	;;#ASMSTART
	v_dot2_f32_f16 v27, v72, v92, v27
	;;#ASMEND
	s_nop 0
	;;#ASMSTART
	v_dot2_f32_f16 v27, v73, v93, v27
	;;#ASMEND
	;;#ASMSTART
	v_dot2_f32_f16 v64, v74, v86, v64
	;;#ASMEND
	s_nop 0
	;;#ASMSTART
	v_dot2_f32_f16 v64, v75, v87, v64
	;;#ASMEND
	s_nop 0
	;;#ASMSTART
	v_dot2_f32_f16 v64, v76, v88, v64
	;;#ASMEND
	s_nop 0
	;;#ASMSTART
	v_dot2_f32_f16 v64, v77, v89, v64
	;;#ASMEND
	;; [unrolled: 15-line block ×7, first 2 shown]
	ds_read_b128 v[70:73], v39 offset:112
	ds_read_b128 v[74:77], v39 offset:4720
	;; [unrolled: 1-line block ×6, first 2 shown]
	s_waitcnt lgkmcnt(1)
	;;#ASMSTART
	v_dot2_f32_f16 v26, v70, v86, v26
	;;#ASMEND
	s_nop 0
	;;#ASMSTART
	v_dot2_f32_f16 v26, v71, v87, v26
	;;#ASMEND
	s_nop 0
	;; [unrolled: 4-line block ×3, first 2 shown]
	;;#ASMSTART
	v_dot2_f32_f16 v26, v73, v89, v26
	;;#ASMEND
	s_waitcnt lgkmcnt(0)
	;;#ASMSTART
	v_dot2_f32_f16 v27, v70, v90, v27
	;;#ASMEND
	s_nop 0
	;;#ASMSTART
	v_dot2_f32_f16 v27, v71, v91, v27
	;;#ASMEND
	s_nop 0
	;;#ASMSTART
	v_dot2_f32_f16 v27, v72, v92, v27
	;;#ASMEND
	s_nop 0
	;;#ASMSTART
	v_dot2_f32_f16 v27, v73, v93, v27
	;;#ASMEND
	;;#ASMSTART
	v_dot2_f32_f16 v64, v74, v86, v64
	;;#ASMEND
	s_nop 0
	;;#ASMSTART
	v_dot2_f32_f16 v64, v75, v87, v64
	;;#ASMEND
	s_nop 0
	;;#ASMSTART
	v_dot2_f32_f16 v64, v76, v88, v64
	;;#ASMEND
	s_nop 0
	;;#ASMSTART
	v_dot2_f32_f16 v64, v77, v89, v64
	;;#ASMEND
	;; [unrolled: 15-line block ×7, first 2 shown]
	s_barrier
	global_load_dwordx4 v[70:73], v[0:1], off offset:640
	s_waitcnt vmcnt(0)
	ds_write_b128 v37, v[70:73]
	global_load_dwordx4 v[70:73], v[2:3], off offset:640
	s_waitcnt vmcnt(0)
	ds_write_b128 v38, v[70:73]
	s_waitcnt lgkmcnt(0)
	s_barrier
	ds_read_b128 v[70:73], v39
	ds_read_b128 v[74:77], v39 offset:4608
	ds_read_b128 v[78:81], v39 offset:9216
	;; [unrolled: 1-line block ×5, first 2 shown]
	s_waitcnt lgkmcnt(1)
	;;#ASMSTART
	v_dot2_f32_f16 v26, v70, v86, v26
	;;#ASMEND
	s_nop 0
	;;#ASMSTART
	v_dot2_f32_f16 v26, v71, v87, v26
	;;#ASMEND
	s_nop 0
	;;#ASMSTART
	v_dot2_f32_f16 v26, v72, v88, v26
	;;#ASMEND
	s_nop 0
	;;#ASMSTART
	v_dot2_f32_f16 v26, v73, v89, v26
	;;#ASMEND
	s_waitcnt lgkmcnt(0)
	;;#ASMSTART
	v_dot2_f32_f16 v27, v70, v90, v27
	;;#ASMEND
	s_nop 0
	;;#ASMSTART
	v_dot2_f32_f16 v27, v71, v91, v27
	;;#ASMEND
	s_nop 0
	;;#ASMSTART
	v_dot2_f32_f16 v27, v72, v92, v27
	;;#ASMEND
	s_nop 0
	;;#ASMSTART
	v_dot2_f32_f16 v27, v73, v93, v27
	;;#ASMEND
	;;#ASMSTART
	v_dot2_f32_f16 v64, v74, v86, v64
	;;#ASMEND
	s_nop 0
	;;#ASMSTART
	v_dot2_f32_f16 v64, v75, v87, v64
	;;#ASMEND
	s_nop 0
	;;#ASMSTART
	v_dot2_f32_f16 v64, v76, v88, v64
	;;#ASMEND
	s_nop 0
	;;#ASMSTART
	v_dot2_f32_f16 v64, v77, v89, v64
	;;#ASMEND
	;; [unrolled: 15-line block ×7, first 2 shown]
	ds_read_b128 v[70:73], v39 offset:16
	ds_read_b128 v[74:77], v39 offset:4624
	;; [unrolled: 1-line block ×6, first 2 shown]
	s_waitcnt lgkmcnt(1)
	;;#ASMSTART
	v_dot2_f32_f16 v26, v70, v86, v26
	;;#ASMEND
	s_nop 0
	;;#ASMSTART
	v_dot2_f32_f16 v26, v71, v87, v26
	;;#ASMEND
	s_nop 0
	;;#ASMSTART
	v_dot2_f32_f16 v26, v72, v88, v26
	;;#ASMEND
	s_nop 0
	;;#ASMSTART
	v_dot2_f32_f16 v26, v73, v89, v26
	;;#ASMEND
	s_waitcnt lgkmcnt(0)
	;;#ASMSTART
	v_dot2_f32_f16 v27, v70, v90, v27
	;;#ASMEND
	s_nop 0
	;;#ASMSTART
	v_dot2_f32_f16 v27, v71, v91, v27
	;;#ASMEND
	s_nop 0
	;;#ASMSTART
	v_dot2_f32_f16 v27, v72, v92, v27
	;;#ASMEND
	s_nop 0
	;;#ASMSTART
	v_dot2_f32_f16 v27, v73, v93, v27
	;;#ASMEND
	;;#ASMSTART
	v_dot2_f32_f16 v64, v74, v86, v64
	;;#ASMEND
	s_nop 0
	;;#ASMSTART
	v_dot2_f32_f16 v64, v75, v87, v64
	;;#ASMEND
	s_nop 0
	;;#ASMSTART
	v_dot2_f32_f16 v64, v76, v88, v64
	;;#ASMEND
	s_nop 0
	;;#ASMSTART
	v_dot2_f32_f16 v64, v77, v89, v64
	;;#ASMEND
	;; [unrolled: 15-line block ×7, first 2 shown]
	ds_read_b128 v[70:73], v39 offset:32
	ds_read_b128 v[74:77], v39 offset:4640
	;; [unrolled: 1-line block ×6, first 2 shown]
	s_waitcnt lgkmcnt(1)
	;;#ASMSTART
	v_dot2_f32_f16 v26, v70, v86, v26
	;;#ASMEND
	s_nop 0
	;;#ASMSTART
	v_dot2_f32_f16 v26, v71, v87, v26
	;;#ASMEND
	s_nop 0
	;; [unrolled: 4-line block ×3, first 2 shown]
	;;#ASMSTART
	v_dot2_f32_f16 v26, v73, v89, v26
	;;#ASMEND
	s_waitcnt lgkmcnt(0)
	;;#ASMSTART
	v_dot2_f32_f16 v27, v70, v90, v27
	;;#ASMEND
	s_nop 0
	;;#ASMSTART
	v_dot2_f32_f16 v27, v71, v91, v27
	;;#ASMEND
	s_nop 0
	;;#ASMSTART
	v_dot2_f32_f16 v27, v72, v92, v27
	;;#ASMEND
	s_nop 0
	;;#ASMSTART
	v_dot2_f32_f16 v27, v73, v93, v27
	;;#ASMEND
	;;#ASMSTART
	v_dot2_f32_f16 v64, v74, v86, v64
	;;#ASMEND
	s_nop 0
	;;#ASMSTART
	v_dot2_f32_f16 v64, v75, v87, v64
	;;#ASMEND
	s_nop 0
	;;#ASMSTART
	v_dot2_f32_f16 v64, v76, v88, v64
	;;#ASMEND
	s_nop 0
	;;#ASMSTART
	v_dot2_f32_f16 v64, v77, v89, v64
	;;#ASMEND
	;; [unrolled: 15-line block ×7, first 2 shown]
	ds_read_b128 v[70:73], v39 offset:48
	ds_read_b128 v[74:77], v39 offset:4656
	ds_read_b128 v[78:81], v39 offset:9264
	ds_read_b128 v[82:85], v39 offset:13872
	ds_read_b128 v[86:89], v30 offset:688
	ds_read_b128 v[90:93], v30 offset:1712
	s_waitcnt lgkmcnt(1)
	;;#ASMSTART
	v_dot2_f32_f16 v26, v70, v86, v26
	;;#ASMEND
	s_nop 0
	;;#ASMSTART
	v_dot2_f32_f16 v26, v71, v87, v26
	;;#ASMEND
	s_nop 0
	;; [unrolled: 4-line block ×3, first 2 shown]
	;;#ASMSTART
	v_dot2_f32_f16 v26, v73, v89, v26
	;;#ASMEND
	s_waitcnt lgkmcnt(0)
	;;#ASMSTART
	v_dot2_f32_f16 v27, v70, v90, v27
	;;#ASMEND
	s_nop 0
	;;#ASMSTART
	v_dot2_f32_f16 v27, v71, v91, v27
	;;#ASMEND
	s_nop 0
	;;#ASMSTART
	v_dot2_f32_f16 v27, v72, v92, v27
	;;#ASMEND
	s_nop 0
	;;#ASMSTART
	v_dot2_f32_f16 v27, v73, v93, v27
	;;#ASMEND
	;;#ASMSTART
	v_dot2_f32_f16 v64, v74, v86, v64
	;;#ASMEND
	s_nop 0
	;;#ASMSTART
	v_dot2_f32_f16 v64, v75, v87, v64
	;;#ASMEND
	s_nop 0
	;;#ASMSTART
	v_dot2_f32_f16 v64, v76, v88, v64
	;;#ASMEND
	s_nop 0
	;;#ASMSTART
	v_dot2_f32_f16 v64, v77, v89, v64
	;;#ASMEND
	;; [unrolled: 15-line block ×7, first 2 shown]
	ds_read_b128 v[70:73], v39 offset:64
	ds_read_b128 v[74:77], v39 offset:4672
	;; [unrolled: 1-line block ×6, first 2 shown]
	s_waitcnt lgkmcnt(1)
	;;#ASMSTART
	v_dot2_f32_f16 v26, v70, v86, v26
	;;#ASMEND
	s_nop 0
	;;#ASMSTART
	v_dot2_f32_f16 v26, v71, v87, v26
	;;#ASMEND
	s_nop 0
	;; [unrolled: 4-line block ×3, first 2 shown]
	;;#ASMSTART
	v_dot2_f32_f16 v26, v73, v89, v26
	;;#ASMEND
	s_waitcnt lgkmcnt(0)
	;;#ASMSTART
	v_dot2_f32_f16 v27, v70, v90, v27
	;;#ASMEND
	s_nop 0
	;;#ASMSTART
	v_dot2_f32_f16 v27, v71, v91, v27
	;;#ASMEND
	s_nop 0
	;;#ASMSTART
	v_dot2_f32_f16 v27, v72, v92, v27
	;;#ASMEND
	s_nop 0
	;;#ASMSTART
	v_dot2_f32_f16 v27, v73, v93, v27
	;;#ASMEND
	;;#ASMSTART
	v_dot2_f32_f16 v64, v74, v86, v64
	;;#ASMEND
	s_nop 0
	;;#ASMSTART
	v_dot2_f32_f16 v64, v75, v87, v64
	;;#ASMEND
	s_nop 0
	;;#ASMSTART
	v_dot2_f32_f16 v64, v76, v88, v64
	;;#ASMEND
	s_nop 0
	;;#ASMSTART
	v_dot2_f32_f16 v64, v77, v89, v64
	;;#ASMEND
	;; [unrolled: 15-line block ×7, first 2 shown]
	ds_read_b128 v[70:73], v39 offset:80
	ds_read_b128 v[74:77], v39 offset:4688
	;; [unrolled: 1-line block ×6, first 2 shown]
	s_waitcnt lgkmcnt(1)
	;;#ASMSTART
	v_dot2_f32_f16 v26, v70, v86, v26
	;;#ASMEND
	s_nop 0
	;;#ASMSTART
	v_dot2_f32_f16 v26, v71, v87, v26
	;;#ASMEND
	s_nop 0
	;;#ASMSTART
	v_dot2_f32_f16 v26, v72, v88, v26
	;;#ASMEND
	s_nop 0
	;;#ASMSTART
	v_dot2_f32_f16 v26, v73, v89, v26
	;;#ASMEND
	s_waitcnt lgkmcnt(0)
	;;#ASMSTART
	v_dot2_f32_f16 v27, v70, v90, v27
	;;#ASMEND
	s_nop 0
	;;#ASMSTART
	v_dot2_f32_f16 v27, v71, v91, v27
	;;#ASMEND
	s_nop 0
	;;#ASMSTART
	v_dot2_f32_f16 v27, v72, v92, v27
	;;#ASMEND
	s_nop 0
	;;#ASMSTART
	v_dot2_f32_f16 v27, v73, v93, v27
	;;#ASMEND
	;;#ASMSTART
	v_dot2_f32_f16 v64, v74, v86, v64
	;;#ASMEND
	s_nop 0
	;;#ASMSTART
	v_dot2_f32_f16 v64, v75, v87, v64
	;;#ASMEND
	s_nop 0
	;;#ASMSTART
	v_dot2_f32_f16 v64, v76, v88, v64
	;;#ASMEND
	s_nop 0
	;;#ASMSTART
	v_dot2_f32_f16 v64, v77, v89, v64
	;;#ASMEND
	;; [unrolled: 15-line block ×7, first 2 shown]
	ds_read_b128 v[70:73], v39 offset:96
	ds_read_b128 v[74:77], v39 offset:4704
	;; [unrolled: 1-line block ×6, first 2 shown]
	s_waitcnt lgkmcnt(1)
	;;#ASMSTART
	v_dot2_f32_f16 v26, v70, v86, v26
	;;#ASMEND
	s_nop 0
	;;#ASMSTART
	v_dot2_f32_f16 v26, v71, v87, v26
	;;#ASMEND
	s_nop 0
	;; [unrolled: 4-line block ×3, first 2 shown]
	;;#ASMSTART
	v_dot2_f32_f16 v26, v73, v89, v26
	;;#ASMEND
	s_waitcnt lgkmcnt(0)
	;;#ASMSTART
	v_dot2_f32_f16 v27, v70, v90, v27
	;;#ASMEND
	s_nop 0
	;;#ASMSTART
	v_dot2_f32_f16 v27, v71, v91, v27
	;;#ASMEND
	s_nop 0
	;;#ASMSTART
	v_dot2_f32_f16 v27, v72, v92, v27
	;;#ASMEND
	s_nop 0
	;;#ASMSTART
	v_dot2_f32_f16 v27, v73, v93, v27
	;;#ASMEND
	;;#ASMSTART
	v_dot2_f32_f16 v64, v74, v86, v64
	;;#ASMEND
	s_nop 0
	;;#ASMSTART
	v_dot2_f32_f16 v64, v75, v87, v64
	;;#ASMEND
	s_nop 0
	;;#ASMSTART
	v_dot2_f32_f16 v64, v76, v88, v64
	;;#ASMEND
	s_nop 0
	;;#ASMSTART
	v_dot2_f32_f16 v64, v77, v89, v64
	;;#ASMEND
	;; [unrolled: 15-line block ×7, first 2 shown]
	ds_read_b128 v[70:73], v39 offset:112
	ds_read_b128 v[74:77], v39 offset:4720
	;; [unrolled: 1-line block ×6, first 2 shown]
	s_waitcnt lgkmcnt(1)
	;;#ASMSTART
	v_dot2_f32_f16 v26, v70, v86, v26
	;;#ASMEND
	s_nop 0
	;;#ASMSTART
	v_dot2_f32_f16 v26, v71, v87, v26
	;;#ASMEND
	s_nop 0
	;;#ASMSTART
	v_dot2_f32_f16 v26, v72, v88, v26
	;;#ASMEND
	s_nop 0
	;;#ASMSTART
	v_dot2_f32_f16 v26, v73, v89, v26
	;;#ASMEND
	s_waitcnt lgkmcnt(0)
	;;#ASMSTART
	v_dot2_f32_f16 v27, v70, v90, v27
	;;#ASMEND
	s_nop 0
	;;#ASMSTART
	v_dot2_f32_f16 v27, v71, v91, v27
	;;#ASMEND
	s_nop 0
	;;#ASMSTART
	v_dot2_f32_f16 v27, v72, v92, v27
	;;#ASMEND
	s_nop 0
	;;#ASMSTART
	v_dot2_f32_f16 v27, v73, v93, v27
	;;#ASMEND
	;;#ASMSTART
	v_dot2_f32_f16 v64, v74, v86, v64
	;;#ASMEND
	s_nop 0
	;;#ASMSTART
	v_dot2_f32_f16 v64, v75, v87, v64
	;;#ASMEND
	s_nop 0
	;;#ASMSTART
	v_dot2_f32_f16 v64, v76, v88, v64
	;;#ASMEND
	s_nop 0
	;;#ASMSTART
	v_dot2_f32_f16 v64, v77, v89, v64
	;;#ASMEND
	;; [unrolled: 15-line block ×7, first 2 shown]
	s_barrier
	global_load_dwordx4 v[70:73], v[0:1], off offset:768
	s_waitcnt vmcnt(0)
	ds_write_b128 v37, v[70:73]
	global_load_dwordx4 v[70:73], v[2:3], off offset:768
	s_waitcnt vmcnt(0)
	ds_write_b128 v38, v[70:73]
	s_waitcnt lgkmcnt(0)
	s_barrier
	ds_read_b128 v[70:73], v39
	ds_read_b128 v[74:77], v39 offset:4608
	ds_read_b128 v[78:81], v39 offset:9216
	;; [unrolled: 1-line block ×5, first 2 shown]
	s_waitcnt lgkmcnt(1)
	;;#ASMSTART
	v_dot2_f32_f16 v26, v70, v86, v26
	;;#ASMEND
	s_nop 0
	;;#ASMSTART
	v_dot2_f32_f16 v26, v71, v87, v26
	;;#ASMEND
	s_nop 0
	;;#ASMSTART
	v_dot2_f32_f16 v26, v72, v88, v26
	;;#ASMEND
	s_nop 0
	;;#ASMSTART
	v_dot2_f32_f16 v26, v73, v89, v26
	;;#ASMEND
	s_waitcnt lgkmcnt(0)
	;;#ASMSTART
	v_dot2_f32_f16 v27, v70, v90, v27
	;;#ASMEND
	s_nop 0
	;;#ASMSTART
	v_dot2_f32_f16 v27, v71, v91, v27
	;;#ASMEND
	s_nop 0
	;;#ASMSTART
	v_dot2_f32_f16 v27, v72, v92, v27
	;;#ASMEND
	s_nop 0
	;;#ASMSTART
	v_dot2_f32_f16 v27, v73, v93, v27
	;;#ASMEND
	;;#ASMSTART
	v_dot2_f32_f16 v64, v74, v86, v64
	;;#ASMEND
	s_nop 0
	;;#ASMSTART
	v_dot2_f32_f16 v64, v75, v87, v64
	;;#ASMEND
	s_nop 0
	;;#ASMSTART
	v_dot2_f32_f16 v64, v76, v88, v64
	;;#ASMEND
	s_nop 0
	;;#ASMSTART
	v_dot2_f32_f16 v64, v77, v89, v64
	;;#ASMEND
	;; [unrolled: 15-line block ×7, first 2 shown]
	ds_read_b128 v[70:73], v39 offset:16
	ds_read_b128 v[74:77], v39 offset:4624
	;; [unrolled: 1-line block ×6, first 2 shown]
	s_waitcnt lgkmcnt(1)
	;;#ASMSTART
	v_dot2_f32_f16 v26, v70, v86, v26
	;;#ASMEND
	s_nop 0
	;;#ASMSTART
	v_dot2_f32_f16 v26, v71, v87, v26
	;;#ASMEND
	s_nop 0
	;; [unrolled: 4-line block ×3, first 2 shown]
	;;#ASMSTART
	v_dot2_f32_f16 v26, v73, v89, v26
	;;#ASMEND
	s_waitcnt lgkmcnt(0)
	;;#ASMSTART
	v_dot2_f32_f16 v27, v70, v90, v27
	;;#ASMEND
	s_nop 0
	;;#ASMSTART
	v_dot2_f32_f16 v27, v71, v91, v27
	;;#ASMEND
	s_nop 0
	;;#ASMSTART
	v_dot2_f32_f16 v27, v72, v92, v27
	;;#ASMEND
	s_nop 0
	;;#ASMSTART
	v_dot2_f32_f16 v27, v73, v93, v27
	;;#ASMEND
	;;#ASMSTART
	v_dot2_f32_f16 v64, v74, v86, v64
	;;#ASMEND
	s_nop 0
	;;#ASMSTART
	v_dot2_f32_f16 v64, v75, v87, v64
	;;#ASMEND
	s_nop 0
	;;#ASMSTART
	v_dot2_f32_f16 v64, v76, v88, v64
	;;#ASMEND
	s_nop 0
	;;#ASMSTART
	v_dot2_f32_f16 v64, v77, v89, v64
	;;#ASMEND
	;; [unrolled: 15-line block ×7, first 2 shown]
	ds_read_b128 v[70:73], v39 offset:32
	ds_read_b128 v[74:77], v39 offset:4640
	;; [unrolled: 1-line block ×6, first 2 shown]
	s_waitcnt lgkmcnt(1)
	;;#ASMSTART
	v_dot2_f32_f16 v26, v70, v86, v26
	;;#ASMEND
	s_nop 0
	;;#ASMSTART
	v_dot2_f32_f16 v26, v71, v87, v26
	;;#ASMEND
	s_nop 0
	;; [unrolled: 4-line block ×3, first 2 shown]
	;;#ASMSTART
	v_dot2_f32_f16 v26, v73, v89, v26
	;;#ASMEND
	s_waitcnt lgkmcnt(0)
	;;#ASMSTART
	v_dot2_f32_f16 v27, v70, v90, v27
	;;#ASMEND
	s_nop 0
	;;#ASMSTART
	v_dot2_f32_f16 v27, v71, v91, v27
	;;#ASMEND
	s_nop 0
	;;#ASMSTART
	v_dot2_f32_f16 v27, v72, v92, v27
	;;#ASMEND
	s_nop 0
	;;#ASMSTART
	v_dot2_f32_f16 v27, v73, v93, v27
	;;#ASMEND
	;;#ASMSTART
	v_dot2_f32_f16 v64, v74, v86, v64
	;;#ASMEND
	s_nop 0
	;;#ASMSTART
	v_dot2_f32_f16 v64, v75, v87, v64
	;;#ASMEND
	s_nop 0
	;;#ASMSTART
	v_dot2_f32_f16 v64, v76, v88, v64
	;;#ASMEND
	s_nop 0
	;;#ASMSTART
	v_dot2_f32_f16 v64, v77, v89, v64
	;;#ASMEND
	;; [unrolled: 15-line block ×7, first 2 shown]
	ds_read_b128 v[70:73], v39 offset:48
	ds_read_b128 v[74:77], v39 offset:4656
	;; [unrolled: 1-line block ×6, first 2 shown]
	s_waitcnt lgkmcnt(1)
	;;#ASMSTART
	v_dot2_f32_f16 v26, v70, v86, v26
	;;#ASMEND
	s_nop 0
	;;#ASMSTART
	v_dot2_f32_f16 v26, v71, v87, v26
	;;#ASMEND
	s_nop 0
	;; [unrolled: 4-line block ×3, first 2 shown]
	;;#ASMSTART
	v_dot2_f32_f16 v26, v73, v89, v26
	;;#ASMEND
	s_waitcnt lgkmcnt(0)
	;;#ASMSTART
	v_dot2_f32_f16 v27, v70, v90, v27
	;;#ASMEND
	s_nop 0
	;;#ASMSTART
	v_dot2_f32_f16 v27, v71, v91, v27
	;;#ASMEND
	s_nop 0
	;;#ASMSTART
	v_dot2_f32_f16 v27, v72, v92, v27
	;;#ASMEND
	s_nop 0
	;;#ASMSTART
	v_dot2_f32_f16 v27, v73, v93, v27
	;;#ASMEND
	;;#ASMSTART
	v_dot2_f32_f16 v64, v74, v86, v64
	;;#ASMEND
	s_nop 0
	;;#ASMSTART
	v_dot2_f32_f16 v64, v75, v87, v64
	;;#ASMEND
	s_nop 0
	;;#ASMSTART
	v_dot2_f32_f16 v64, v76, v88, v64
	;;#ASMEND
	s_nop 0
	;;#ASMSTART
	v_dot2_f32_f16 v64, v77, v89, v64
	;;#ASMEND
	;; [unrolled: 15-line block ×7, first 2 shown]
	ds_read_b128 v[70:73], v39 offset:64
	ds_read_b128 v[74:77], v39 offset:4672
	;; [unrolled: 1-line block ×6, first 2 shown]
	s_waitcnt lgkmcnt(1)
	;;#ASMSTART
	v_dot2_f32_f16 v26, v70, v86, v26
	;;#ASMEND
	s_nop 0
	;;#ASMSTART
	v_dot2_f32_f16 v26, v71, v87, v26
	;;#ASMEND
	s_nop 0
	;; [unrolled: 4-line block ×3, first 2 shown]
	;;#ASMSTART
	v_dot2_f32_f16 v26, v73, v89, v26
	;;#ASMEND
	s_waitcnt lgkmcnt(0)
	;;#ASMSTART
	v_dot2_f32_f16 v27, v70, v90, v27
	;;#ASMEND
	s_nop 0
	;;#ASMSTART
	v_dot2_f32_f16 v27, v71, v91, v27
	;;#ASMEND
	s_nop 0
	;;#ASMSTART
	v_dot2_f32_f16 v27, v72, v92, v27
	;;#ASMEND
	s_nop 0
	;;#ASMSTART
	v_dot2_f32_f16 v27, v73, v93, v27
	;;#ASMEND
	;;#ASMSTART
	v_dot2_f32_f16 v64, v74, v86, v64
	;;#ASMEND
	s_nop 0
	;;#ASMSTART
	v_dot2_f32_f16 v64, v75, v87, v64
	;;#ASMEND
	s_nop 0
	;;#ASMSTART
	v_dot2_f32_f16 v64, v76, v88, v64
	;;#ASMEND
	s_nop 0
	;;#ASMSTART
	v_dot2_f32_f16 v64, v77, v89, v64
	;;#ASMEND
	;; [unrolled: 15-line block ×7, first 2 shown]
	ds_read_b128 v[70:73], v39 offset:80
	ds_read_b128 v[74:77], v39 offset:4688
	;; [unrolled: 1-line block ×6, first 2 shown]
	s_waitcnt lgkmcnt(1)
	;;#ASMSTART
	v_dot2_f32_f16 v26, v70, v86, v26
	;;#ASMEND
	s_nop 0
	;;#ASMSTART
	v_dot2_f32_f16 v26, v71, v87, v26
	;;#ASMEND
	s_nop 0
	;; [unrolled: 4-line block ×3, first 2 shown]
	;;#ASMSTART
	v_dot2_f32_f16 v26, v73, v89, v26
	;;#ASMEND
	s_waitcnt lgkmcnt(0)
	;;#ASMSTART
	v_dot2_f32_f16 v27, v70, v90, v27
	;;#ASMEND
	s_nop 0
	;;#ASMSTART
	v_dot2_f32_f16 v27, v71, v91, v27
	;;#ASMEND
	s_nop 0
	;;#ASMSTART
	v_dot2_f32_f16 v27, v72, v92, v27
	;;#ASMEND
	s_nop 0
	;;#ASMSTART
	v_dot2_f32_f16 v27, v73, v93, v27
	;;#ASMEND
	;;#ASMSTART
	v_dot2_f32_f16 v64, v74, v86, v64
	;;#ASMEND
	s_nop 0
	;;#ASMSTART
	v_dot2_f32_f16 v64, v75, v87, v64
	;;#ASMEND
	s_nop 0
	;;#ASMSTART
	v_dot2_f32_f16 v64, v76, v88, v64
	;;#ASMEND
	s_nop 0
	;;#ASMSTART
	v_dot2_f32_f16 v64, v77, v89, v64
	;;#ASMEND
	;; [unrolled: 15-line block ×7, first 2 shown]
	ds_read_b128 v[70:73], v39 offset:96
	ds_read_b128 v[74:77], v39 offset:4704
	;; [unrolled: 1-line block ×6, first 2 shown]
	s_waitcnt lgkmcnt(1)
	;;#ASMSTART
	v_dot2_f32_f16 v26, v70, v86, v26
	;;#ASMEND
	s_nop 0
	;;#ASMSTART
	v_dot2_f32_f16 v26, v71, v87, v26
	;;#ASMEND
	s_nop 0
	;; [unrolled: 4-line block ×3, first 2 shown]
	;;#ASMSTART
	v_dot2_f32_f16 v26, v73, v89, v26
	;;#ASMEND
	s_waitcnt lgkmcnt(0)
	;;#ASMSTART
	v_dot2_f32_f16 v27, v70, v90, v27
	;;#ASMEND
	s_nop 0
	;;#ASMSTART
	v_dot2_f32_f16 v27, v71, v91, v27
	;;#ASMEND
	s_nop 0
	;;#ASMSTART
	v_dot2_f32_f16 v27, v72, v92, v27
	;;#ASMEND
	s_nop 0
	;;#ASMSTART
	v_dot2_f32_f16 v27, v73, v93, v27
	;;#ASMEND
	;;#ASMSTART
	v_dot2_f32_f16 v64, v74, v86, v64
	;;#ASMEND
	s_nop 0
	;;#ASMSTART
	v_dot2_f32_f16 v64, v75, v87, v64
	;;#ASMEND
	s_nop 0
	;;#ASMSTART
	v_dot2_f32_f16 v64, v76, v88, v64
	;;#ASMEND
	s_nop 0
	;;#ASMSTART
	v_dot2_f32_f16 v64, v77, v89, v64
	;;#ASMEND
	;; [unrolled: 15-line block ×7, first 2 shown]
	ds_read_b128 v[70:73], v39 offset:112
	ds_read_b128 v[74:77], v39 offset:4720
	;; [unrolled: 1-line block ×6, first 2 shown]
	s_waitcnt lgkmcnt(1)
	;;#ASMSTART
	v_dot2_f32_f16 v26, v70, v86, v26
	;;#ASMEND
	s_nop 0
	;;#ASMSTART
	v_dot2_f32_f16 v26, v71, v87, v26
	;;#ASMEND
	s_nop 0
	;; [unrolled: 4-line block ×3, first 2 shown]
	;;#ASMSTART
	v_dot2_f32_f16 v26, v73, v89, v26
	;;#ASMEND
	s_waitcnt lgkmcnt(0)
	;;#ASMSTART
	v_dot2_f32_f16 v27, v70, v90, v27
	;;#ASMEND
	s_nop 0
	;;#ASMSTART
	v_dot2_f32_f16 v27, v71, v91, v27
	;;#ASMEND
	s_nop 0
	;;#ASMSTART
	v_dot2_f32_f16 v27, v72, v92, v27
	;;#ASMEND
	s_nop 0
	;;#ASMSTART
	v_dot2_f32_f16 v27, v73, v93, v27
	;;#ASMEND
	;;#ASMSTART
	v_dot2_f32_f16 v64, v74, v86, v64
	;;#ASMEND
	s_nop 0
	;;#ASMSTART
	v_dot2_f32_f16 v64, v75, v87, v64
	;;#ASMEND
	s_nop 0
	;;#ASMSTART
	v_dot2_f32_f16 v64, v76, v88, v64
	;;#ASMEND
	s_nop 0
	;;#ASMSTART
	v_dot2_f32_f16 v64, v77, v89, v64
	;;#ASMEND
	;; [unrolled: 15-line block ×7, first 2 shown]
	s_barrier
	global_load_dwordx4 v[70:73], v[0:1], off offset:896
	s_waitcnt vmcnt(0)
	ds_write_b128 v37, v[70:73]
	global_load_dwordx4 v[0:3], v[2:3], off offset:896
	s_waitcnt vmcnt(0)
	ds_write_b128 v38, v[0:3]
	s_waitcnt lgkmcnt(0)
	s_barrier
	ds_read_b128 v[0:3], v39
	ds_read_b128 v[70:73], v39 offset:4608
	ds_read_b128 v[74:77], v39 offset:9216
	;; [unrolled: 1-line block ×5, first 2 shown]
	s_waitcnt lgkmcnt(1)
	;;#ASMSTART
	v_dot2_f32_f16 v26, v0, v82, v26
	;;#ASMEND
	s_nop 0
	;;#ASMSTART
	v_dot2_f32_f16 v26, v1, v83, v26
	;;#ASMEND
	s_nop 0
	;; [unrolled: 4-line block ×3, first 2 shown]
	;;#ASMSTART
	v_dot2_f32_f16 v26, v3, v85, v26
	;;#ASMEND
	s_waitcnt lgkmcnt(0)
	;;#ASMSTART
	v_dot2_f32_f16 v27, v0, v86, v27
	;;#ASMEND
	s_nop 0
	;;#ASMSTART
	v_dot2_f32_f16 v27, v1, v87, v27
	;;#ASMEND
	s_nop 0
	;;#ASMSTART
	v_dot2_f32_f16 v27, v2, v88, v27
	;;#ASMEND
	s_nop 0
	;;#ASMSTART
	v_dot2_f32_f16 v27, v3, v89, v27
	;;#ASMEND
	;;#ASMSTART
	v_dot2_f32_f16 v64, v70, v82, v64
	;;#ASMEND
	s_nop 0
	;;#ASMSTART
	v_dot2_f32_f16 v64, v71, v83, v64
	;;#ASMEND
	s_nop 0
	;;#ASMSTART
	v_dot2_f32_f16 v64, v72, v84, v64
	;;#ASMEND
	s_nop 0
	;;#ASMSTART
	v_dot2_f32_f16 v64, v73, v85, v64
	;;#ASMEND
	;;#ASMSTART
	v_dot2_f32_f16 v63, v70, v86, v63
	;;#ASMEND
	s_nop 0
	;;#ASMSTART
	v_dot2_f32_f16 v63, v71, v87, v63
	;;#ASMEND
	s_nop 0
	;;#ASMSTART
	v_dot2_f32_f16 v63, v72, v88, v63
	;;#ASMEND
	s_nop 0
	;;#ASMSTART
	v_dot2_f32_f16 v63, v73, v89, v63
	;;#ASMEND
	;;#ASMSTART
	v_dot2_f32_f16 v66, v74, v82, v66
	;;#ASMEND
	s_nop 0
	;;#ASMSTART
	v_dot2_f32_f16 v66, v75, v83, v66
	;;#ASMEND
	s_nop 0
	;;#ASMSTART
	v_dot2_f32_f16 v66, v76, v84, v66
	;;#ASMEND
	s_nop 0
	;;#ASMSTART
	v_dot2_f32_f16 v66, v77, v85, v66
	;;#ASMEND
	;;#ASMSTART
	v_dot2_f32_f16 v65, v74, v86, v65
	;;#ASMEND
	s_nop 0
	;;#ASMSTART
	v_dot2_f32_f16 v65, v75, v87, v65
	;;#ASMEND
	s_nop 0
	;;#ASMSTART
	v_dot2_f32_f16 v65, v76, v88, v65
	;;#ASMEND
	s_nop 0
	;;#ASMSTART
	v_dot2_f32_f16 v65, v77, v89, v65
	;;#ASMEND
	;;#ASMSTART
	v_dot2_f32_f16 v68, v78, v82, v68
	;;#ASMEND
	s_nop 0
	;;#ASMSTART
	v_dot2_f32_f16 v68, v79, v83, v68
	;;#ASMEND
	s_nop 0
	;;#ASMSTART
	v_dot2_f32_f16 v68, v80, v84, v68
	;;#ASMEND
	s_nop 0
	;;#ASMSTART
	v_dot2_f32_f16 v68, v81, v85, v68
	;;#ASMEND
	;;#ASMSTART
	v_dot2_f32_f16 v67, v78, v86, v67
	;;#ASMEND
	s_nop 0
	;;#ASMSTART
	v_dot2_f32_f16 v67, v79, v87, v67
	;;#ASMEND
	s_nop 0
	;;#ASMSTART
	v_dot2_f32_f16 v67, v80, v88, v67
	;;#ASMEND
	s_nop 0
	;;#ASMSTART
	v_dot2_f32_f16 v67, v81, v89, v67
	;;#ASMEND
	ds_read_b128 v[0:3], v39 offset:16
	ds_read_b128 v[70:73], v39 offset:4624
	;; [unrolled: 1-line block ×6, first 2 shown]
	s_waitcnt lgkmcnt(1)
	;;#ASMSTART
	v_dot2_f32_f16 v26, v0, v82, v26
	;;#ASMEND
	s_nop 0
	;;#ASMSTART
	v_dot2_f32_f16 v26, v1, v83, v26
	;;#ASMEND
	s_nop 0
	;; [unrolled: 4-line block ×3, first 2 shown]
	;;#ASMSTART
	v_dot2_f32_f16 v26, v3, v85, v26
	;;#ASMEND
	s_waitcnt lgkmcnt(0)
	;;#ASMSTART
	v_dot2_f32_f16 v27, v0, v86, v27
	;;#ASMEND
	s_nop 0
	;;#ASMSTART
	v_dot2_f32_f16 v27, v1, v87, v27
	;;#ASMEND
	s_nop 0
	;;#ASMSTART
	v_dot2_f32_f16 v27, v2, v88, v27
	;;#ASMEND
	s_nop 0
	;;#ASMSTART
	v_dot2_f32_f16 v27, v3, v89, v27
	;;#ASMEND
	;;#ASMSTART
	v_dot2_f32_f16 v64, v70, v82, v64
	;;#ASMEND
	s_nop 0
	;;#ASMSTART
	v_dot2_f32_f16 v64, v71, v83, v64
	;;#ASMEND
	s_nop 0
	;;#ASMSTART
	v_dot2_f32_f16 v64, v72, v84, v64
	;;#ASMEND
	s_nop 0
	;;#ASMSTART
	v_dot2_f32_f16 v64, v73, v85, v64
	;;#ASMEND
	;; [unrolled: 15-line block ×7, first 2 shown]
	ds_read_b128 v[0:3], v39 offset:32
	ds_read_b128 v[70:73], v39 offset:4640
	;; [unrolled: 1-line block ×6, first 2 shown]
	s_waitcnt lgkmcnt(1)
	;;#ASMSTART
	v_dot2_f32_f16 v26, v0, v82, v26
	;;#ASMEND
	s_nop 0
	;;#ASMSTART
	v_dot2_f32_f16 v26, v1, v83, v26
	;;#ASMEND
	s_nop 0
	;; [unrolled: 4-line block ×3, first 2 shown]
	;;#ASMSTART
	v_dot2_f32_f16 v26, v3, v85, v26
	;;#ASMEND
	s_waitcnt lgkmcnt(0)
	;;#ASMSTART
	v_dot2_f32_f16 v27, v0, v86, v27
	;;#ASMEND
	s_nop 0
	;;#ASMSTART
	v_dot2_f32_f16 v27, v1, v87, v27
	;;#ASMEND
	s_nop 0
	;;#ASMSTART
	v_dot2_f32_f16 v27, v2, v88, v27
	;;#ASMEND
	s_nop 0
	;;#ASMSTART
	v_dot2_f32_f16 v27, v3, v89, v27
	;;#ASMEND
	;;#ASMSTART
	v_dot2_f32_f16 v64, v70, v82, v64
	;;#ASMEND
	s_nop 0
	;;#ASMSTART
	v_dot2_f32_f16 v64, v71, v83, v64
	;;#ASMEND
	s_nop 0
	;;#ASMSTART
	v_dot2_f32_f16 v64, v72, v84, v64
	;;#ASMEND
	s_nop 0
	;;#ASMSTART
	v_dot2_f32_f16 v64, v73, v85, v64
	;;#ASMEND
	;; [unrolled: 15-line block ×7, first 2 shown]
	ds_read_b128 v[0:3], v39 offset:48
	ds_read_b128 v[70:73], v39 offset:4656
	;; [unrolled: 1-line block ×6, first 2 shown]
	s_waitcnt lgkmcnt(1)
	;;#ASMSTART
	v_dot2_f32_f16 v26, v0, v82, v26
	;;#ASMEND
	s_nop 0
	;;#ASMSTART
	v_dot2_f32_f16 v26, v1, v83, v26
	;;#ASMEND
	s_nop 0
	;; [unrolled: 4-line block ×3, first 2 shown]
	;;#ASMSTART
	v_dot2_f32_f16 v26, v3, v85, v26
	;;#ASMEND
	s_waitcnt lgkmcnt(0)
	;;#ASMSTART
	v_dot2_f32_f16 v27, v0, v86, v27
	;;#ASMEND
	s_nop 0
	;;#ASMSTART
	v_dot2_f32_f16 v27, v1, v87, v27
	;;#ASMEND
	s_nop 0
	;;#ASMSTART
	v_dot2_f32_f16 v27, v2, v88, v27
	;;#ASMEND
	s_nop 0
	;;#ASMSTART
	v_dot2_f32_f16 v27, v3, v89, v27
	;;#ASMEND
	;;#ASMSTART
	v_dot2_f32_f16 v64, v70, v82, v64
	;;#ASMEND
	s_nop 0
	;;#ASMSTART
	v_dot2_f32_f16 v64, v71, v83, v64
	;;#ASMEND
	s_nop 0
	;;#ASMSTART
	v_dot2_f32_f16 v64, v72, v84, v64
	;;#ASMEND
	s_nop 0
	;;#ASMSTART
	v_dot2_f32_f16 v64, v73, v85, v64
	;;#ASMEND
	;; [unrolled: 15-line block ×7, first 2 shown]
	ds_read_b128 v[0:3], v39 offset:64
	ds_read_b128 v[70:73], v39 offset:4672
	;; [unrolled: 1-line block ×6, first 2 shown]
	s_waitcnt lgkmcnt(1)
	;;#ASMSTART
	v_dot2_f32_f16 v26, v0, v82, v26
	;;#ASMEND
	s_nop 0
	;;#ASMSTART
	v_dot2_f32_f16 v26, v1, v83, v26
	;;#ASMEND
	s_nop 0
	;; [unrolled: 4-line block ×3, first 2 shown]
	;;#ASMSTART
	v_dot2_f32_f16 v26, v3, v85, v26
	;;#ASMEND
	s_waitcnt lgkmcnt(0)
	;;#ASMSTART
	v_dot2_f32_f16 v27, v0, v86, v27
	;;#ASMEND
	s_nop 0
	;;#ASMSTART
	v_dot2_f32_f16 v27, v1, v87, v27
	;;#ASMEND
	s_nop 0
	;;#ASMSTART
	v_dot2_f32_f16 v27, v2, v88, v27
	;;#ASMEND
	s_nop 0
	;;#ASMSTART
	v_dot2_f32_f16 v27, v3, v89, v27
	;;#ASMEND
	;;#ASMSTART
	v_dot2_f32_f16 v64, v70, v82, v64
	;;#ASMEND
	s_nop 0
	;;#ASMSTART
	v_dot2_f32_f16 v64, v71, v83, v64
	;;#ASMEND
	s_nop 0
	;;#ASMSTART
	v_dot2_f32_f16 v64, v72, v84, v64
	;;#ASMEND
	s_nop 0
	;;#ASMSTART
	v_dot2_f32_f16 v64, v73, v85, v64
	;;#ASMEND
	;; [unrolled: 15-line block ×7, first 2 shown]
	ds_read_b128 v[0:3], v39 offset:80
	ds_read_b128 v[70:73], v39 offset:4688
	;; [unrolled: 1-line block ×6, first 2 shown]
	s_waitcnt lgkmcnt(1)
	;;#ASMSTART
	v_dot2_f32_f16 v26, v0, v82, v26
	;;#ASMEND
	s_nop 0
	;;#ASMSTART
	v_dot2_f32_f16 v26, v1, v83, v26
	;;#ASMEND
	s_nop 0
	;; [unrolled: 4-line block ×3, first 2 shown]
	;;#ASMSTART
	v_dot2_f32_f16 v26, v3, v85, v26
	;;#ASMEND
	s_waitcnt lgkmcnt(0)
	;;#ASMSTART
	v_dot2_f32_f16 v27, v0, v86, v27
	;;#ASMEND
	s_nop 0
	;;#ASMSTART
	v_dot2_f32_f16 v27, v1, v87, v27
	;;#ASMEND
	s_nop 0
	;;#ASMSTART
	v_dot2_f32_f16 v27, v2, v88, v27
	;;#ASMEND
	s_nop 0
	;;#ASMSTART
	v_dot2_f32_f16 v27, v3, v89, v27
	;;#ASMEND
	;;#ASMSTART
	v_dot2_f32_f16 v64, v70, v82, v64
	;;#ASMEND
	s_nop 0
	;;#ASMSTART
	v_dot2_f32_f16 v64, v71, v83, v64
	;;#ASMEND
	s_nop 0
	;;#ASMSTART
	v_dot2_f32_f16 v64, v72, v84, v64
	;;#ASMEND
	s_nop 0
	;;#ASMSTART
	v_dot2_f32_f16 v64, v73, v85, v64
	;;#ASMEND
	;; [unrolled: 15-line block ×7, first 2 shown]
	ds_read_b128 v[0:3], v39 offset:96
	ds_read_b128 v[70:73], v39 offset:4704
	;; [unrolled: 1-line block ×6, first 2 shown]
	s_waitcnt lgkmcnt(1)
	;;#ASMSTART
	v_dot2_f32_f16 v26, v0, v82, v26
	;;#ASMEND
	s_nop 0
	;;#ASMSTART
	v_dot2_f32_f16 v26, v1, v83, v26
	;;#ASMEND
	s_nop 0
	;; [unrolled: 4-line block ×3, first 2 shown]
	;;#ASMSTART
	v_dot2_f32_f16 v26, v3, v85, v26
	;;#ASMEND
	s_waitcnt lgkmcnt(0)
	;;#ASMSTART
	v_dot2_f32_f16 v27, v0, v86, v27
	;;#ASMEND
	s_nop 0
	;;#ASMSTART
	v_dot2_f32_f16 v27, v1, v87, v27
	;;#ASMEND
	s_nop 0
	;;#ASMSTART
	v_dot2_f32_f16 v27, v2, v88, v27
	;;#ASMEND
	s_nop 0
	;;#ASMSTART
	v_dot2_f32_f16 v27, v3, v89, v27
	;;#ASMEND
	;;#ASMSTART
	v_dot2_f32_f16 v64, v70, v82, v64
	;;#ASMEND
	s_nop 0
	;;#ASMSTART
	v_dot2_f32_f16 v64, v71, v83, v64
	;;#ASMEND
	s_nop 0
	;;#ASMSTART
	v_dot2_f32_f16 v64, v72, v84, v64
	;;#ASMEND
	s_nop 0
	;;#ASMSTART
	v_dot2_f32_f16 v64, v73, v85, v64
	;;#ASMEND
	;; [unrolled: 15-line block ×7, first 2 shown]
	ds_read_b128 v[0:3], v39 offset:112
	ds_read_b128 v[70:73], v39 offset:4720
	;; [unrolled: 1-line block ×6, first 2 shown]
	s_waitcnt lgkmcnt(1)
	;;#ASMSTART
	v_dot2_f32_f16 v26, v0, v82, v26
	;;#ASMEND
	s_nop 0
	;;#ASMSTART
	v_dot2_f32_f16 v26, v1, v83, v26
	;;#ASMEND
	s_nop 0
	;;#ASMSTART
	v_dot2_f32_f16 v26, v2, v84, v26
	;;#ASMEND
	s_nop 0
	;;#ASMSTART
	v_dot2_f32_f16 v26, v3, v85, v26
	;;#ASMEND
	s_waitcnt lgkmcnt(0)
	;;#ASMSTART
	v_dot2_f32_f16 v27, v0, v86, v27
	;;#ASMEND
	v_add_u32_e32 v0, s2, v22
	;;#ASMSTART
	v_dot2_f32_f16 v27, v1, v87, v27
	;;#ASMEND
	v_cndmask_b32_e32 v1, v23, v36, vcc
	;;#ASMSTART
	v_dot2_f32_f16 v27, v2, v88, v27
	;;#ASMEND
	v_cmp_lt_i32_e32 vcc, v35, v31
	;;#ASMSTART
	v_dot2_f32_f16 v27, v3, v89, v27
	;;#ASMEND
	;;#ASMSTART
	v_dot2_f32_f16 v64, v70, v82, v64
	;;#ASMEND
	v_lshlrev_b32_e32 v2, 2, v1
	;;#ASMSTART
	v_dot2_f32_f16 v64, v71, v83, v64
	;;#ASMEND
	s_nop 0
	;;#ASMSTART
	v_dot2_f32_f16 v64, v72, v84, v64
	;;#ASMEND
	v_cndmask_b32_e32 v1, v23, v35, vcc
	;;#ASMSTART
	v_dot2_f32_f16 v64, v73, v85, v64
	;;#ASMEND
	;;#ASMSTART
	v_dot2_f32_f16 v63, v70, v86, v63
	;;#ASMEND
	v_cmp_lt_i32_e32 vcc, v34, v31
	;;#ASMSTART
	v_dot2_f32_f16 v63, v71, v87, v63
	;;#ASMEND
	v_lshlrev_b32_e32 v3, 2, v1
	;;#ASMSTART
	v_dot2_f32_f16 v63, v72, v88, v63
	;;#ASMEND
	s_nop 0
	;;#ASMSTART
	v_dot2_f32_f16 v63, v73, v89, v63
	;;#ASMEND
	;;#ASMSTART
	v_dot2_f32_f16 v66, v74, v82, v66
	;;#ASMEND
	v_cndmask_b32_e32 v1, v23, v34, vcc
	;;#ASMSTART
	v_dot2_f32_f16 v66, v75, v83, v66
	;;#ASMEND
	v_cmp_lt_i32_e32 vcc, v33, v31
	;;#ASMSTART
	v_dot2_f32_f16 v66, v76, v84, v66
	;;#ASMEND
	v_lshlrev_b32_e32 v69, 2, v1
	;;#ASMSTART
	v_dot2_f32_f16 v66, v77, v85, v66
	;;#ASMEND
	;;#ASMSTART
	v_dot2_f32_f16 v65, v74, v86, v65
	;;#ASMEND
	s_nop 0
	;;#ASMSTART
	v_dot2_f32_f16 v65, v75, v87, v65
	;;#ASMEND
	v_cndmask_b32_e32 v1, v23, v33, vcc
	;;#ASMSTART
	v_dot2_f32_f16 v65, v76, v88, v65
	;;#ASMEND
	v_cmp_lt_i32_e32 vcc, v32, v31
	;;#ASMSTART
	v_dot2_f32_f16 v65, v77, v89, v65
	;;#ASMEND
	;;#ASMSTART
	v_dot2_f32_f16 v68, v78, v82, v68
	;;#ASMEND
	v_lshlrev_b32_e32 v70, 2, v1
	;;#ASMSTART
	v_dot2_f32_f16 v68, v79, v83, v68
	;;#ASMEND
	s_nop 0
	;;#ASMSTART
	v_dot2_f32_f16 v68, v80, v84, v68
	;;#ASMEND
	v_cndmask_b32_e32 v1, v23, v32, vcc
	;;#ASMSTART
	v_dot2_f32_f16 v68, v81, v85, v68
	;;#ASMEND
	;;#ASMSTART
	v_dot2_f32_f16 v67, v78, v86, v67
	;;#ASMEND
	v_lshlrev_b32_e32 v71, 2, v1
	;;#ASMSTART
	v_dot2_f32_f16 v67, v79, v87, v67
	;;#ASMEND
	v_ashrrev_i32_e32 v1, 31, v0
	;;#ASMSTART
	v_dot2_f32_f16 v67, v80, v88, v67
	;;#ASMEND
	v_lshl_add_u64 v[0:1], v[0:1], 1, s[26:27]
	;;#ASMSTART
	v_dot2_f32_f16 v67, v81, v89, v67
	;;#ASMEND
	global_load_ushort v72, v[0:1], off
	global_load_ushort v74, v[0:1], off offset:64
	s_waitcnt vmcnt(1)
	v_cvt_f32_f16_e32 v72, v72
	s_waitcnt vmcnt(0)
	v_cvt_f32_f16_e32 v74, v74
	v_add_f32_e32 v73, v26, v72
	v_add_f32_e32 v64, v64, v74
	;; [unrolled: 1-line block ×4, first 2 shown]
	v_max3_f32 v26, v62, v26, v75
	global_load_ushort v75, v[0:1], off offset:128
	v_add_f32_e32 v63, v63, v74
	global_load_ushort v0, v[0:1], off offset:192
	s_barrier
	s_waitcnt vmcnt(1)
	v_cvt_f32_f16_e32 v75, v75
	s_waitcnt vmcnt(0)
	v_cvt_f32_f16_e32 v0, v0
	v_add_f32_e32 v66, v66, v75
	v_add_f32_e32 v76, 0x40051340, v66
	;; [unrolled: 1-line block ×4, first 2 shown]
	v_max3_f32 v26, v26, v76, v68
	ds_bpermute_b32 v68, v2, v26
	v_add_f32_e32 v65, v65, v75
	v_add_f32_e32 v67, v67, v0
	;; [unrolled: 1-line block ×3, first 2 shown]
	s_waitcnt lgkmcnt(0)
	v_max_f32_e32 v68, v68, v68
	v_max_f32_e32 v26, v26, v68
	ds_bpermute_b32 v68, v3, v26
	s_waitcnt lgkmcnt(0)
	v_max_f32_e32 v68, v68, v68
	v_max_f32_e32 v26, v26, v68
	ds_bpermute_b32 v68, v69, v26
	s_waitcnt lgkmcnt(0)
	v_max_f32_e32 v68, v68, v68
	v_max_f32_e32 v26, v26, v68
	ds_bpermute_b32 v68, v70, v26
	s_waitcnt lgkmcnt(0)
	v_max_f32_e32 v68, v68, v68
	v_max_f32_e32 v26, v26, v68
	ds_bpermute_b32 v68, v71, v26
	s_waitcnt lgkmcnt(0)
	v_max_f32_e32 v68, v68, v68
	v_max_f32_e32 v26, v26, v68
	v_add_f32_e32 v68, v27, v72
	v_add_f32_e32 v27, 0x40051340, v68
	;; [unrolled: 1-line block ×3, first 2 shown]
	v_max3_f32 v27, v4, v27, v72
	v_add_f32_e32 v72, 0x40051340, v65
	v_max3_f32 v0, v27, v72, v0
	ds_bpermute_b32 v2, v2, v0
	v_sub_f32_e32 v1, v1, v26
	s_waitcnt lgkmcnt(0)
	v_max_f32_e32 v2, v2, v2
	v_max_f32_e32 v0, v0, v2
	ds_bpermute_b32 v2, v3, v0
	v_sub_f32_e32 v3, v62, v26
	s_waitcnt lgkmcnt(0)
	v_max_f32_e32 v2, v2, v2
	v_max_f32_e32 v0, v0, v2
	ds_bpermute_b32 v2, v69, v0
	s_waitcnt lgkmcnt(0)
	v_max_f32_e32 v2, v2, v2
	v_max_f32_e32 v0, v0, v2
	ds_bpermute_b32 v2, v70, v0
	;; [unrolled: 4-line block ×3, first 2 shown]
	s_waitcnt lgkmcnt(0)
	v_max_f32_e32 v2, v2, v2
	v_max_f32_e32 v27, v0, v2
	v_sub_f32_e32 v0, v73, v26
	v_mul_f32_e32 v2, 0x3fb8aa3b, v0
	v_fma_f32 v62, v0, s8, -v2
	v_rndne_f32_e32 v69, v2
	v_fmac_f32_e32 v62, 0x32a5705f, v0
	v_sub_f32_e32 v2, v2, v69
	v_add_f32_e32 v2, v2, v62
	v_exp_f32_e32 v2, v2
	v_cvt_i32_f32_e32 v62, v69
	v_cmp_ngt_f32_e32 vcc, s9, v0
	v_sub_f32_e32 v4, v4, v27
	v_ldexp_f32 v2, v2, v62
	v_cndmask_b32_e32 v2, 0, v2, vcc
	v_cmp_nlt_f32_e32 vcc, s14, v0
	s_nop 1
	v_cndmask_b32_e32 v0, v44, v2, vcc
	v_sub_f32_e32 v2, v64, v26
	v_mul_f32_e32 v62, 0x3fb8aa3b, v2
	v_fma_f32 v64, v2, s8, -v62
	v_rndne_f32_e32 v69, v62
	v_fmac_f32_e32 v64, 0x32a5705f, v2
	v_sub_f32_e32 v62, v62, v69
	v_add_f32_e32 v62, v62, v64
	v_exp_f32_e32 v62, v62
	v_cvt_i32_f32_e32 v64, v69
	v_cmp_ngt_f32_e32 vcc, s9, v2
	v_ldexp_f32 v62, v62, v64
	s_nop 0
	v_cndmask_b32_e32 v62, 0, v62, vcc
	v_cmp_nlt_f32_e32 vcc, s14, v2
	s_nop 1
	v_cndmask_b32_e32 v2, v44, v62, vcc
	v_sub_f32_e32 v62, v66, v26
	v_mul_f32_e32 v64, 0x3fb8aa3b, v62
	v_fma_f32 v66, v62, s8, -v64
	v_rndne_f32_e32 v69, v64
	v_fmac_f32_e32 v66, 0x32a5705f, v62
	v_sub_f32_e32 v64, v64, v69
	v_add_f32_e32 v64, v64, v66
	v_exp_f32_e32 v64, v64
	v_cvt_i32_f32_e32 v66, v69
	v_cmp_ngt_f32_e32 vcc, s9, v62
	v_ldexp_f32 v64, v64, v66
	s_nop 0
	v_cndmask_b32_e32 v64, 0, v64, vcc
	v_cmp_nlt_f32_e32 vcc, s14, v62
	s_nop 1
	v_cndmask_b32_e32 v62, v44, v64, vcc
	v_mul_f32_e32 v64, 0x3fb8aa3b, v1
	v_fma_f32 v66, v1, s8, -v64
	v_rndne_f32_e32 v69, v64
	v_fmac_f32_e32 v66, 0x32a5705f, v1
	v_sub_f32_e32 v64, v64, v69
	v_add_f32_e32 v64, v64, v66
	v_exp_f32_e32 v64, v64
	v_cvt_i32_f32_e32 v66, v69
	v_cmp_ngt_f32_e32 vcc, s9, v1
	v_ldexp_f32 v64, v64, v66
	s_nop 0
	v_cndmask_b32_e32 v64, 0, v64, vcc
	v_cmp_nlt_f32_e32 vcc, s14, v1
	v_mul_f32_e32 v1, 0x3fb8aa3b, v3
	v_fma_f32 v66, v3, s8, -v1
	v_rndne_f32_e32 v69, v1
	v_fmac_f32_e32 v66, 0x32a5705f, v3
	v_sub_f32_e32 v1, v1, v69
	v_add_f32_e32 v1, v1, v66
	v_exp_f32_e32 v1, v1
	v_cvt_i32_f32_e32 v66, v69
	v_cndmask_b32_e32 v64, v44, v64, vcc
	v_cmp_ngt_f32_e32 vcc, s9, v3
	v_ldexp_f32 v1, v1, v66
	s_nop 0
	v_cndmask_b32_e32 v1, 0, v1, vcc
	v_cmp_nlt_f32_e32 vcc, s14, v3
	s_nop 1
	v_cndmask_b32_e32 v66, v44, v1, vcc
	v_cvt_f16_f32_e32 v1, v66
	v_mul_u32_u24_e32 v70, 0x10001, v1
	v_sub_f32_e32 v1, v68, v27
	v_mul_f32_e32 v3, 0x3fb8aa3b, v1
	v_pk_mul_f16 v76, v56, v70
	v_pk_mul_f16 v77, v55, v70
	v_fma_f32 v55, v1, s8, -v3
	v_rndne_f32_e32 v56, v3
	v_fmac_f32_e32 v55, 0x32a5705f, v1
	v_sub_f32_e32 v3, v3, v56
	v_add_f32_e32 v3, v3, v55
	v_exp_f32_e32 v3, v3
	v_cvt_i32_f32_e32 v55, v56
	v_cmp_ngt_f32_e32 vcc, s9, v1
	v_pk_mul_f16 v75, v57, v70
	v_pk_mul_f16 v74, v58, v70
	v_ldexp_f32 v3, v3, v55
	v_cndmask_b32_e32 v3, 0, v3, vcc
	v_cmp_nlt_f32_e32 vcc, s14, v1
	v_pk_mul_f16 v71, v61, v70
	v_pk_mul_f16 v72, v60, v70
	v_cndmask_b32_e32 v1, v44, v3, vcc
	v_sub_f32_e32 v3, v63, v27
	v_mul_f32_e32 v55, 0x3fb8aa3b, v3
	v_fma_f32 v56, v3, s8, -v55
	v_rndne_f32_e32 v57, v55
	v_fmac_f32_e32 v56, 0x32a5705f, v3
	v_sub_f32_e32 v55, v55, v57
	v_add_f32_e32 v55, v55, v56
	v_exp_f32_e32 v55, v55
	v_cvt_i32_f32_e32 v56, v57
	v_cmp_ngt_f32_e32 vcc, s9, v3
	v_pk_mul_f16 v73, v59, v70
	v_ldexp_f32 v55, v55, v56
	v_cndmask_b32_e32 v55, 0, v55, vcc
	v_cmp_nlt_f32_e32 vcc, s14, v3
	s_nop 1
	v_cndmask_b32_e32 v3, v44, v55, vcc
	v_sub_f32_e32 v55, v65, v27
	v_mul_f32_e32 v56, 0x3fb8aa3b, v55
	v_fma_f32 v57, v55, s8, -v56
	v_rndne_f32_e32 v58, v56
	v_fmac_f32_e32 v57, 0x32a5705f, v55
	v_sub_f32_e32 v56, v56, v58
	v_add_f32_e32 v56, v56, v57
	v_exp_f32_e32 v56, v56
	v_cvt_i32_f32_e32 v57, v58
	v_cmp_ngt_f32_e32 vcc, s9, v55
	v_ldexp_f32 v56, v56, v57
	s_nop 0
	v_cndmask_b32_e32 v56, 0, v56, vcc
	v_cmp_nlt_f32_e32 vcc, s14, v55
	v_sub_f32_e32 v55, v67, v27
	s_nop 0
	v_cndmask_b32_e32 v63, v44, v56, vcc
	v_mul_f32_e32 v56, 0x3fb8aa3b, v55
	v_fma_f32 v57, v55, s8, -v56
	v_rndne_f32_e32 v58, v56
	v_fmac_f32_e32 v57, 0x32a5705f, v55
	v_sub_f32_e32 v56, v56, v58
	v_add_f32_e32 v56, v56, v57
	v_exp_f32_e32 v56, v56
	v_cvt_i32_f32_e32 v57, v58
	v_cmp_ngt_f32_e32 vcc, s9, v55
	v_ldexp_f32 v56, v56, v57
	s_nop 0
	v_cndmask_b32_e32 v56, 0, v56, vcc
	v_cmp_nlt_f32_e32 vcc, s14, v55
	v_mul_f32_e32 v55, 0x3fb8aa3b, v4
	v_rndne_f32_e32 v57, v55
	v_cndmask_b32_e32 v65, v44, v56, vcc
	v_fma_f32 v56, v4, s8, -v55
	v_fmac_f32_e32 v56, 0x32a5705f, v4
	v_sub_f32_e32 v55, v55, v57
	v_add_f32_e32 v55, v55, v56
	v_exp_f32_e32 v55, v55
	v_cvt_i32_f32_e32 v56, v57
	v_cmp_ngt_f32_e32 vcc, s9, v4
	v_ldexp_f32 v55, v55, v56
	s_nop 0
	v_cndmask_b32_e32 v55, 0, v55, vcc
	v_cmp_nlt_f32_e32 vcc, s14, v4
	v_pk_add_f32 v[56:57], v[0:1], v[2:3]
	v_cvt_pk_f16_f32 v0, v0, v1
	v_cndmask_b32_e32 v67, v44, v55, vcc
	v_cvt_f16_f32_e32 v4, v67
	v_cvt_pk_f16_f32 v1, v2, v3
	ds_write2_b32 v45, v0, v1 offset1:32
	v_cvt_pk_f16_f32 v0, v62, v63
	v_mul_u32_u24_e32 v4, 0x10001, v4
	v_pk_mul_f16 v81, v9, v4
	v_pk_mul_f16 v82, v8, v4
	v_cvt_pk_f16_f32 v1, v64, v65
	v_lshl_add_u64 v[8:9], s[20:21], 2, v[24:25]
	ds_write2_b32 v45, v0, v1 offset0:64 offset1:96
	global_load_dwordx4 v[0:3], v[8:9], off
	v_pk_add_f32 v[56:57], v[62:63], v[56:57]
	v_pk_mul_f16 v78, v54, v4
	v_pk_add_f32 v[56:57], v[64:65], v[56:57]
	v_pk_mul_f16 v79, v11, v4
	v_pk_fma_f32 v[14:15], v[14:15], v[66:67], v[56:57]
	v_pk_mul_f16 v80, v10, v4
	v_pk_mul_f16 v53, v53, v4
	;; [unrolled: 1-line block ×3, first 2 shown]
	s_or_b32 s20, s2, 16
	s_mul_hi_i32 s21, s20, s10
	s_mul_i32 s20, s20, s10
	s_waitcnt vmcnt(0)
	ds_write_b128 v41, v[0:3]
	global_load_dwordx4 v[0:3], v[8:9], off offset:512
	s_waitcnt vmcnt(0)
	ds_write_b128 v42, v[0:3]
	s_waitcnt lgkmcnt(0)
	s_barrier
	ds_read2_b64 v[8:11], v43 offset1:32
	ds_read2_b64 v[54:57], v43 offset0:64 offset1:96
	ds_read_b128 v[58:61], v40
	ds_read_b128 v[62:65], v40 offset:16
	ds_read_b128 v[66:69], v40 offset:32
	;; [unrolled: 1-line block ×3, first 2 shown]
	s_waitcnt lgkmcnt(3)
	v_mul_u32_u24_sdwa v83, v58, s15 dst_sel:DWORD dst_unused:UNUSED_PAD src0_sel:WORD_0 src1_sel:DWORD
	v_mul_u32_u24_sdwa v58, v58, s15 dst_sel:DWORD dst_unused:UNUSED_PAD src0_sel:WORD_1 src1_sel:DWORD
	v_pk_mul_f16 v84, v8, v83
	v_pk_fma_f16 v71, v9, v83, v71
	v_pk_fma_f16 v70, v6, v70, v84
	v_pk_mul_f16 v6, v8, v58
	v_pk_fma_f16 v78, v9, v58, v78
	v_pk_fma_f16 v84, v5, v4, v6
	;; [unrolled: 1-line block ×8, first 2 shown]
	ds_read2_b64 v[4:7], v43 offset0:128 offset1:160
	ds_read2_b64 v[8:11], v43 offset0:192 offset1:224
	v_pk_fma_f16 v74, v54, v83, v74
	v_pk_fma_f16 v54, v54, v58, v80
	;; [unrolled: 1-line block ×6, first 2 shown]
	v_mul_u32_u24_sdwa v58, v59, s15 dst_sel:DWORD dst_unused:UNUSED_PAD src0_sel:WORD_0 src1_sel:DWORD
	v_mul_u32_u24_sdwa v59, v59, s15 dst_sel:DWORD dst_unused:UNUSED_PAD src0_sel:WORD_1 src1_sel:DWORD
	s_waitcnt lgkmcnt(1)
	v_pk_fma_f16 v70, v4, v58, v70
	v_pk_fma_f16 v80, v4, v59, v84
	v_pk_fma_f16 v71, v5, v58, v71
	v_pk_fma_f16 v78, v5, v59, v78
	v_pk_fma_f16 v72, v6, v58, v72
	v_pk_fma_f16 v53, v6, v59, v53
	v_pk_fma_f16 v73, v7, v58, v73
	v_pk_fma_f16 v79, v7, v59, v79
	s_waitcnt lgkmcnt(0)
	v_pk_fma_f16 v74, v8, v58, v74
	v_pk_fma_f16 v54, v8, v59, v54
	v_pk_fma_f16 v75, v9, v58, v75
	v_pk_fma_f16 v55, v9, v59, v55
	v_pk_fma_f16 v76, v10, v58, v76
	v_pk_fma_f16 v56, v10, v59, v56
	v_pk_fma_f16 v58, v11, v58, v77
	v_pk_fma_f16 v57, v11, v59, v57
	ds_read2_b64 v[4:7], v46 offset1:32
	ds_read2_b64 v[8:11], v46 offset0:64 offset1:96
	v_mul_u32_u24_sdwa v59, v60, s15 dst_sel:DWORD dst_unused:UNUSED_PAD src0_sel:WORD_0 src1_sel:DWORD
	v_mul_u32_u24_sdwa v60, v60, s15 dst_sel:DWORD dst_unused:UNUSED_PAD src0_sel:WORD_1 src1_sel:DWORD
	s_waitcnt lgkmcnt(1)
	v_pk_fma_f16 v70, v4, v59, v70
	v_pk_fma_f16 v77, v4, v60, v80
	v_pk_fma_f16 v71, v5, v59, v71
	v_pk_fma_f16 v78, v5, v60, v78
	v_pk_fma_f16 v72, v6, v59, v72
	v_pk_fma_f16 v53, v6, v60, v53
	v_pk_fma_f16 v73, v7, v59, v73
	v_pk_fma_f16 v79, v7, v60, v79
	s_waitcnt lgkmcnt(0)
	v_pk_fma_f16 v74, v8, v59, v74
	v_pk_fma_f16 v54, v8, v60, v54
	v_pk_fma_f16 v75, v9, v59, v75
	v_pk_fma_f16 v55, v9, v60, v55
	v_pk_fma_f16 v76, v10, v59, v76
	v_pk_fma_f16 v56, v10, v60, v56
	v_pk_fma_f16 v58, v11, v59, v58
	v_pk_fma_f16 v57, v11, v60, v57
	ds_read2_b64 v[4:7], v46 offset0:128 offset1:160
	ds_read2_b64 v[8:11], v46 offset0:192 offset1:224
	v_mul_u32_u24_sdwa v59, v61, s15 dst_sel:DWORD dst_unused:UNUSED_PAD src0_sel:WORD_0 src1_sel:DWORD
	v_mul_u32_u24_sdwa v60, v61, s15 dst_sel:DWORD dst_unused:UNUSED_PAD src0_sel:WORD_1 src1_sel:DWORD
	s_waitcnt lgkmcnt(1)
	v_pk_fma_f16 v61, v4, v59, v70
	v_pk_fma_f16 v70, v4, v60, v77
	v_pk_fma_f16 v71, v5, v59, v71
	v_pk_fma_f16 v77, v5, v60, v78
	v_pk_fma_f16 v72, v6, v59, v72
	v_pk_fma_f16 v53, v6, v60, v53
	v_pk_fma_f16 v73, v7, v59, v73
	v_pk_fma_f16 v78, v7, v60, v79
	s_waitcnt lgkmcnt(0)
	v_pk_fma_f16 v74, v8, v59, v74
	v_pk_fma_f16 v54, v8, v60, v54
	v_pk_fma_f16 v75, v9, v59, v75
	v_pk_fma_f16 v55, v9, v60, v55
	v_pk_fma_f16 v76, v10, v59, v76
	v_pk_fma_f16 v56, v10, v60, v56
	v_pk_fma_f16 v58, v11, v59, v58
	v_pk_fma_f16 v57, v11, v60, v57
	ds_read2_b64 v[4:7], v47 offset1:32
	ds_read2_b64 v[8:11], v47 offset0:64 offset1:96
	v_mul_u32_u24_sdwa v59, v62, s15 dst_sel:DWORD dst_unused:UNUSED_PAD src0_sel:WORD_0 src1_sel:DWORD
	v_mul_u32_u24_sdwa v60, v62, s15 dst_sel:DWORD dst_unused:UNUSED_PAD src0_sel:WORD_1 src1_sel:DWORD
	s_waitcnt lgkmcnt(1)
	v_pk_fma_f16 v61, v4, v59, v61
	v_pk_fma_f16 v62, v4, v60, v70
	v_pk_fma_f16 v70, v5, v59, v71
	v_pk_fma_f16 v71, v5, v60, v77
	v_pk_fma_f16 v72, v6, v59, v72
	v_pk_fma_f16 v53, v6, v60, v53
	v_pk_fma_f16 v73, v7, v59, v73
	v_pk_fma_f16 v77, v7, v60, v78
	s_waitcnt lgkmcnt(0)
	v_pk_fma_f16 v74, v8, v59, v74
	v_pk_fma_f16 v54, v8, v60, v54
	v_pk_fma_f16 v75, v9, v59, v75
	v_pk_fma_f16 v55, v9, v60, v55
	v_pk_fma_f16 v76, v10, v59, v76
	v_pk_fma_f16 v56, v10, v60, v56
	v_pk_fma_f16 v58, v11, v59, v58
	v_pk_fma_f16 v57, v11, v60, v57
	ds_read2_b64 v[4:7], v47 offset0:128 offset1:160
	ds_read2_b64 v[8:11], v47 offset0:192 offset1:224
	;; [unrolled: 44-line block ×7, first 2 shown]
	v_mul_u32_u24_sdwa v2, v3, s15 dst_sel:DWORD dst_unused:UNUSED_PAD src0_sel:WORD_0 src1_sel:DWORD
	v_mul_u32_u24_sdwa v3, v3, s15 dst_sel:DWORD dst_unused:UNUSED_PAD src0_sel:WORD_1 src1_sel:DWORD
	s_waitcnt lgkmcnt(0)
	v_pk_fma_f16 v68, v4, v2, v58
	v_pk_fma_f16 v69, v4, v3, v59
	;; [unrolled: 1-line block ×4, first 2 shown]
	v_lshl_add_u64 v[4:5], s[20:21], 2, v[24:25]
	v_pk_fma_f16 v72, v6, v2, v62
	v_pk_fma_f16 v53, v6, v3, v53
	;; [unrolled: 1-line block ×12, first 2 shown]
	s_barrier
	global_load_dwordx4 v[0:3], v[4:5], off
	s_or_b32 s20, s2, 32
	s_mul_hi_i32 s21, s20, s10
	s_mul_i32 s20, s20, s10
	s_waitcnt vmcnt(0)
	ds_write_b128 v41, v[0:3]
	global_load_dwordx4 v[0:3], v[4:5], off offset:512
	s_waitcnt vmcnt(0)
	ds_write_b128 v42, v[0:3]
	s_waitcnt lgkmcnt(0)
	s_barrier
	ds_read2_b64 v[4:7], v43 offset1:32
	ds_read2_b64 v[8:11], v43 offset0:64 offset1:96
	ds_read_b128 v[54:57], v40 offset:64
	ds_read_b128 v[58:61], v40 offset:80
	;; [unrolled: 1-line block ×4, first 2 shown]
	s_waitcnt lgkmcnt(3)
	v_mul_u32_u24_sdwa v81, v54, s15 dst_sel:DWORD dst_unused:UNUSED_PAD src0_sel:WORD_0 src1_sel:DWORD
	v_mul_u32_u24_sdwa v54, v54, s15 dst_sel:DWORD dst_unused:UNUSED_PAD src0_sel:WORD_1 src1_sel:DWORD
	v_pk_fma_f16 v68, v4, v81, v68
	v_pk_fma_f16 v69, v4, v54, v69
	;; [unrolled: 1-line block ×16, first 2 shown]
	ds_read2_b64 v[4:7], v43 offset0:128 offset1:160
	ds_read2_b64 v[8:11], v43 offset0:192 offset1:224
	v_mul_u32_u24_sdwa v80, v55, s15 dst_sel:DWORD dst_unused:UNUSED_PAD src0_sel:WORD_0 src1_sel:DWORD
	v_mul_u32_u24_sdwa v55, v55, s15 dst_sel:DWORD dst_unused:UNUSED_PAD src0_sel:WORD_1 src1_sel:DWORD
	s_waitcnt lgkmcnt(1)
	v_pk_fma_f16 v68, v4, v80, v68
	v_pk_fma_f16 v69, v4, v55, v69
	v_pk_fma_f16 v70, v5, v80, v70
	v_pk_fma_f16 v71, v5, v55, v71
	v_pk_fma_f16 v72, v6, v80, v72
	v_pk_fma_f16 v53, v6, v55, v53
	v_pk_fma_f16 v73, v7, v80, v73
	v_pk_fma_f16 v74, v7, v55, v74
	s_waitcnt lgkmcnt(0)
	v_pk_fma_f16 v75, v8, v80, v75
	v_pk_fma_f16 v76, v8, v55, v76
	v_pk_fma_f16 v66, v9, v80, v66
	v_pk_fma_f16 v77, v9, v55, v77
	v_pk_fma_f16 v67, v10, v80, v67
	v_pk_fma_f16 v78, v10, v55, v78
	v_pk_fma_f16 v79, v11, v80, v79
	v_pk_fma_f16 v54, v11, v55, v54
	ds_read2_b64 v[4:7], v46 offset1:32
	ds_read2_b64 v[8:11], v46 offset0:64 offset1:96
	v_mul_u32_u24_sdwa v55, v56, s15 dst_sel:DWORD dst_unused:UNUSED_PAD src0_sel:WORD_0 src1_sel:DWORD
	v_mul_u32_u24_sdwa v56, v56, s15 dst_sel:DWORD dst_unused:UNUSED_PAD src0_sel:WORD_1 src1_sel:DWORD
	s_waitcnt lgkmcnt(1)
	v_pk_fma_f16 v68, v4, v55, v68
	v_pk_fma_f16 v69, v4, v56, v69
	v_pk_fma_f16 v70, v5, v55, v70
	v_pk_fma_f16 v71, v5, v56, v71
	v_pk_fma_f16 v72, v6, v55, v72
	v_pk_fma_f16 v53, v6, v56, v53
	v_pk_fma_f16 v73, v7, v55, v73
	v_pk_fma_f16 v74, v7, v56, v74
	s_waitcnt lgkmcnt(0)
	v_pk_fma_f16 v75, v8, v55, v75
	v_pk_fma_f16 v76, v8, v56, v76
	v_pk_fma_f16 v66, v9, v55, v66
	v_pk_fma_f16 v77, v9, v56, v77
	v_pk_fma_f16 v67, v10, v55, v67
	v_pk_fma_f16 v78, v10, v56, v78
	v_pk_fma_f16 v55, v11, v55, v79
	v_pk_fma_f16 v54, v11, v56, v54
	ds_read2_b64 v[4:7], v46 offset0:128 offset1:160
	ds_read2_b64 v[8:11], v46 offset0:192 offset1:224
	v_mul_u32_u24_sdwa v56, v57, s15 dst_sel:DWORD dst_unused:UNUSED_PAD src0_sel:WORD_0 src1_sel:DWORD
	v_mul_u32_u24_sdwa v57, v57, s15 dst_sel:DWORD dst_unused:UNUSED_PAD src0_sel:WORD_1 src1_sel:DWORD
	s_waitcnt lgkmcnt(1)
	v_pk_fma_f16 v68, v4, v56, v68
	v_pk_fma_f16 v69, v4, v57, v69
	v_pk_fma_f16 v70, v5, v56, v70
	v_pk_fma_f16 v71, v5, v57, v71
	v_pk_fma_f16 v72, v6, v56, v72
	v_pk_fma_f16 v53, v6, v57, v53
	v_pk_fma_f16 v73, v7, v56, v73
	v_pk_fma_f16 v74, v7, v57, v74
	s_waitcnt lgkmcnt(0)
	v_pk_fma_f16 v75, v8, v56, v75
	v_pk_fma_f16 v76, v8, v57, v76
	v_pk_fma_f16 v66, v9, v56, v66
	v_pk_fma_f16 v77, v9, v57, v77
	v_pk_fma_f16 v67, v10, v56, v67
	v_pk_fma_f16 v78, v10, v57, v78
	v_pk_fma_f16 v55, v11, v56, v55
	v_pk_fma_f16 v54, v11, v57, v54
	ds_read2_b64 v[4:7], v47 offset1:32
	ds_read2_b64 v[8:11], v47 offset0:64 offset1:96
	v_mul_u32_u24_sdwa v56, v58, s15 dst_sel:DWORD dst_unused:UNUSED_PAD src0_sel:WORD_0 src1_sel:DWORD
	v_mul_u32_u24_sdwa v57, v58, s15 dst_sel:DWORD dst_unused:UNUSED_PAD src0_sel:WORD_1 src1_sel:DWORD
	s_waitcnt lgkmcnt(1)
	v_pk_fma_f16 v58, v4, v56, v68
	v_pk_fma_f16 v68, v4, v57, v69
	v_pk_fma_f16 v69, v5, v56, v70
	v_pk_fma_f16 v70, v5, v57, v71
	v_pk_fma_f16 v71, v6, v56, v72
	v_pk_fma_f16 v53, v6, v57, v53
	v_pk_fma_f16 v72, v7, v56, v73
	v_pk_fma_f16 v73, v7, v57, v74
	s_waitcnt lgkmcnt(0)
	v_pk_fma_f16 v74, v8, v56, v75
	v_pk_fma_f16 v75, v8, v57, v76
	v_pk_fma_f16 v66, v9, v56, v66
	v_pk_fma_f16 v76, v9, v57, v77
	v_pk_fma_f16 v67, v10, v56, v67
	v_pk_fma_f16 v77, v10, v57, v78
	v_pk_fma_f16 v55, v11, v56, v55
	v_pk_fma_f16 v54, v11, v57, v54
	;; [unrolled: 44-line block ×7, first 2 shown]
	ds_read2_b64 v[4:7], v52 offset0:128 offset1:160
	ds_read2_b64 v[8:11], v52 offset0:192 offset1:224
	v_mul_u32_u24_sdwa v2, v3, s15 dst_sel:DWORD dst_unused:UNUSED_PAD src0_sel:WORD_0 src1_sel:DWORD
	v_mul_u32_u24_sdwa v3, v3, s15 dst_sel:DWORD dst_unused:UNUSED_PAD src0_sel:WORD_1 src1_sel:DWORD
	s_waitcnt lgkmcnt(0)
	v_pk_fma_f16 v68, v4, v2, v55
	v_pk_fma_f16 v69, v4, v3, v56
	;; [unrolled: 1-line block ×4, first 2 shown]
	v_lshl_add_u64 v[4:5], s[20:21], 2, v[24:25]
	v_pk_fma_f16 v72, v6, v2, v59
	v_pk_fma_f16 v53, v6, v3, v53
	;; [unrolled: 1-line block ×12, first 2 shown]
	s_barrier
	global_load_dwordx4 v[0:3], v[4:5], off
	s_or_b32 s20, s2, 48
	s_mul_hi_i32 s21, s20, s10
	s_mul_i32 s20, s20, s10
	s_waitcnt vmcnt(0)
	ds_write_b128 v41, v[0:3]
	global_load_dwordx4 v[0:3], v[4:5], off offset:512
	s_waitcnt vmcnt(0)
	ds_write_b128 v42, v[0:3]
	s_waitcnt lgkmcnt(0)
	s_barrier
	ds_read2_b64 v[4:7], v43 offset1:32
	ds_read2_b64 v[8:11], v43 offset0:64 offset1:96
	ds_read_b128 v[54:57], v40 offset:128
	ds_read_b128 v[58:61], v40 offset:144
	;; [unrolled: 1-line block ×4, first 2 shown]
	s_waitcnt lgkmcnt(3)
	v_mul_u32_u24_sdwa v81, v54, s15 dst_sel:DWORD dst_unused:UNUSED_PAD src0_sel:WORD_0 src1_sel:DWORD
	v_mul_u32_u24_sdwa v54, v54, s15 dst_sel:DWORD dst_unused:UNUSED_PAD src0_sel:WORD_1 src1_sel:DWORD
	v_pk_fma_f16 v68, v4, v81, v68
	v_pk_fma_f16 v69, v4, v54, v69
	;; [unrolled: 1-line block ×16, first 2 shown]
	ds_read2_b64 v[4:7], v43 offset0:128 offset1:160
	ds_read2_b64 v[8:11], v43 offset0:192 offset1:224
	v_mul_u32_u24_sdwa v80, v55, s15 dst_sel:DWORD dst_unused:UNUSED_PAD src0_sel:WORD_0 src1_sel:DWORD
	v_mul_u32_u24_sdwa v55, v55, s15 dst_sel:DWORD dst_unused:UNUSED_PAD src0_sel:WORD_1 src1_sel:DWORD
	s_waitcnt lgkmcnt(1)
	v_pk_fma_f16 v68, v4, v80, v68
	v_pk_fma_f16 v69, v4, v55, v69
	v_pk_fma_f16 v70, v5, v80, v70
	v_pk_fma_f16 v71, v5, v55, v71
	v_pk_fma_f16 v72, v6, v80, v72
	v_pk_fma_f16 v53, v6, v55, v53
	v_pk_fma_f16 v73, v7, v80, v73
	v_pk_fma_f16 v74, v7, v55, v74
	s_waitcnt lgkmcnt(0)
	v_pk_fma_f16 v75, v8, v80, v75
	v_pk_fma_f16 v76, v8, v55, v76
	v_pk_fma_f16 v77, v9, v80, v77
	v_pk_fma_f16 v78, v9, v55, v78
	v_pk_fma_f16 v66, v10, v80, v66
	v_pk_fma_f16 v67, v10, v55, v67
	v_pk_fma_f16 v79, v11, v80, v79
	v_pk_fma_f16 v54, v11, v55, v54
	ds_read2_b64 v[4:7], v46 offset1:32
	ds_read2_b64 v[8:11], v46 offset0:64 offset1:96
	v_mul_u32_u24_sdwa v55, v56, s15 dst_sel:DWORD dst_unused:UNUSED_PAD src0_sel:WORD_0 src1_sel:DWORD
	v_mul_u32_u24_sdwa v56, v56, s15 dst_sel:DWORD dst_unused:UNUSED_PAD src0_sel:WORD_1 src1_sel:DWORD
	s_waitcnt lgkmcnt(1)
	v_pk_fma_f16 v68, v4, v55, v68
	v_pk_fma_f16 v69, v4, v56, v69
	v_pk_fma_f16 v70, v5, v55, v70
	v_pk_fma_f16 v71, v5, v56, v71
	v_pk_fma_f16 v72, v6, v55, v72
	v_pk_fma_f16 v53, v6, v56, v53
	v_pk_fma_f16 v73, v7, v55, v73
	v_pk_fma_f16 v74, v7, v56, v74
	s_waitcnt lgkmcnt(0)
	v_pk_fma_f16 v75, v8, v55, v75
	v_pk_fma_f16 v76, v8, v56, v76
	v_pk_fma_f16 v77, v9, v55, v77
	v_pk_fma_f16 v78, v9, v56, v78
	v_pk_fma_f16 v66, v10, v55, v66
	v_pk_fma_f16 v67, v10, v56, v67
	v_pk_fma_f16 v55, v11, v55, v79
	v_pk_fma_f16 v54, v11, v56, v54
	ds_read2_b64 v[4:7], v46 offset0:128 offset1:160
	ds_read2_b64 v[8:11], v46 offset0:192 offset1:224
	v_mul_u32_u24_sdwa v56, v57, s15 dst_sel:DWORD dst_unused:UNUSED_PAD src0_sel:WORD_0 src1_sel:DWORD
	v_mul_u32_u24_sdwa v57, v57, s15 dst_sel:DWORD dst_unused:UNUSED_PAD src0_sel:WORD_1 src1_sel:DWORD
	s_waitcnt lgkmcnt(1)
	v_pk_fma_f16 v68, v4, v56, v68
	v_pk_fma_f16 v69, v4, v57, v69
	v_pk_fma_f16 v70, v5, v56, v70
	v_pk_fma_f16 v71, v5, v57, v71
	v_pk_fma_f16 v72, v6, v56, v72
	v_pk_fma_f16 v53, v6, v57, v53
	v_pk_fma_f16 v73, v7, v56, v73
	v_pk_fma_f16 v74, v7, v57, v74
	s_waitcnt lgkmcnt(0)
	v_pk_fma_f16 v75, v8, v56, v75
	v_pk_fma_f16 v76, v8, v57, v76
	v_pk_fma_f16 v77, v9, v56, v77
	v_pk_fma_f16 v78, v9, v57, v78
	v_pk_fma_f16 v66, v10, v56, v66
	v_pk_fma_f16 v67, v10, v57, v67
	v_pk_fma_f16 v55, v11, v56, v55
	v_pk_fma_f16 v54, v11, v57, v54
	ds_read2_b64 v[4:7], v47 offset1:32
	ds_read2_b64 v[8:11], v47 offset0:64 offset1:96
	v_mul_u32_u24_sdwa v56, v58, s15 dst_sel:DWORD dst_unused:UNUSED_PAD src0_sel:WORD_0 src1_sel:DWORD
	v_mul_u32_u24_sdwa v57, v58, s15 dst_sel:DWORD dst_unused:UNUSED_PAD src0_sel:WORD_1 src1_sel:DWORD
	s_waitcnt lgkmcnt(1)
	v_pk_fma_f16 v58, v4, v56, v68
	v_pk_fma_f16 v68, v4, v57, v69
	v_pk_fma_f16 v69, v5, v56, v70
	v_pk_fma_f16 v70, v5, v57, v71
	v_pk_fma_f16 v71, v6, v56, v72
	v_pk_fma_f16 v53, v6, v57, v53
	v_pk_fma_f16 v72, v7, v56, v73
	v_pk_fma_f16 v73, v7, v57, v74
	s_waitcnt lgkmcnt(0)
	v_pk_fma_f16 v74, v8, v56, v75
	v_pk_fma_f16 v75, v8, v57, v76
	v_pk_fma_f16 v76, v9, v56, v77
	v_pk_fma_f16 v77, v9, v57, v78
	v_pk_fma_f16 v66, v10, v56, v66
	v_pk_fma_f16 v67, v10, v57, v67
	v_pk_fma_f16 v55, v11, v56, v55
	v_pk_fma_f16 v54, v11, v57, v54
	;; [unrolled: 44-line block ×7, first 2 shown]
	ds_read2_b64 v[4:7], v52 offset0:128 offset1:160
	ds_read2_b64 v[8:11], v52 offset0:192 offset1:224
	v_mul_u32_u24_sdwa v2, v3, s15 dst_sel:DWORD dst_unused:UNUSED_PAD src0_sel:WORD_0 src1_sel:DWORD
	v_mul_u32_u24_sdwa v3, v3, s15 dst_sel:DWORD dst_unused:UNUSED_PAD src0_sel:WORD_1 src1_sel:DWORD
	s_waitcnt lgkmcnt(0)
	v_pk_fma_f16 v68, v4, v2, v55
	v_pk_fma_f16 v69, v4, v3, v56
	;; [unrolled: 1-line block ×4, first 2 shown]
	v_lshl_add_u64 v[4:5], s[20:21], 2, v[24:25]
	v_pk_fma_f16 v72, v6, v2, v59
	v_pk_fma_f16 v53, v6, v3, v53
	;; [unrolled: 1-line block ×12, first 2 shown]
	s_barrier
	global_load_dwordx4 v[0:3], v[4:5], off
	s_or_b32 s20, s2, 64
	s_mul_hi_i32 s21, s20, s10
	s_mul_i32 s20, s20, s10
	s_waitcnt vmcnt(0)
	ds_write_b128 v41, v[0:3]
	global_load_dwordx4 v[0:3], v[4:5], off offset:512
	s_waitcnt vmcnt(0)
	ds_write_b128 v42, v[0:3]
	s_waitcnt lgkmcnt(0)
	s_barrier
	ds_read2_b64 v[4:7], v43 offset1:32
	ds_read2_b64 v[8:11], v43 offset0:64 offset1:96
	ds_read_b128 v[54:57], v40 offset:192
	ds_read_b128 v[58:61], v40 offset:208
	ds_read_b128 v[62:65], v40 offset:224
	ds_read_b128 v[0:3], v40 offset:240
	s_waitcnt lgkmcnt(3)
	v_mul_u32_u24_sdwa v81, v54, s15 dst_sel:DWORD dst_unused:UNUSED_PAD src0_sel:WORD_0 src1_sel:DWORD
	v_mul_u32_u24_sdwa v54, v54, s15 dst_sel:DWORD dst_unused:UNUSED_PAD src0_sel:WORD_1 src1_sel:DWORD
	v_pk_fma_f16 v68, v4, v81, v68
	v_pk_fma_f16 v69, v4, v54, v69
	;; [unrolled: 1-line block ×16, first 2 shown]
	ds_read2_b64 v[4:7], v43 offset0:128 offset1:160
	ds_read2_b64 v[8:11], v43 offset0:192 offset1:224
	v_mul_u32_u24_sdwa v80, v55, s15 dst_sel:DWORD dst_unused:UNUSED_PAD src0_sel:WORD_0 src1_sel:DWORD
	v_mul_u32_u24_sdwa v55, v55, s15 dst_sel:DWORD dst_unused:UNUSED_PAD src0_sel:WORD_1 src1_sel:DWORD
	s_waitcnt lgkmcnt(1)
	v_pk_fma_f16 v68, v4, v80, v68
	v_pk_fma_f16 v69, v4, v55, v69
	v_pk_fma_f16 v70, v5, v80, v70
	v_pk_fma_f16 v71, v5, v55, v71
	v_pk_fma_f16 v72, v6, v80, v72
	v_pk_fma_f16 v53, v6, v55, v53
	v_pk_fma_f16 v73, v7, v80, v73
	v_pk_fma_f16 v74, v7, v55, v74
	s_waitcnt lgkmcnt(0)
	v_pk_fma_f16 v75, v8, v80, v75
	v_pk_fma_f16 v76, v8, v55, v76
	v_pk_fma_f16 v77, v9, v80, v77
	v_pk_fma_f16 v78, v9, v55, v78
	v_pk_fma_f16 v66, v10, v80, v66
	v_pk_fma_f16 v67, v10, v55, v67
	v_pk_fma_f16 v79, v11, v80, v79
	v_pk_fma_f16 v54, v11, v55, v54
	ds_read2_b64 v[4:7], v46 offset1:32
	ds_read2_b64 v[8:11], v46 offset0:64 offset1:96
	v_mul_u32_u24_sdwa v55, v56, s15 dst_sel:DWORD dst_unused:UNUSED_PAD src0_sel:WORD_0 src1_sel:DWORD
	v_mul_u32_u24_sdwa v56, v56, s15 dst_sel:DWORD dst_unused:UNUSED_PAD src0_sel:WORD_1 src1_sel:DWORD
	s_waitcnt lgkmcnt(1)
	v_pk_fma_f16 v68, v4, v55, v68
	v_pk_fma_f16 v69, v4, v56, v69
	v_pk_fma_f16 v70, v5, v55, v70
	v_pk_fma_f16 v71, v5, v56, v71
	v_pk_fma_f16 v72, v6, v55, v72
	v_pk_fma_f16 v53, v6, v56, v53
	v_pk_fma_f16 v73, v7, v55, v73
	v_pk_fma_f16 v74, v7, v56, v74
	s_waitcnt lgkmcnt(0)
	v_pk_fma_f16 v75, v8, v55, v75
	v_pk_fma_f16 v76, v8, v56, v76
	v_pk_fma_f16 v77, v9, v55, v77
	v_pk_fma_f16 v78, v9, v56, v78
	v_pk_fma_f16 v66, v10, v55, v66
	v_pk_fma_f16 v67, v10, v56, v67
	v_pk_fma_f16 v55, v11, v55, v79
	v_pk_fma_f16 v54, v11, v56, v54
	ds_read2_b64 v[4:7], v46 offset0:128 offset1:160
	ds_read2_b64 v[8:11], v46 offset0:192 offset1:224
	v_mul_u32_u24_sdwa v56, v57, s15 dst_sel:DWORD dst_unused:UNUSED_PAD src0_sel:WORD_0 src1_sel:DWORD
	v_mul_u32_u24_sdwa v57, v57, s15 dst_sel:DWORD dst_unused:UNUSED_PAD src0_sel:WORD_1 src1_sel:DWORD
	s_waitcnt lgkmcnt(1)
	v_pk_fma_f16 v68, v4, v56, v68
	v_pk_fma_f16 v69, v4, v57, v69
	v_pk_fma_f16 v70, v5, v56, v70
	v_pk_fma_f16 v71, v5, v57, v71
	v_pk_fma_f16 v72, v6, v56, v72
	v_pk_fma_f16 v53, v6, v57, v53
	v_pk_fma_f16 v73, v7, v56, v73
	v_pk_fma_f16 v74, v7, v57, v74
	s_waitcnt lgkmcnt(0)
	v_pk_fma_f16 v75, v8, v56, v75
	v_pk_fma_f16 v76, v8, v57, v76
	v_pk_fma_f16 v77, v9, v56, v77
	v_pk_fma_f16 v78, v9, v57, v78
	v_pk_fma_f16 v66, v10, v56, v66
	v_pk_fma_f16 v67, v10, v57, v67
	v_pk_fma_f16 v55, v11, v56, v55
	v_pk_fma_f16 v54, v11, v57, v54
	ds_read2_b64 v[4:7], v47 offset1:32
	ds_read2_b64 v[8:11], v47 offset0:64 offset1:96
	v_mul_u32_u24_sdwa v56, v58, s15 dst_sel:DWORD dst_unused:UNUSED_PAD src0_sel:WORD_0 src1_sel:DWORD
	v_mul_u32_u24_sdwa v57, v58, s15 dst_sel:DWORD dst_unused:UNUSED_PAD src0_sel:WORD_1 src1_sel:DWORD
	s_waitcnt lgkmcnt(1)
	v_pk_fma_f16 v58, v4, v56, v68
	v_pk_fma_f16 v68, v4, v57, v69
	v_pk_fma_f16 v69, v5, v56, v70
	v_pk_fma_f16 v70, v5, v57, v71
	v_pk_fma_f16 v71, v6, v56, v72
	v_pk_fma_f16 v53, v6, v57, v53
	v_pk_fma_f16 v72, v7, v56, v73
	v_pk_fma_f16 v73, v7, v57, v74
	s_waitcnt lgkmcnt(0)
	v_pk_fma_f16 v74, v8, v56, v75
	v_pk_fma_f16 v75, v8, v57, v76
	v_pk_fma_f16 v76, v9, v56, v77
	v_pk_fma_f16 v77, v9, v57, v78
	v_pk_fma_f16 v66, v10, v56, v66
	v_pk_fma_f16 v67, v10, v57, v67
	v_pk_fma_f16 v55, v11, v56, v55
	v_pk_fma_f16 v54, v11, v57, v54
	;; [unrolled: 44-line block ×7, first 2 shown]
	ds_read2_b64 v[4:7], v52 offset0:128 offset1:160
	ds_read2_b64 v[8:11], v52 offset0:192 offset1:224
	v_mul_u32_u24_sdwa v2, v3, s15 dst_sel:DWORD dst_unused:UNUSED_PAD src0_sel:WORD_0 src1_sel:DWORD
	v_mul_u32_u24_sdwa v3, v3, s15 dst_sel:DWORD dst_unused:UNUSED_PAD src0_sel:WORD_1 src1_sel:DWORD
	s_waitcnt lgkmcnt(0)
	v_pk_fma_f16 v68, v4, v2, v55
	v_pk_fma_f16 v69, v4, v3, v56
	;; [unrolled: 1-line block ×4, first 2 shown]
	v_lshl_add_u64 v[4:5], s[20:21], 2, v[24:25]
	v_pk_fma_f16 v72, v6, v2, v59
	v_pk_fma_f16 v53, v6, v3, v53
	;; [unrolled: 1-line block ×12, first 2 shown]
	s_barrier
	global_load_dwordx4 v[0:3], v[4:5], off
	s_or_b32 s20, s2, 0x50
	s_mul_hi_i32 s21, s20, s10
	s_mul_i32 s20, s20, s10
	s_waitcnt vmcnt(0)
	ds_write_b128 v41, v[0:3]
	global_load_dwordx4 v[0:3], v[4:5], off offset:512
	s_waitcnt vmcnt(0)
	ds_write_b128 v42, v[0:3]
	s_waitcnt lgkmcnt(0)
	s_barrier
	ds_read2_b64 v[4:7], v43 offset1:32
	ds_read2_b64 v[8:11], v43 offset0:64 offset1:96
	ds_read_b128 v[54:57], v40 offset:256
	ds_read_b128 v[58:61], v40 offset:272
	;; [unrolled: 1-line block ×4, first 2 shown]
	s_waitcnt lgkmcnt(3)
	v_mul_u32_u24_sdwa v81, v54, s15 dst_sel:DWORD dst_unused:UNUSED_PAD src0_sel:WORD_0 src1_sel:DWORD
	v_mul_u32_u24_sdwa v54, v54, s15 dst_sel:DWORD dst_unused:UNUSED_PAD src0_sel:WORD_1 src1_sel:DWORD
	v_pk_fma_f16 v68, v4, v81, v68
	v_pk_fma_f16 v69, v4, v54, v69
	;; [unrolled: 1-line block ×16, first 2 shown]
	ds_read2_b64 v[4:7], v43 offset0:128 offset1:160
	ds_read2_b64 v[8:11], v43 offset0:192 offset1:224
	v_mul_u32_u24_sdwa v80, v55, s15 dst_sel:DWORD dst_unused:UNUSED_PAD src0_sel:WORD_0 src1_sel:DWORD
	v_mul_u32_u24_sdwa v55, v55, s15 dst_sel:DWORD dst_unused:UNUSED_PAD src0_sel:WORD_1 src1_sel:DWORD
	s_waitcnt lgkmcnt(1)
	v_pk_fma_f16 v68, v4, v80, v68
	v_pk_fma_f16 v69, v4, v55, v69
	v_pk_fma_f16 v70, v5, v80, v70
	v_pk_fma_f16 v71, v5, v55, v71
	v_pk_fma_f16 v72, v6, v80, v72
	v_pk_fma_f16 v53, v6, v55, v53
	v_pk_fma_f16 v73, v7, v80, v73
	v_pk_fma_f16 v74, v7, v55, v74
	s_waitcnt lgkmcnt(0)
	v_pk_fma_f16 v75, v8, v80, v75
	v_pk_fma_f16 v76, v8, v55, v76
	v_pk_fma_f16 v77, v9, v80, v77
	v_pk_fma_f16 v78, v9, v55, v78
	v_pk_fma_f16 v66, v10, v80, v66
	v_pk_fma_f16 v67, v10, v55, v67
	v_pk_fma_f16 v79, v11, v80, v79
	v_pk_fma_f16 v54, v11, v55, v54
	ds_read2_b64 v[4:7], v46 offset1:32
	ds_read2_b64 v[8:11], v46 offset0:64 offset1:96
	v_mul_u32_u24_sdwa v55, v56, s15 dst_sel:DWORD dst_unused:UNUSED_PAD src0_sel:WORD_0 src1_sel:DWORD
	v_mul_u32_u24_sdwa v56, v56, s15 dst_sel:DWORD dst_unused:UNUSED_PAD src0_sel:WORD_1 src1_sel:DWORD
	s_waitcnt lgkmcnt(1)
	v_pk_fma_f16 v68, v4, v55, v68
	v_pk_fma_f16 v69, v4, v56, v69
	v_pk_fma_f16 v70, v5, v55, v70
	v_pk_fma_f16 v71, v5, v56, v71
	v_pk_fma_f16 v72, v6, v55, v72
	v_pk_fma_f16 v53, v6, v56, v53
	v_pk_fma_f16 v73, v7, v55, v73
	v_pk_fma_f16 v74, v7, v56, v74
	s_waitcnt lgkmcnt(0)
	v_pk_fma_f16 v75, v8, v55, v75
	v_pk_fma_f16 v76, v8, v56, v76
	v_pk_fma_f16 v77, v9, v55, v77
	v_pk_fma_f16 v78, v9, v56, v78
	v_pk_fma_f16 v66, v10, v55, v66
	v_pk_fma_f16 v67, v10, v56, v67
	v_pk_fma_f16 v55, v11, v55, v79
	v_pk_fma_f16 v54, v11, v56, v54
	ds_read2_b64 v[4:7], v46 offset0:128 offset1:160
	ds_read2_b64 v[8:11], v46 offset0:192 offset1:224
	v_mul_u32_u24_sdwa v56, v57, s15 dst_sel:DWORD dst_unused:UNUSED_PAD src0_sel:WORD_0 src1_sel:DWORD
	v_mul_u32_u24_sdwa v57, v57, s15 dst_sel:DWORD dst_unused:UNUSED_PAD src0_sel:WORD_1 src1_sel:DWORD
	s_waitcnt lgkmcnt(1)
	v_pk_fma_f16 v68, v4, v56, v68
	v_pk_fma_f16 v69, v4, v57, v69
	v_pk_fma_f16 v70, v5, v56, v70
	v_pk_fma_f16 v71, v5, v57, v71
	v_pk_fma_f16 v72, v6, v56, v72
	v_pk_fma_f16 v53, v6, v57, v53
	v_pk_fma_f16 v73, v7, v56, v73
	v_pk_fma_f16 v74, v7, v57, v74
	s_waitcnt lgkmcnt(0)
	v_pk_fma_f16 v75, v8, v56, v75
	v_pk_fma_f16 v76, v8, v57, v76
	v_pk_fma_f16 v77, v9, v56, v77
	v_pk_fma_f16 v78, v9, v57, v78
	v_pk_fma_f16 v66, v10, v56, v66
	v_pk_fma_f16 v67, v10, v57, v67
	v_pk_fma_f16 v55, v11, v56, v55
	v_pk_fma_f16 v54, v11, v57, v54
	ds_read2_b64 v[4:7], v47 offset1:32
	ds_read2_b64 v[8:11], v47 offset0:64 offset1:96
	v_mul_u32_u24_sdwa v56, v58, s15 dst_sel:DWORD dst_unused:UNUSED_PAD src0_sel:WORD_0 src1_sel:DWORD
	v_mul_u32_u24_sdwa v57, v58, s15 dst_sel:DWORD dst_unused:UNUSED_PAD src0_sel:WORD_1 src1_sel:DWORD
	s_waitcnt lgkmcnt(1)
	v_pk_fma_f16 v58, v4, v56, v68
	v_pk_fma_f16 v68, v4, v57, v69
	v_pk_fma_f16 v69, v5, v56, v70
	v_pk_fma_f16 v70, v5, v57, v71
	v_pk_fma_f16 v71, v6, v56, v72
	v_pk_fma_f16 v53, v6, v57, v53
	v_pk_fma_f16 v72, v7, v56, v73
	v_pk_fma_f16 v73, v7, v57, v74
	s_waitcnt lgkmcnt(0)
	v_pk_fma_f16 v74, v8, v56, v75
	v_pk_fma_f16 v75, v8, v57, v76
	v_pk_fma_f16 v76, v9, v56, v77
	v_pk_fma_f16 v77, v9, v57, v78
	v_pk_fma_f16 v66, v10, v56, v66
	v_pk_fma_f16 v67, v10, v57, v67
	v_pk_fma_f16 v55, v11, v56, v55
	v_pk_fma_f16 v54, v11, v57, v54
	;; [unrolled: 44-line block ×7, first 2 shown]
	ds_read2_b64 v[4:7], v52 offset0:128 offset1:160
	ds_read2_b64 v[8:11], v52 offset0:192 offset1:224
	v_mul_u32_u24_sdwa v2, v3, s15 dst_sel:DWORD dst_unused:UNUSED_PAD src0_sel:WORD_0 src1_sel:DWORD
	v_mul_u32_u24_sdwa v3, v3, s15 dst_sel:DWORD dst_unused:UNUSED_PAD src0_sel:WORD_1 src1_sel:DWORD
	s_waitcnt lgkmcnt(0)
	v_pk_fma_f16 v68, v4, v2, v55
	v_pk_fma_f16 v69, v4, v3, v56
	;; [unrolled: 1-line block ×4, first 2 shown]
	v_lshl_add_u64 v[4:5], s[20:21], 2, v[24:25]
	v_pk_fma_f16 v72, v6, v2, v59
	v_pk_fma_f16 v53, v6, v3, v53
	;; [unrolled: 1-line block ×12, first 2 shown]
	s_barrier
	global_load_dwordx4 v[0:3], v[4:5], off
	s_or_b32 s20, s2, 0x60
	s_mul_hi_i32 s21, s20, s10
	s_mul_i32 s20, s20, s10
	s_waitcnt vmcnt(0)
	ds_write_b128 v41, v[0:3]
	global_load_dwordx4 v[0:3], v[4:5], off offset:512
	s_waitcnt vmcnt(0)
	ds_write_b128 v42, v[0:3]
	s_waitcnt lgkmcnt(0)
	s_barrier
	ds_read2_b64 v[4:7], v43 offset1:32
	ds_read2_b64 v[8:11], v43 offset0:64 offset1:96
	ds_read_b128 v[54:57], v40 offset:320
	ds_read_b128 v[58:61], v40 offset:336
	;; [unrolled: 1-line block ×4, first 2 shown]
	s_waitcnt lgkmcnt(3)
	v_mul_u32_u24_sdwa v81, v54, s15 dst_sel:DWORD dst_unused:UNUSED_PAD src0_sel:WORD_0 src1_sel:DWORD
	v_mul_u32_u24_sdwa v54, v54, s15 dst_sel:DWORD dst_unused:UNUSED_PAD src0_sel:WORD_1 src1_sel:DWORD
	v_pk_fma_f16 v68, v4, v81, v68
	v_pk_fma_f16 v69, v4, v54, v69
	;; [unrolled: 1-line block ×16, first 2 shown]
	ds_read2_b64 v[4:7], v43 offset0:128 offset1:160
	ds_read2_b64 v[8:11], v43 offset0:192 offset1:224
	v_mul_u32_u24_sdwa v80, v55, s15 dst_sel:DWORD dst_unused:UNUSED_PAD src0_sel:WORD_0 src1_sel:DWORD
	v_mul_u32_u24_sdwa v55, v55, s15 dst_sel:DWORD dst_unused:UNUSED_PAD src0_sel:WORD_1 src1_sel:DWORD
	s_waitcnt lgkmcnt(1)
	v_pk_fma_f16 v68, v4, v80, v68
	v_pk_fma_f16 v69, v4, v55, v69
	v_pk_fma_f16 v70, v5, v80, v70
	v_pk_fma_f16 v71, v5, v55, v71
	v_pk_fma_f16 v72, v6, v80, v72
	v_pk_fma_f16 v53, v6, v55, v53
	v_pk_fma_f16 v73, v7, v80, v73
	v_pk_fma_f16 v74, v7, v55, v74
	s_waitcnt lgkmcnt(0)
	v_pk_fma_f16 v75, v8, v80, v75
	v_pk_fma_f16 v76, v8, v55, v76
	v_pk_fma_f16 v77, v9, v80, v77
	v_pk_fma_f16 v78, v9, v55, v78
	v_pk_fma_f16 v66, v10, v80, v66
	v_pk_fma_f16 v67, v10, v55, v67
	v_pk_fma_f16 v79, v11, v80, v79
	v_pk_fma_f16 v54, v11, v55, v54
	ds_read2_b64 v[4:7], v46 offset1:32
	ds_read2_b64 v[8:11], v46 offset0:64 offset1:96
	v_mul_u32_u24_sdwa v55, v56, s15 dst_sel:DWORD dst_unused:UNUSED_PAD src0_sel:WORD_0 src1_sel:DWORD
	v_mul_u32_u24_sdwa v56, v56, s15 dst_sel:DWORD dst_unused:UNUSED_PAD src0_sel:WORD_1 src1_sel:DWORD
	s_waitcnt lgkmcnt(1)
	v_pk_fma_f16 v68, v4, v55, v68
	v_pk_fma_f16 v69, v4, v56, v69
	v_pk_fma_f16 v70, v5, v55, v70
	v_pk_fma_f16 v71, v5, v56, v71
	v_pk_fma_f16 v72, v6, v55, v72
	v_pk_fma_f16 v53, v6, v56, v53
	v_pk_fma_f16 v73, v7, v55, v73
	v_pk_fma_f16 v74, v7, v56, v74
	s_waitcnt lgkmcnt(0)
	v_pk_fma_f16 v75, v8, v55, v75
	v_pk_fma_f16 v76, v8, v56, v76
	v_pk_fma_f16 v77, v9, v55, v77
	v_pk_fma_f16 v78, v9, v56, v78
	v_pk_fma_f16 v66, v10, v55, v66
	v_pk_fma_f16 v67, v10, v56, v67
	v_pk_fma_f16 v55, v11, v55, v79
	v_pk_fma_f16 v54, v11, v56, v54
	ds_read2_b64 v[4:7], v46 offset0:128 offset1:160
	ds_read2_b64 v[8:11], v46 offset0:192 offset1:224
	v_mul_u32_u24_sdwa v56, v57, s15 dst_sel:DWORD dst_unused:UNUSED_PAD src0_sel:WORD_0 src1_sel:DWORD
	v_mul_u32_u24_sdwa v57, v57, s15 dst_sel:DWORD dst_unused:UNUSED_PAD src0_sel:WORD_1 src1_sel:DWORD
	s_waitcnt lgkmcnt(1)
	v_pk_fma_f16 v68, v4, v56, v68
	v_pk_fma_f16 v69, v4, v57, v69
	v_pk_fma_f16 v70, v5, v56, v70
	v_pk_fma_f16 v71, v5, v57, v71
	v_pk_fma_f16 v72, v6, v56, v72
	v_pk_fma_f16 v53, v6, v57, v53
	v_pk_fma_f16 v73, v7, v56, v73
	v_pk_fma_f16 v74, v7, v57, v74
	s_waitcnt lgkmcnt(0)
	v_pk_fma_f16 v75, v8, v56, v75
	v_pk_fma_f16 v76, v8, v57, v76
	v_pk_fma_f16 v77, v9, v56, v77
	v_pk_fma_f16 v78, v9, v57, v78
	v_pk_fma_f16 v66, v10, v56, v66
	v_pk_fma_f16 v67, v10, v57, v67
	v_pk_fma_f16 v55, v11, v56, v55
	v_pk_fma_f16 v54, v11, v57, v54
	ds_read2_b64 v[4:7], v47 offset1:32
	ds_read2_b64 v[8:11], v47 offset0:64 offset1:96
	v_mul_u32_u24_sdwa v56, v58, s15 dst_sel:DWORD dst_unused:UNUSED_PAD src0_sel:WORD_0 src1_sel:DWORD
	v_mul_u32_u24_sdwa v57, v58, s15 dst_sel:DWORD dst_unused:UNUSED_PAD src0_sel:WORD_1 src1_sel:DWORD
	s_waitcnt lgkmcnt(1)
	v_pk_fma_f16 v58, v4, v56, v68
	v_pk_fma_f16 v68, v4, v57, v69
	v_pk_fma_f16 v69, v5, v56, v70
	v_pk_fma_f16 v70, v5, v57, v71
	v_pk_fma_f16 v71, v6, v56, v72
	v_pk_fma_f16 v53, v6, v57, v53
	v_pk_fma_f16 v72, v7, v56, v73
	v_pk_fma_f16 v73, v7, v57, v74
	s_waitcnt lgkmcnt(0)
	v_pk_fma_f16 v74, v8, v56, v75
	v_pk_fma_f16 v75, v8, v57, v76
	v_pk_fma_f16 v76, v9, v56, v77
	v_pk_fma_f16 v77, v9, v57, v78
	v_pk_fma_f16 v66, v10, v56, v66
	v_pk_fma_f16 v67, v10, v57, v67
	v_pk_fma_f16 v55, v11, v56, v55
	v_pk_fma_f16 v54, v11, v57, v54
	;; [unrolled: 44-line block ×7, first 2 shown]
	ds_read2_b64 v[4:7], v52 offset0:128 offset1:160
	ds_read2_b64 v[8:11], v52 offset0:192 offset1:224
	v_mul_u32_u24_sdwa v2, v3, s15 dst_sel:DWORD dst_unused:UNUSED_PAD src0_sel:WORD_0 src1_sel:DWORD
	v_mul_u32_u24_sdwa v3, v3, s15 dst_sel:DWORD dst_unused:UNUSED_PAD src0_sel:WORD_1 src1_sel:DWORD
	s_waitcnt lgkmcnt(0)
	v_pk_fma_f16 v68, v4, v2, v55
	v_pk_fma_f16 v69, v4, v3, v56
	;; [unrolled: 1-line block ×4, first 2 shown]
	v_lshl_add_u64 v[4:5], s[20:21], 2, v[24:25]
	v_pk_fma_f16 v72, v6, v2, v59
	v_pk_fma_f16 v53, v6, v3, v53
	;; [unrolled: 1-line block ×12, first 2 shown]
	s_barrier
	global_load_dwordx4 v[0:3], v[4:5], off
	s_or_b32 s20, s2, 0x70
	s_mul_hi_i32 s21, s20, s10
	s_mul_i32 s20, s20, s10
	s_waitcnt vmcnt(0)
	ds_write_b128 v41, v[0:3]
	global_load_dwordx4 v[0:3], v[4:5], off offset:512
	s_waitcnt vmcnt(0)
	ds_write_b128 v42, v[0:3]
	s_waitcnt lgkmcnt(0)
	s_barrier
	ds_read2_b64 v[4:7], v43 offset1:32
	ds_read2_b64 v[8:11], v43 offset0:64 offset1:96
	ds_read_b128 v[54:57], v40 offset:384
	ds_read_b128 v[58:61], v40 offset:400
	;; [unrolled: 1-line block ×4, first 2 shown]
	s_waitcnt lgkmcnt(3)
	v_mul_u32_u24_sdwa v81, v54, s15 dst_sel:DWORD dst_unused:UNUSED_PAD src0_sel:WORD_0 src1_sel:DWORD
	v_mul_u32_u24_sdwa v54, v54, s15 dst_sel:DWORD dst_unused:UNUSED_PAD src0_sel:WORD_1 src1_sel:DWORD
	v_pk_fma_f16 v68, v4, v81, v68
	v_pk_fma_f16 v69, v4, v54, v69
	;; [unrolled: 1-line block ×16, first 2 shown]
	ds_read2_b64 v[4:7], v43 offset0:128 offset1:160
	ds_read2_b64 v[8:11], v43 offset0:192 offset1:224
	v_mul_u32_u24_sdwa v80, v55, s15 dst_sel:DWORD dst_unused:UNUSED_PAD src0_sel:WORD_0 src1_sel:DWORD
	v_mul_u32_u24_sdwa v55, v55, s15 dst_sel:DWORD dst_unused:UNUSED_PAD src0_sel:WORD_1 src1_sel:DWORD
	s_waitcnt lgkmcnt(1)
	v_pk_fma_f16 v68, v4, v80, v68
	v_pk_fma_f16 v69, v4, v55, v69
	v_pk_fma_f16 v70, v5, v80, v70
	v_pk_fma_f16 v71, v5, v55, v71
	v_pk_fma_f16 v72, v6, v80, v72
	v_pk_fma_f16 v53, v6, v55, v53
	v_pk_fma_f16 v73, v7, v80, v73
	v_pk_fma_f16 v74, v7, v55, v74
	s_waitcnt lgkmcnt(0)
	v_pk_fma_f16 v75, v8, v80, v75
	v_pk_fma_f16 v76, v8, v55, v76
	v_pk_fma_f16 v77, v9, v80, v77
	v_pk_fma_f16 v78, v9, v55, v78
	v_pk_fma_f16 v66, v10, v80, v66
	v_pk_fma_f16 v67, v10, v55, v67
	v_pk_fma_f16 v79, v11, v80, v79
	v_pk_fma_f16 v54, v11, v55, v54
	ds_read2_b64 v[4:7], v46 offset1:32
	ds_read2_b64 v[8:11], v46 offset0:64 offset1:96
	v_mul_u32_u24_sdwa v55, v56, s15 dst_sel:DWORD dst_unused:UNUSED_PAD src0_sel:WORD_0 src1_sel:DWORD
	v_mul_u32_u24_sdwa v56, v56, s15 dst_sel:DWORD dst_unused:UNUSED_PAD src0_sel:WORD_1 src1_sel:DWORD
	s_waitcnt lgkmcnt(1)
	v_pk_fma_f16 v68, v4, v55, v68
	v_pk_fma_f16 v69, v4, v56, v69
	v_pk_fma_f16 v70, v5, v55, v70
	v_pk_fma_f16 v71, v5, v56, v71
	v_pk_fma_f16 v72, v6, v55, v72
	v_pk_fma_f16 v53, v6, v56, v53
	v_pk_fma_f16 v73, v7, v55, v73
	v_pk_fma_f16 v74, v7, v56, v74
	s_waitcnt lgkmcnt(0)
	v_pk_fma_f16 v75, v8, v55, v75
	v_pk_fma_f16 v76, v8, v56, v76
	v_pk_fma_f16 v77, v9, v55, v77
	v_pk_fma_f16 v78, v9, v56, v78
	v_pk_fma_f16 v66, v10, v55, v66
	v_pk_fma_f16 v67, v10, v56, v67
	v_pk_fma_f16 v55, v11, v55, v79
	v_pk_fma_f16 v54, v11, v56, v54
	ds_read2_b64 v[4:7], v46 offset0:128 offset1:160
	ds_read2_b64 v[8:11], v46 offset0:192 offset1:224
	v_mul_u32_u24_sdwa v56, v57, s15 dst_sel:DWORD dst_unused:UNUSED_PAD src0_sel:WORD_0 src1_sel:DWORD
	v_mul_u32_u24_sdwa v57, v57, s15 dst_sel:DWORD dst_unused:UNUSED_PAD src0_sel:WORD_1 src1_sel:DWORD
	s_waitcnt lgkmcnt(1)
	v_pk_fma_f16 v68, v4, v56, v68
	v_pk_fma_f16 v69, v4, v57, v69
	v_pk_fma_f16 v70, v5, v56, v70
	v_pk_fma_f16 v71, v5, v57, v71
	v_pk_fma_f16 v72, v6, v56, v72
	v_pk_fma_f16 v53, v6, v57, v53
	v_pk_fma_f16 v73, v7, v56, v73
	v_pk_fma_f16 v74, v7, v57, v74
	s_waitcnt lgkmcnt(0)
	v_pk_fma_f16 v75, v8, v56, v75
	v_pk_fma_f16 v76, v8, v57, v76
	v_pk_fma_f16 v77, v9, v56, v77
	v_pk_fma_f16 v78, v9, v57, v78
	v_pk_fma_f16 v66, v10, v56, v66
	v_pk_fma_f16 v67, v10, v57, v67
	v_pk_fma_f16 v55, v11, v56, v55
	v_pk_fma_f16 v54, v11, v57, v54
	ds_read2_b64 v[4:7], v47 offset1:32
	ds_read2_b64 v[8:11], v47 offset0:64 offset1:96
	v_mul_u32_u24_sdwa v56, v58, s15 dst_sel:DWORD dst_unused:UNUSED_PAD src0_sel:WORD_0 src1_sel:DWORD
	v_mul_u32_u24_sdwa v57, v58, s15 dst_sel:DWORD dst_unused:UNUSED_PAD src0_sel:WORD_1 src1_sel:DWORD
	s_waitcnt lgkmcnt(1)
	v_pk_fma_f16 v58, v4, v56, v68
	v_pk_fma_f16 v68, v4, v57, v69
	v_pk_fma_f16 v69, v5, v56, v70
	v_pk_fma_f16 v70, v5, v57, v71
	v_pk_fma_f16 v71, v6, v56, v72
	v_pk_fma_f16 v53, v6, v57, v53
	v_pk_fma_f16 v72, v7, v56, v73
	v_pk_fma_f16 v73, v7, v57, v74
	s_waitcnt lgkmcnt(0)
	v_pk_fma_f16 v74, v8, v56, v75
	v_pk_fma_f16 v75, v8, v57, v76
	v_pk_fma_f16 v76, v9, v56, v77
	v_pk_fma_f16 v77, v9, v57, v78
	v_pk_fma_f16 v66, v10, v56, v66
	v_pk_fma_f16 v67, v10, v57, v67
	v_pk_fma_f16 v55, v11, v56, v55
	v_pk_fma_f16 v54, v11, v57, v54
	;; [unrolled: 44-line block ×7, first 2 shown]
	ds_read2_b64 v[4:7], v52 offset0:128 offset1:160
	ds_read2_b64 v[8:11], v52 offset0:192 offset1:224
	v_mul_u32_u24_sdwa v2, v3, s15 dst_sel:DWORD dst_unused:UNUSED_PAD src0_sel:WORD_0 src1_sel:DWORD
	v_mul_u32_u24_sdwa v3, v3, s15 dst_sel:DWORD dst_unused:UNUSED_PAD src0_sel:WORD_1 src1_sel:DWORD
	s_waitcnt lgkmcnt(0)
	v_pk_fma_f16 v53, v4, v2, v55
	v_pk_fma_f16 v54, v4, v3, v56
	;; [unrolled: 1-line block ×16, first 2 shown]
	v_lshl_add_u64 v[0:1], s[20:21], 2, v[24:25]
	s_barrier
	global_load_dwordx4 v[2:5], v[0:1], off
	s_waitcnt vmcnt(0)
	ds_write_b128 v41, v[2:5]
	global_load_dwordx4 v[0:3], v[0:1], off offset:512
	s_waitcnt vmcnt(0)
	ds_write_b128 v42, v[0:3]
	s_waitcnt lgkmcnt(0)
	s_barrier
	ds_read2_b64 v[70:73], v43 offset1:32
	ds_read2_b64 v[74:77], v43 offset0:64 offset1:96
	ds_read_b128 v[78:81], v40 offset:448
	ds_read_b128 v[8:11], v40 offset:464
	;; [unrolled: 1-line block ×4, first 2 shown]
	s_waitcnt lgkmcnt(3)
	v_mul_u32_u24_sdwa v69, v78, s15 dst_sel:DWORD dst_unused:UNUSED_PAD src0_sel:WORD_0 src1_sel:DWORD
	v_mul_u32_u24_sdwa v78, v78, s15 dst_sel:DWORD dst_unused:UNUSED_PAD src0_sel:WORD_1 src1_sel:DWORD
	v_pk_fma_f16 v53, v70, v69, v53
	v_pk_fma_f16 v70, v70, v78, v54
	;; [unrolled: 1-line block ×9, first 2 shown]
	ds_read2_b64 v[54:57], v43 offset0:128 offset1:160
	ds_read2_b64 v[58:61], v43 offset0:192 offset1:224
	v_pk_fma_f16 v62, v74, v78, v62
	v_pk_fma_f16 v63, v75, v69, v63
	;; [unrolled: 1-line block ×7, first 2 shown]
	v_mul_u32_u24_sdwa v69, v79, s15 dst_sel:DWORD dst_unused:UNUSED_PAD src0_sel:WORD_0 src1_sel:DWORD
	v_mul_u32_u24_sdwa v74, v79, s15 dst_sel:DWORD dst_unused:UNUSED_PAD src0_sel:WORD_1 src1_sel:DWORD
	s_waitcnt lgkmcnt(1)
	v_pk_fma_f16 v53, v54, v69, v53
	v_pk_fma_f16 v70, v54, v74, v70
	v_pk_fma_f16 v75, v55, v69, v82
	v_pk_fma_f16 v71, v55, v74, v71
	v_pk_fma_f16 v76, v56, v69, v83
	v_pk_fma_f16 v72, v56, v74, v72
	v_pk_fma_f16 v77, v57, v69, v84
	v_pk_fma_f16 v73, v57, v74, v73
	s_waitcnt lgkmcnt(0)
	v_pk_fma_f16 v78, v58, v69, v85
	v_pk_fma_f16 v62, v58, v74, v62
	v_pk_fma_f16 v63, v59, v69, v63
	v_pk_fma_f16 v64, v59, v74, v64
	v_pk_fma_f16 v65, v60, v69, v65
	v_pk_fma_f16 v66, v60, v74, v66
	v_pk_fma_f16 v67, v61, v69, v67
	v_pk_fma_f16 v68, v61, v74, v68
	ds_read2_b64 v[54:57], v46 offset1:32
	ds_read2_b64 v[58:61], v46 offset0:64 offset1:96
	v_mul_u32_u24_sdwa v69, v80, s15 dst_sel:DWORD dst_unused:UNUSED_PAD src0_sel:WORD_0 src1_sel:DWORD
	v_mul_u32_u24_sdwa v74, v80, s15 dst_sel:DWORD dst_unused:UNUSED_PAD src0_sel:WORD_1 src1_sel:DWORD
	s_waitcnt lgkmcnt(1)
	v_pk_fma_f16 v53, v54, v69, v53
	v_pk_fma_f16 v70, v54, v74, v70
	v_pk_fma_f16 v75, v55, v69, v75
	v_pk_fma_f16 v71, v55, v74, v71
	v_pk_fma_f16 v76, v56, v69, v76
	v_pk_fma_f16 v72, v56, v74, v72
	v_pk_fma_f16 v77, v57, v69, v77
	v_pk_fma_f16 v73, v57, v74, v73
	s_waitcnt lgkmcnt(0)
	v_pk_fma_f16 v78, v58, v69, v78
	v_pk_fma_f16 v62, v58, v74, v62
	v_pk_fma_f16 v63, v59, v69, v63
	v_pk_fma_f16 v64, v59, v74, v64
	v_pk_fma_f16 v65, v60, v69, v65
	v_pk_fma_f16 v66, v60, v74, v66
	v_pk_fma_f16 v67, v61, v69, v67
	v_pk_fma_f16 v68, v61, v74, v68
	ds_read2_b64 v[54:57], v46 offset0:128 offset1:160
	ds_read2_b64 v[58:61], v46 offset0:192 offset1:224
	v_mul_u32_u24_sdwa v69, v81, s15 dst_sel:DWORD dst_unused:UNUSED_PAD src0_sel:WORD_0 src1_sel:DWORD
	v_mul_u32_u24_sdwa v74, v81, s15 dst_sel:DWORD dst_unused:UNUSED_PAD src0_sel:WORD_1 src1_sel:DWORD
	s_waitcnt lgkmcnt(1)
	v_pk_fma_f16 v53, v54, v69, v53
	v_pk_fma_f16 v70, v54, v74, v70
	v_pk_fma_f16 v75, v55, v69, v75
	v_pk_fma_f16 v71, v55, v74, v71
	v_pk_fma_f16 v76, v56, v69, v76
	v_pk_fma_f16 v72, v56, v74, v72
	v_pk_fma_f16 v77, v57, v69, v77
	v_pk_fma_f16 v73, v57, v74, v73
	s_waitcnt lgkmcnt(0)
	v_pk_fma_f16 v78, v58, v69, v78
	v_pk_fma_f16 v62, v58, v74, v62
	v_pk_fma_f16 v63, v59, v69, v63
	v_pk_fma_f16 v64, v59, v74, v64
	v_pk_fma_f16 v65, v60, v69, v65
	v_pk_fma_f16 v66, v60, v74, v66
	v_pk_fma_f16 v67, v61, v69, v67
	v_pk_fma_f16 v68, v61, v74, v68
	ds_read2_b64 v[54:57], v47 offset1:32
	ds_read2_b64 v[58:61], v47 offset0:64 offset1:96
	v_mul_u32_u24_sdwa v69, v8, s15 dst_sel:DWORD dst_unused:UNUSED_PAD src0_sel:WORD_0 src1_sel:DWORD
	v_mul_u32_u24_sdwa v8, v8, s15 dst_sel:DWORD dst_unused:UNUSED_PAD src0_sel:WORD_1 src1_sel:DWORD
	s_waitcnt lgkmcnt(1)
	v_pk_fma_f16 v53, v54, v69, v53
	v_pk_fma_f16 v70, v54, v8, v70
	v_pk_fma_f16 v74, v55, v69, v75
	v_pk_fma_f16 v71, v55, v8, v71
	v_pk_fma_f16 v75, v56, v69, v76
	v_pk_fma_f16 v72, v56, v8, v72
	v_pk_fma_f16 v76, v57, v69, v77
	v_pk_fma_f16 v73, v57, v8, v73
	s_waitcnt lgkmcnt(0)
	v_pk_fma_f16 v77, v58, v69, v78
	v_pk_fma_f16 v62, v58, v8, v62
	v_pk_fma_f16 v63, v59, v69, v63
	v_pk_fma_f16 v64, v59, v8, v64
	v_pk_fma_f16 v65, v60, v69, v65
	v_pk_fma_f16 v66, v60, v8, v66
	v_pk_fma_f16 v67, v61, v69, v67
	v_pk_fma_f16 v8, v61, v8, v68
	ds_read2_b64 v[54:57], v47 offset0:128 offset1:160
	ds_read2_b64 v[58:61], v47 offset0:192 offset1:224
	;; [unrolled: 44-line block ×6, first 2 shown]
	v_mul_u32_u24_sdwa v57, v1, s15 dst_sel:DWORD dst_unused:UNUSED_PAD src0_sel:WORD_0 src1_sel:DWORD
	v_mul_u32_u24_sdwa v1, v1, s15 dst_sel:DWORD dst_unused:UNUSED_PAD src0_sel:WORD_1 src1_sel:DWORD
	s_waitcnt lgkmcnt(1)
	v_pk_fma_f16 v53, v4, v57, v53
	v_pk_fma_f16 v61, v4, v1, v61
	;; [unrolled: 1-line block ×8, first 2 shown]
	s_waitcnt lgkmcnt(0)
	v_pk_fma_f16 v68, v8, v57, v69
	v_pk_fma_f16 v54, v8, v1, v54
	;; [unrolled: 1-line block ×8, first 2 shown]
	ds_read2_b64 v[4:7], v52 offset1:32
	ds_read2_b64 v[8:11], v52 offset0:64 offset1:96
	v_mul_u32_u24_sdwa v1, v2, s15 dst_sel:DWORD dst_unused:UNUSED_PAD src0_sel:WORD_0 src1_sel:DWORD
	v_mul_u32_u24_sdwa v2, v2, s15 dst_sel:DWORD dst_unused:UNUSED_PAD src0_sel:WORD_1 src1_sel:DWORD
	s_waitcnt lgkmcnt(1)
	v_pk_fma_f16 v53, v4, v1, v53
	v_pk_fma_f16 v60, v5, v1, v62
	;; [unrolled: 1-line block ×7, first 2 shown]
	s_waitcnt lgkmcnt(0)
	v_pk_fma_f16 v67, v8, v1, v68
	v_pk_fma_f16 v68, v8, v2, v54
	;; [unrolled: 1-line block ×8, first 2 shown]
	ds_read2_b64 v[8:11], v52 offset0:128 offset1:160
	ds_read2_b64 v[62:65], v52 offset0:192 offset1:224
	s_waitcnt lgkmcnt(0)
	s_barrier
	s_load_dword s20, s[4:5], 0x4
	v_pk_fma_f16 v4, v4, v2, v61
	v_mul_u32_u24_sdwa v2, v3, s15 dst_sel:DWORD dst_unused:UNUSED_PAD src0_sel:WORD_0 src1_sel:DWORD
	v_mul_u32_u24_sdwa v3, v3, s15 dst_sel:DWORD dst_unused:UNUSED_PAD src0_sel:WORD_1 src1_sel:DWORD
	v_pk_fma_f16 v6, v8, v2, v53
	s_waitcnt lgkmcnt(0)
	s_lshl_b32 s20, s20, 7
	s_add_i32 s2, s20, s2
	v_pk_fma_f16 v5, v8, v3, v4
	v_pk_fma_f16 v61, v9, v2, v60
	;; [unrolled: 1-line block ×15, first 2 shown]
	s_cmp_ge_i32 s2, s24
	s_cbranch_scc0 .LBB13_9
.LBB13_10:
	v_cmp_lt_i32_e32 vcc, v36, v31
	s_cmp_lg_u64 s[12:13], 0
	s_cselect_b64 s[4:5], -1, 0
	v_cndmask_b32_e32 v0, v23, v36, vcc
	v_lshlrev_b32_e32 v1, 2, v0
	ds_bpermute_b32 v0, v1, v14
	ds_bpermute_b32 v1, v1, v15
	v_cmp_lt_i32_e32 vcc, v35, v31
	s_cmp_eq_u32 s3, 0
	s_cselect_b64 s[6:7], -1, 0
	v_cndmask_b32_e32 v2, v23, v35, vcc
	v_lshlrev_b32_e32 v3, 2, v2
	s_waitcnt lgkmcnt(0)
	v_pk_add_f32 v[0:1], v[14:15], v[0:1]
	ds_bpermute_b32 v2, v3, v0
	ds_bpermute_b32 v3, v3, v1
	v_cmp_lt_i32_e32 vcc, v34, v31
	s_and_b64 s[4:5], s[6:7], s[4:5]
	s_waitcnt lgkmcnt(0)
	v_pk_add_f32 v[0:1], v[0:1], v[2:3]
	v_cndmask_b32_e32 v4, v23, v34, vcc
	v_lshlrev_b32_e32 v4, 2, v4
	ds_bpermute_b32 v2, v4, v0
	ds_bpermute_b32 v3, v4, v1
	v_cmp_lt_i32_e32 vcc, v33, v31
	s_waitcnt lgkmcnt(0)
	v_pk_add_f32 v[0:1], v[0:1], v[2:3]
	v_cndmask_b32_e32 v4, v23, v33, vcc
	v_lshlrev_b32_e32 v4, 2, v4
	ds_bpermute_b32 v2, v4, v0
	ds_bpermute_b32 v3, v4, v1
	v_cmp_lt_i32_e32 vcc, v32, v31
	s_waitcnt lgkmcnt(0)
	v_pk_add_f32 v[0:1], v[0:1], v[2:3]
	v_cndmask_b32_e32 v4, v23, v32, vcc
	v_lshlrev_b32_e32 v4, 2, v4
	ds_bpermute_b32 v2, v4, v0
	ds_bpermute_b32 v3, v4, v1
	s_and_b64 vcc, exec, s[4:5]
	s_waitcnt lgkmcnt(0)
	v_pk_add_f32 v[0:1], v[0:1], v[2:3]
	s_cbranch_vccz .LBB13_12
; %bb.11:
	v_add_u32_e32 v2, s25, v28
	v_ashrrev_i32_e32 v3, 31, v2
	v_lshl_add_u64 v[2:3], v[2:3], 2, s[12:13]
	global_load_dwordx2 v[2:3], v[2:3], off
	v_max_f32_e32 v4, v26, v26
	v_max_f32_e32 v15, v27, v27
	s_mov_b32 s2, 0x3fb8aa3b
	s_mov_b32 s4, 0xc2ce8ed0
	;; [unrolled: 1-line block ×3, first 2 shown]
	v_mov_b32_e32 v17, 0x7f800000
	s_waitcnt vmcnt(0)
	v_max_f32_e32 v14, v2, v2
	v_max_f32_e32 v14, v4, v14
	;; [unrolled: 1-line block ×3, first 2 shown]
	v_sub_f32_e32 v4, v26, v14
	v_max_f32_e32 v15, v15, v16
	v_sub_f32_e32 v16, v2, v14
	v_mul_f32_e32 v2, 0x3fb8aa3b, v4
	v_sub_f32_e32 v18, v27, v15
	v_sub_f32_e32 v19, v3, v15
	v_mul_f32_e32 v3, 0x3fb8aa3b, v16
	v_fma_f32 v22, v4, s2, -v2
	v_rndne_f32_e32 v23, v2
	v_mul_f32_e32 v20, 0x3fb8aa3b, v18
	v_fma_f32 v24, v16, s2, -v3
	v_rndne_f32_e32 v25, v3
	v_fmac_f32_e32 v22, 0x32a5705f, v4
	v_sub_f32_e32 v2, v2, v23
	v_mul_f32_e32 v21, 0x3fb8aa3b, v19
	v_fma_f32 v26, v18, s2, -v20
	v_rndne_f32_e32 v27, v20
	v_fmac_f32_e32 v24, 0x32a5705f, v16
	v_sub_f32_e32 v3, v3, v25
	v_add_f32_e32 v2, v2, v22
	v_fma_f32 v30, v19, s2, -v21
	v_rndne_f32_e32 v31, v21
	v_cvt_i32_f32_e32 v23, v23
	v_fmac_f32_e32 v26, 0x32a5705f, v18
	v_sub_f32_e32 v20, v20, v27
	v_add_f32_e32 v3, v3, v24
	v_exp_f32_e32 v2, v2
	v_cvt_i32_f32_e32 v25, v25
	v_fmac_f32_e32 v30, 0x32a5705f, v19
	v_sub_f32_e32 v21, v21, v31
	v_add_f32_e32 v20, v20, v26
	v_exp_f32_e32 v3, v3
	v_cvt_i32_f32_e32 v27, v27
	v_add_f32_e32 v21, v21, v30
	v_exp_f32_e32 v20, v20
	v_cvt_i32_f32_e32 v31, v31
	v_exp_f32_e32 v21, v21
	v_ldexp_f32 v2, v2, v23
	v_cmp_ngt_f32_e32 vcc, s4, v4
	v_ldexp_f32 v3, v3, v25
	v_ldexp_f32 v20, v20, v27
	v_cndmask_b32_e32 v2, 0, v2, vcc
	v_cmp_ngt_f32_e32 vcc, s4, v16
	v_ldexp_f32 v21, v21, v31
	v_mov_b64_e32 v[26:27], v[14:15]
	v_cndmask_b32_e32 v3, 0, v3, vcc
	v_cmp_ngt_f32_e32 vcc, s4, v18
	s_nop 1
	v_cndmask_b32_e32 v20, 0, v20, vcc
	v_cmp_ngt_f32_e32 vcc, s4, v19
	s_nop 1
	v_cndmask_b32_e32 v21, 0, v21, vcc
	v_cmp_nlt_f32_e32 vcc, s5, v4
	s_nop 1
	v_cndmask_b32_e32 v2, v17, v2, vcc
	v_cmp_nlt_f32_e32 vcc, s5, v16
	v_cvt_f16_f32_e32 v4, v2
	s_nop 0
	v_cndmask_b32_e32 v16, v17, v3, vcc
	v_cmp_nlt_f32_e32 vcc, s5, v18
	s_nop 1
	v_cndmask_b32_e32 v3, v17, v20, vcc
	v_cvt_f16_f32_e32 v18, v3
	v_cmp_nlt_f32_e32 vcc, s5, v19
	s_nop 1
	v_cndmask_b32_e32 v17, v17, v21, vcc
	v_pk_fma_f32 v[0:1], v[0:1], v[2:3], v[16:17]
	v_mul_u32_u24_e32 v2, 0x10001, v4
	v_mul_u32_u24_e32 v3, 0x10001, v18
	v_pk_mul_f16 v6, v6, v2
	v_pk_mul_f16 v61, v61, v2
	v_pk_mul_f16 v60, v60, v2
	v_pk_mul_f16 v59, v59, v2
	v_pk_mul_f16 v58, v58, v2
	v_pk_mul_f16 v57, v57, v2
	v_pk_mul_f16 v56, v56, v2
	v_pk_mul_f16 v55, v55, v2
	v_pk_mul_f16 v5, v5, v3
	v_pk_mul_f16 v54, v54, v3
	v_pk_mul_f16 v53, v53, v3
	v_pk_mul_f16 v11, v11, v3
	v_pk_mul_f16 v10, v10, v3
	v_pk_mul_f16 v9, v9, v3
	v_pk_mul_f16 v8, v8, v3
	v_pk_mul_f16 v7, v7, v3
.LBB13_12:
	v_cmp_gt_i32_e32 vcc, s22, v13
	s_and_saveexec_b64 s[4:5], vcc
	s_cbranch_execz .LBB13_21
; %bb.13:
	s_load_dword s6, s[0:1], 0xd4
	v_mov_b32_e32 v4, 1.0
	s_waitcnt lgkmcnt(0)
	s_cmp_lg_u32 s6, 1
	s_cselect_b64 s[0:1], -1, 0
	s_cmp_eq_u32 s6, 1
	s_cselect_b64 s[4:5], -1, 0
	s_and_b64 vcc, exec, s[0:1]
	s_cbranch_vccnz .LBB13_15
; %bb.14:
	v_div_scale_f32 v2, s[8:9], v0, v0, 1.0
	v_rcp_f32_e32 v3, v2
	v_div_scale_f32 v4, vcc, 1.0, v0, 1.0
	v_fma_f32 v14, -v2, v3, 1.0
	v_fmac_f32_e32 v3, v14, v3
	v_mul_f32_e32 v14, v4, v3
	v_fma_f32 v15, -v2, v14, v4
	v_fmac_f32_e32 v14, v15, v3
	v_fma_f32 v2, -v2, v14, v4
	v_div_fmas_f32 v2, v2, v3, v14
	v_div_fixup_f32 v4, v2, v0, 1.0
.LBB13_15:
	s_mul_i32 s30, s30, s22
	v_add_u32_e32 v2, s30, v13
	v_mul_lo_u32 v2, v2, s23
	v_add3_u32 v2, s25, v28, v2
	v_cmp_eq_u32_e32 vcc, 0, v12
	v_cvt_f32_f16_sdwa v13, v6 dst_sel:DWORD dst_unused:UNUSED_PAD src0_sel:WORD_1
	v_cvt_f32_f16_e32 v12, v6
	v_cvt_f32_f16_sdwa v15, v61 dst_sel:DWORD dst_unused:UNUSED_PAD src0_sel:WORD_1
	v_cvt_f32_f16_e32 v14, v61
	v_mul_lo_u32 v2, s6, v2
	v_add_u32_e32 v2, s3, v2
	v_lshl_add_u32 v16, v2, 9, v29
	v_mov_b32_e32 v17, 0
	v_lshl_add_u64 v[18:19], v[16:17], 2, s[16:17]
	v_pk_mul_f32 v[12:13], v[4:5], v[12:13] op_sel_hi:[0,1]
	v_pk_mul_f32 v[14:15], v[4:5], v[14:15] op_sel_hi:[0,1]
	global_store_dwordx4 v[18:19], v[12:15], off
	v_cvt_f32_f16_sdwa v19, v59 dst_sel:DWORD dst_unused:UNUSED_PAD src0_sel:WORD_1
	v_cvt_f32_f16_e32 v18, v59
	v_cvt_f32_f16_sdwa v15, v60 dst_sel:DWORD dst_unused:UNUSED_PAD src0_sel:WORD_1
	v_cvt_f32_f16_e32 v14, v60
	v_add_u32_e32 v12, 0x80, v16
	v_mov_b32_e32 v13, v17
	v_lshl_add_u64 v[20:21], v[12:13], 2, s[16:17]
	v_pk_mul_f32 v[12:13], v[4:5], v[14:15] op_sel_hi:[0,1]
	v_pk_mul_f32 v[14:15], v[4:5], v[18:19] op_sel_hi:[0,1]
	global_store_dwordx4 v[20:21], v[12:15], off
	v_cvt_f32_f16_sdwa v19, v57 dst_sel:DWORD dst_unused:UNUSED_PAD src0_sel:WORD_1
	v_cvt_f32_f16_e32 v18, v57
	v_cvt_f32_f16_sdwa v15, v58 dst_sel:DWORD dst_unused:UNUSED_PAD src0_sel:WORD_1
	v_cvt_f32_f16_e32 v14, v58
	v_add_u32_e32 v12, 0x100, v16
	v_mov_b32_e32 v13, v17
	v_lshl_add_u64 v[20:21], v[12:13], 2, s[16:17]
	v_pk_mul_f32 v[12:13], v[4:5], v[14:15] op_sel_hi:[0,1]
	v_pk_mul_f32 v[14:15], v[4:5], v[18:19] op_sel_hi:[0,1]
	global_store_dwordx4 v[20:21], v[12:15], off
	v_add_u32_e32 v16, 0x180, v16
	s_and_b64 s[0:1], vcc, s[0:1]
	v_cvt_f32_f16_sdwa v13, v56 dst_sel:DWORD dst_unused:UNUSED_PAD src0_sel:WORD_1
	v_cvt_f32_f16_e32 v12, v56
	v_cvt_f32_f16_sdwa v15, v55 dst_sel:DWORD dst_unused:UNUSED_PAD src0_sel:WORD_1
	v_cvt_f32_f16_e32 v14, v55
	v_lshl_add_u64 v[16:17], v[16:17], 2, s[16:17]
	v_pk_mul_f32 v[12:13], v[4:5], v[12:13] op_sel_hi:[0,1]
	v_pk_mul_f32 v[14:15], v[4:5], v[14:15] op_sel_hi:[0,1]
	global_store_dwordx4 v[16:17], v[12:15], off
	s_and_saveexec_b64 s[2:3], s[0:1]
	s_cbranch_execz .LBB13_17
; %bb.16:
	v_ashrrev_i32_e32 v3, 31, v2
	v_lshl_add_u64 v[12:13], v[2:3], 3, s[18:19]
	v_mov_b32_e32 v14, v26
	v_mov_b32_e32 v15, v0
	global_store_dwordx2 v[12:13], v[14:15], off
.LBB13_17:
	s_or_b64 exec, exec, s[2:3]
	s_andn2_b64 vcc, exec, s[4:5]
	v_mov_b32_e32 v0, 1.0
	s_cbranch_vccnz .LBB13_19
; %bb.18:
	v_div_scale_f32 v0, s[2:3], v1, v1, 1.0
	v_rcp_f32_e32 v3, v0
	v_div_scale_f32 v4, vcc, 1.0, v1, 1.0
	v_fma_f32 v6, -v0, v3, 1.0
	v_fmac_f32_e32 v3, v6, v3
	v_mul_f32_e32 v6, v4, v3
	v_fma_f32 v12, -v0, v6, v4
	v_fmac_f32_e32 v6, v12, v3
	v_fma_f32 v0, -v0, v6, v4
	v_div_fmas_f32 v0, v0, v3, v6
	v_div_fixup_f32 v0, v0, v1, 1.0
.LBB13_19:
	v_cvt_f32_f16_sdwa v13, v5 dst_sel:DWORD dst_unused:UNUSED_PAD src0_sel:WORD_1
	v_cvt_f32_f16_e32 v12, v5
	v_cvt_f32_f16_sdwa v15, v54 dst_sel:DWORD dst_unused:UNUSED_PAD src0_sel:WORD_1
	v_cvt_f32_f16_e32 v14, v54
	v_add_u32_e32 v2, s6, v2
	v_lshl_add_u32 v4, v2, 9, v29
	v_mov_b32_e32 v5, 0
	v_lshl_add_u64 v[16:17], v[4:5], 2, s[16:17]
	v_pk_mul_f32 v[12:13], v[0:1], v[12:13] op_sel_hi:[0,1]
	v_pk_mul_f32 v[14:15], v[0:1], v[14:15] op_sel_hi:[0,1]
	global_store_dwordx4 v[16:17], v[12:15], off
	v_cvt_f32_f16_sdwa v17, v11 dst_sel:DWORD dst_unused:UNUSED_PAD src0_sel:WORD_1
	v_cvt_f32_f16_e32 v16, v11
	v_cvt_f32_f16_sdwa v15, v53 dst_sel:DWORD dst_unused:UNUSED_PAD src0_sel:WORD_1
	v_cvt_f32_f16_e32 v14, v53
	v_add_u32_e32 v12, 0x80, v4
	v_mov_b32_e32 v13, v5
	v_lshl_add_u64 v[18:19], v[12:13], 2, s[16:17]
	v_pk_mul_f32 v[12:13], v[0:1], v[14:15] op_sel_hi:[0,1]
	v_pk_mul_f32 v[14:15], v[0:1], v[16:17] op_sel_hi:[0,1]
	global_store_dwordx4 v[18:19], v[12:15], off
	v_cvt_f32_f16_sdwa v11, v10 dst_sel:DWORD dst_unused:UNUSED_PAD src0_sel:WORD_1
	v_cvt_f32_f16_e32 v10, v10
	v_cvt_f32_f16_sdwa v15, v9 dst_sel:DWORD dst_unused:UNUSED_PAD src0_sel:WORD_1
	v_cvt_f32_f16_e32 v14, v9
	v_add_u32_e32 v12, 0x100, v4
	;; [unrolled: 10-line block ×3, first 2 shown]
	v_lshl_add_u64 v[12:13], v[4:5], 2, s[16:17]
	v_pk_mul_f32 v[4:5], v[0:1], v[8:9] op_sel_hi:[0,1]
	v_pk_mul_f32 v[6:7], v[0:1], v[10:11] op_sel_hi:[0,1]
	global_store_dwordx4 v[12:13], v[4:7], off
	s_and_b64 exec, exec, s[0:1]
	s_cbranch_execz .LBB13_21
; %bb.20:
	v_ashrrev_i32_e32 v3, 31, v2
	v_lshl_add_u64 v[2:3], v[2:3], 3, s[18:19]
	v_mov_b32_e32 v0, v27
	global_store_dwordx2 v[2:3], v[0:1], off
.LBB13_21:
	s_endpgm
	.section	.rodata,"a",@progbits
	.p2align	6, 0x0
	.amdhsa_kernel _ZL15flash_attn_tileILi512ELi512ELi8ELi4ELb0EEvPKcS1_S1_S1_S1_PKiPfP15HIP_vector_typeIfLj2EEffffjfiS5_IjLj3EEiiiiiiiiiiiliiliiiiil
		.amdhsa_group_segment_fixed_size 59392
		.amdhsa_private_segment_fixed_size 0
		.amdhsa_kernarg_size 464
		.amdhsa_user_sgpr_count 2
		.amdhsa_user_sgpr_dispatch_ptr 0
		.amdhsa_user_sgpr_queue_ptr 0
		.amdhsa_user_sgpr_kernarg_segment_ptr 1
		.amdhsa_user_sgpr_dispatch_id 0
		.amdhsa_user_sgpr_kernarg_preload_length 0
		.amdhsa_user_sgpr_kernarg_preload_offset 0
		.amdhsa_user_sgpr_private_segment_size 0
		.amdhsa_uses_dynamic_stack 0
		.amdhsa_enable_private_segment 0
		.amdhsa_system_sgpr_workgroup_id_x 1
		.amdhsa_system_sgpr_workgroup_id_y 1
		.amdhsa_system_sgpr_workgroup_id_z 1
		.amdhsa_system_sgpr_workgroup_info 0
		.amdhsa_system_vgpr_workitem_id 1
		.amdhsa_next_free_vgpr 97
		.amdhsa_next_free_sgpr 96
		.amdhsa_accum_offset 96
		.amdhsa_reserve_vcc 1
		.amdhsa_float_round_mode_32 0
		.amdhsa_float_round_mode_16_64 0
		.amdhsa_float_denorm_mode_32 3
		.amdhsa_float_denorm_mode_16_64 3
		.amdhsa_dx10_clamp 1
		.amdhsa_ieee_mode 1
		.amdhsa_fp16_overflow 0
		.amdhsa_tg_split 0
		.amdhsa_exception_fp_ieee_invalid_op 0
		.amdhsa_exception_fp_denorm_src 0
		.amdhsa_exception_fp_ieee_div_zero 0
		.amdhsa_exception_fp_ieee_overflow 0
		.amdhsa_exception_fp_ieee_underflow 0
		.amdhsa_exception_fp_ieee_inexact 0
		.amdhsa_exception_int_div_zero 0
	.end_amdhsa_kernel
	.section	.text._ZL15flash_attn_tileILi512ELi512ELi8ELi4ELb0EEvPKcS1_S1_S1_S1_PKiPfP15HIP_vector_typeIfLj2EEffffjfiS5_IjLj3EEiiiiiiiiiiiliiliiiiil,"axG",@progbits,_ZL15flash_attn_tileILi512ELi512ELi8ELi4ELb0EEvPKcS1_S1_S1_S1_PKiPfP15HIP_vector_typeIfLj2EEffffjfiS5_IjLj3EEiiiiiiiiiiiliiliiiiil,comdat
.Lfunc_end13:
	.size	_ZL15flash_attn_tileILi512ELi512ELi8ELi4ELb0EEvPKcS1_S1_S1_S1_PKiPfP15HIP_vector_typeIfLj2EEffffjfiS5_IjLj3EEiiiiiiiiiiiliiliiiiil, .Lfunc_end13-_ZL15flash_attn_tileILi512ELi512ELi8ELi4ELb0EEvPKcS1_S1_S1_S1_PKiPfP15HIP_vector_typeIfLj2EEffffjfiS5_IjLj3EEiiiiiiiiiiiliiliiiiil
                                        ; -- End function
	.set _ZL15flash_attn_tileILi512ELi512ELi8ELi4ELb0EEvPKcS1_S1_S1_S1_PKiPfP15HIP_vector_typeIfLj2EEffffjfiS5_IjLj3EEiiiiiiiiiiiliiliiiiil.num_vgpr, 94
	.set _ZL15flash_attn_tileILi512ELi512ELi8ELi4ELb0EEvPKcS1_S1_S1_S1_PKiPfP15HIP_vector_typeIfLj2EEffffjfiS5_IjLj3EEiiiiiiiiiiiliiliiiiil.num_agpr, 0
	.set _ZL15flash_attn_tileILi512ELi512ELi8ELi4ELb0EEvPKcS1_S1_S1_S1_PKiPfP15HIP_vector_typeIfLj2EEffffjfiS5_IjLj3EEiiiiiiiiiiiliiliiiiil.numbered_sgpr, 40
	.set _ZL15flash_attn_tileILi512ELi512ELi8ELi4ELb0EEvPKcS1_S1_S1_S1_PKiPfP15HIP_vector_typeIfLj2EEffffjfiS5_IjLj3EEiiiiiiiiiiiliiliiiiil.num_named_barrier, 0
	.set _ZL15flash_attn_tileILi512ELi512ELi8ELi4ELb0EEvPKcS1_S1_S1_S1_PKiPfP15HIP_vector_typeIfLj2EEffffjfiS5_IjLj3EEiiiiiiiiiiiliiliiiiil.private_seg_size, 0
	.set _ZL15flash_attn_tileILi512ELi512ELi8ELi4ELb0EEvPKcS1_S1_S1_S1_PKiPfP15HIP_vector_typeIfLj2EEffffjfiS5_IjLj3EEiiiiiiiiiiiliiliiiiil.uses_vcc, 1
	.set _ZL15flash_attn_tileILi512ELi512ELi8ELi4ELb0EEvPKcS1_S1_S1_S1_PKiPfP15HIP_vector_typeIfLj2EEffffjfiS5_IjLj3EEiiiiiiiiiiiliiliiiiil.uses_flat_scratch, 0
	.set _ZL15flash_attn_tileILi512ELi512ELi8ELi4ELb0EEvPKcS1_S1_S1_S1_PKiPfP15HIP_vector_typeIfLj2EEffffjfiS5_IjLj3EEiiiiiiiiiiiliiliiiiil.has_dyn_sized_stack, 0
	.set _ZL15flash_attn_tileILi512ELi512ELi8ELi4ELb0EEvPKcS1_S1_S1_S1_PKiPfP15HIP_vector_typeIfLj2EEffffjfiS5_IjLj3EEiiiiiiiiiiiliiliiiiil.has_recursion, 0
	.set _ZL15flash_attn_tileILi512ELi512ELi8ELi4ELb0EEvPKcS1_S1_S1_S1_PKiPfP15HIP_vector_typeIfLj2EEffffjfiS5_IjLj3EEiiiiiiiiiiiliiliiiiil.has_indirect_call, 0
	.section	.AMDGPU.csdata,"",@progbits
; Kernel info:
; codeLenInByte = 70708
; TotalNumSgprs: 46
; NumVgprs: 94
; NumAgprs: 0
; TotalNumVgprs: 94
; ScratchSize: 0
; MemoryBound: 0
; FloatMode: 240
; IeeeMode: 1
; LDSByteSize: 59392 bytes/workgroup (compile time only)
; SGPRBlocks: 12
; VGPRBlocks: 12
; NumSGPRsForWavesPerEU: 102
; NumVGPRsForWavesPerEU: 97
; AccumOffset: 96
; Occupancy: 4
; WaveLimiterHint : 1
; COMPUTE_PGM_RSRC2:SCRATCH_EN: 0
; COMPUTE_PGM_RSRC2:USER_SGPR: 2
; COMPUTE_PGM_RSRC2:TRAP_HANDLER: 0
; COMPUTE_PGM_RSRC2:TGID_X_EN: 1
; COMPUTE_PGM_RSRC2:TGID_Y_EN: 1
; COMPUTE_PGM_RSRC2:TGID_Z_EN: 1
; COMPUTE_PGM_RSRC2:TIDIG_COMP_CNT: 1
; COMPUTE_PGM_RSRC3_GFX90A:ACCUM_OFFSET: 23
; COMPUTE_PGM_RSRC3_GFX90A:TG_SPLIT: 0
	.section	.text._ZL25flash_attn_mask_to_KV_maxILi8EEvPK7__half2Piiii,"axG",@progbits,_ZL25flash_attn_mask_to_KV_maxILi8EEvPK7__half2Piiii,comdat
	.globl	_ZL25flash_attn_mask_to_KV_maxILi8EEvPK7__half2Piiii ; -- Begin function _ZL25flash_attn_mask_to_KV_maxILi8EEvPK7__half2Piiii
	.p2align	8
	.type	_ZL25flash_attn_mask_to_KV_maxILi8EEvPK7__half2Piiii,@function
_ZL25flash_attn_mask_to_KV_maxILi8EEvPK7__half2Piiii: ; @_ZL25flash_attn_mask_to_KV_maxILi8EEvPK7__half2Piiii
; %bb.0:
	s_load_dwordx4 s[4:7], s[0:1], 0x0
	v_cmp_gt_u32_e32 vcc, 32, v0
	s_and_saveexec_b64 s[8:9], vcc
; %bb.1:
	v_lshlrev_b32_e32 v1, 2, v0
	v_mov_b32_e32 v2, 1
	ds_write_b32 v1, v2
; %bb.2:
	s_or_b64 exec, exec, s[8:9]
	s_load_dwordx4 s[8:11], s[0:1], 0x10
	s_load_dword s33, s[0:1], 0x20
	v_and_b32_e32 v2, 31, v0
	v_lshlrev_b32_e32 v6, 2, v2
	v_lshrrev_b32_e32 v1, 3, v0
	s_waitcnt lgkmcnt(0)
	s_mul_i32 s1, s2, s9
	s_mul_i32 s0, s10, s3
	s_lshl_b32 s1, s1, 3
	s_add_i32 s0, s0, s1
	s_ashr_i32 s1, s0, 31
	s_lshl_b64 s[0:1], s[0:1], 2
	s_add_u32 s10, s4, s0
	s_addc_u32 s11, s5, s1
	v_cmp_eq_u32_e64 s[0:1], 0, v2
	v_mbcnt_lo_u32_b32 v2, -1, 0
	s_lshl_b32 s8, s8, 8
	s_mov_b64 s[12:13], 0
	v_mov_b32_e32 v3, 0
	s_movk_i32 s42, 0x204
	v_mbcnt_hi_u32_b32 v7, -1, v2
	s_barrier
                                        ; implicit-def: $sgpr4_sgpr5
	s_branch .LBB14_5
.LBB14_3:                               ;   in Loop: Header=BB14_5 Depth=1
	s_or_b64 exec, exec, s[14:15]
	s_waitcnt lgkmcnt(0)
	s_barrier
	ds_read_b32 v10, v6
	s_waitcnt lgkmcnt(0)
	s_barrier
	ds_bpermute_b32 v2, v2, v10
	v_cmp_ne_u32_e32 vcc, 0, v10
	s_waitcnt lgkmcnt(0)
	v_cmp_ne_u32_e64 s[4:5], 0, v2
	s_and_b64 s[4:5], vcc, s[4:5]
	s_nop 0
	v_cndmask_b32_e64 v2, 0, 1, s[4:5]
	ds_bpermute_b32 v2, v4, v2
	s_waitcnt lgkmcnt(0)
	v_cmp_ne_u32_e32 vcc, 0, v2
	s_and_b64 s[4:5], vcc, s[4:5]
	v_cndmask_b32_e64 v2, 0, 1, s[4:5]
	ds_bpermute_b32 v2, v5, v2
	s_waitcnt lgkmcnt(0)
	v_cmp_ne_u32_e32 vcc, 0, v2
	s_and_b64 s[4:5], vcc, s[4:5]
	;; [unrolled: 5-line block ×3, first 2 shown]
	v_cndmask_b32_e64 v2, 0, 1, s[4:5]
	ds_bpermute_b32 v2, v9, v2
	s_xor_b64 s[4:5], s[4:5], -1
	s_waitcnt lgkmcnt(0)
	v_cmp_eq_u32_e32 vcc, 0, v2
	s_or_b64 s[4:5], vcc, s[4:5]
.LBB14_4:                               ;   in Loop: Header=BB14_5 Depth=1
	s_and_b64 s[14:15], exec, s[4:5]
	s_or_b64 s[12:13], s[14:15], s[12:13]
	v_mov_b32_e32 v2, s8
	s_mov_b32 s8, s43
	s_andn2_b64 exec, exec, s[12:13]
	s_cbranch_execz .LBB14_36
.LBB14_5:                               ; =>This Inner Loop Header: Depth=1
	s_add_i32 s43, s8, 0xffffff00
	s_or_b64 s[4:5], s[4:5], exec
	s_cmp_lt_i32 s43, 0
	s_cbranch_scc1 .LBB14_4
; %bb.6:                                ;   in Loop: Header=BB14_5 Depth=1
	s_lshr_b32 s4, s43, 1
	v_add_u32_e32 v2, s4, v0
	v_lshl_add_u64 v[4:5], v[2:3], 2, s[10:11]
	global_load_dword v4, v[4:5], off
	v_mov_b32_e32 v5, 0
	s_waitcnt vmcnt(0)
	v_cmp_class_f16_e64 s[4:5], v4, s42
	v_cmp_class_f16_sdwa s[14:15], v4, s42 src0_sel:WORD_1 src1_sel:DWORD
	s_and_b64 s[14:15], s[4:5], s[14:15]
	s_and_saveexec_b64 s[4:5], s[14:15]
	s_cbranch_execz .LBB14_34
; %bb.7:                                ;   in Loop: Header=BB14_5 Depth=1
	v_add_u32_e32 v4, s9, v2
	v_ashrrev_i32_e32 v5, 31, v4
	v_lshl_add_u64 v[8:9], v[4:5], 2, s[10:11]
	global_load_dword v2, v[8:9], off
	v_mov_b32_e32 v5, 0
	s_waitcnt vmcnt(0)
	v_cmp_class_f16_e64 s[16:17], v2, s42
	s_and_saveexec_b64 s[14:15], s[16:17]
	s_cbranch_execz .LBB14_33
; %bb.8:                                ;   in Loop: Header=BB14_5 Depth=1
	v_cmp_class_f16_sdwa s[18:19], v2, s42 src0_sel:WORD_1 src1_sel:DWORD
	v_mov_b32_e32 v5, 0
	s_and_saveexec_b64 s[16:17], s[18:19]
	s_cbranch_execz .LBB14_32
; %bb.9:                                ;   in Loop: Header=BB14_5 Depth=1
	v_add_u32_e32 v4, s9, v4
	v_ashrrev_i32_e32 v5, 31, v4
	v_lshl_add_u64 v[8:9], v[4:5], 2, s[10:11]
	global_load_dword v2, v[8:9], off
	v_mov_b32_e32 v5, 0
	s_waitcnt vmcnt(0)
	v_cmp_class_f16_e64 s[20:21], v2, s42
	s_and_saveexec_b64 s[18:19], s[20:21]
	s_cbranch_execz .LBB14_31
; %bb.10:                               ;   in Loop: Header=BB14_5 Depth=1
	v_cmp_class_f16_sdwa s[22:23], v2, s42 src0_sel:WORD_1 src1_sel:DWORD
	v_mov_b32_e32 v5, 0
	s_and_saveexec_b64 s[20:21], s[22:23]
	s_cbranch_execz .LBB14_30
; %bb.11:                               ;   in Loop: Header=BB14_5 Depth=1
	v_add_u32_e32 v4, s9, v4
	v_ashrrev_i32_e32 v5, 31, v4
	v_lshl_add_u64 v[8:9], v[4:5], 2, s[10:11]
	global_load_dword v2, v[8:9], off
	v_mov_b32_e32 v5, 0
	s_waitcnt vmcnt(0)
	v_cmp_class_f16_e64 s[24:25], v2, s42
	s_and_saveexec_b64 s[22:23], s[24:25]
	s_cbranch_execz .LBB14_29
; %bb.12:                               ;   in Loop: Header=BB14_5 Depth=1
	v_cmp_class_f16_sdwa s[26:27], v2, s42 src0_sel:WORD_1 src1_sel:DWORD
	v_mov_b32_e32 v5, 0
	s_and_saveexec_b64 s[24:25], s[26:27]
	s_cbranch_execz .LBB14_28
; %bb.13:                               ;   in Loop: Header=BB14_5 Depth=1
	;; [unrolled: 15-line block ×5, first 2 shown]
	v_add_u32_e32 v4, s9, v4
	v_ashrrev_i32_e32 v5, 31, v4
	v_lshl_add_u64 v[4:5], v[4:5], 2, s[10:11]
	global_load_dword v2, v[4:5], off
	v_mov_b32_e32 v5, 0
	s_waitcnt vmcnt(0)
	v_cmp_class_f16_e64 s[44:45], v2, s42
	s_and_saveexec_b64 s[40:41], s[44:45]
; %bb.20:                               ;   in Loop: Header=BB14_5 Depth=1
	v_cmp_class_f16_sdwa s[44:45], v2, s42 src0_sel:WORD_1 src1_sel:DWORD
	s_nop 1
	v_cndmask_b32_e64 v5, 0, 1, s[44:45]
; %bb.21:                               ;   in Loop: Header=BB14_5 Depth=1
	s_or_b64 exec, exec, s[40:41]
.LBB14_22:                              ;   in Loop: Header=BB14_5 Depth=1
	s_or_b64 exec, exec, s[38:39]
.LBB14_23:                              ;   in Loop: Header=BB14_5 Depth=1
	s_or_b64 exec, exec, s[36:37]
.LBB14_24:                              ;   in Loop: Header=BB14_5 Depth=1
	s_or_b64 exec, exec, s[34:35]
.LBB14_25:                              ;   in Loop: Header=BB14_5 Depth=1
	s_or_b64 exec, exec, s[30:31]
.LBB14_26:                              ;   in Loop: Header=BB14_5 Depth=1
	s_or_b64 exec, exec, s[28:29]
.LBB14_27:                              ;   in Loop: Header=BB14_5 Depth=1
	s_or_b64 exec, exec, s[26:27]
.LBB14_28:                              ;   in Loop: Header=BB14_5 Depth=1
	s_or_b64 exec, exec, s[24:25]
.LBB14_29:                              ;   in Loop: Header=BB14_5 Depth=1
	s_or_b64 exec, exec, s[22:23]
.LBB14_30:                              ;   in Loop: Header=BB14_5 Depth=1
	s_or_b64 exec, exec, s[20:21]
.LBB14_31:                              ;   in Loop: Header=BB14_5 Depth=1
	s_or_b64 exec, exec, s[18:19]
.LBB14_32:                              ;   in Loop: Header=BB14_5 Depth=1
	s_or_b64 exec, exec, s[16:17]
.LBB14_33:                              ;   in Loop: Header=BB14_5 Depth=1
	s_or_b64 exec, exec, s[14:15]
.LBB14_34:                              ;   in Loop: Header=BB14_5 Depth=1
	s_or_b64 exec, exec, s[4:5]
	v_and_b32_e32 v2, 0x60, v7
	v_add_u32_e32 v9, 32, v2
	v_xor_b32_e32 v2, 16, v7
	v_cmp_lt_i32_e32 vcc, v2, v9
	v_xor_b32_e32 v11, 1, v7
	s_nop 0
	v_cndmask_b32_e32 v2, v7, v2, vcc
	v_lshlrev_b32_e32 v2, 2, v2
	ds_bpermute_b32 v4, v2, v5
	v_cmp_ne_u32_e32 vcc, 0, v5
	s_waitcnt lgkmcnt(0)
	v_cmp_ne_u32_e64 s[4:5], 0, v4
	v_xor_b32_e32 v4, 8, v7
	s_and_b64 s[4:5], vcc, s[4:5]
	v_cmp_lt_i32_e32 vcc, v4, v9
	v_cndmask_b32_e64 v5, 0, 1, s[4:5]
	s_nop 0
	v_cndmask_b32_e32 v4, v7, v4, vcc
	v_lshlrev_b32_e32 v4, 2, v4
	ds_bpermute_b32 v5, v4, v5
	s_waitcnt lgkmcnt(0)
	v_cmp_ne_u32_e32 vcc, 0, v5
	v_xor_b32_e32 v5, 4, v7
	s_and_b64 s[4:5], vcc, s[4:5]
	v_cmp_lt_i32_e32 vcc, v5, v9
	v_cndmask_b32_e64 v8, 0, 1, s[4:5]
	s_nop 0
	v_cndmask_b32_e32 v5, v7, v5, vcc
	v_lshlrev_b32_e32 v5, 2, v5
	ds_bpermute_b32 v8, v5, v8
	s_waitcnt lgkmcnt(0)
	v_cmp_ne_u32_e32 vcc, 0, v8
	;; [unrolled: 10-line block ×3, first 2 shown]
	s_and_b64 s[4:5], vcc, s[4:5]
	v_cmp_lt_i32_e32 vcc, v11, v9
	v_cndmask_b32_e64 v10, 0, 1, s[4:5]
	s_nop 0
	v_cndmask_b32_e32 v9, v7, v11, vcc
	v_lshlrev_b32_e32 v9, 2, v9
	ds_bpermute_b32 v10, v9, v10
	s_and_saveexec_b64 s[14:15], s[0:1]
	s_cbranch_execz .LBB14_3
; %bb.35:                               ;   in Loop: Header=BB14_5 Depth=1
	s_waitcnt lgkmcnt(0)
	v_cmp_ne_u32_e32 vcc, 0, v10
	s_and_b64 s[4:5], vcc, s[4:5]
	v_cndmask_b32_e64 v10, 0, 1, s[4:5]
	ds_write_b32 v1, v10
	s_branch .LBB14_3
.LBB14_36:
	s_or_b64 exec, exec, s[12:13]
	v_cmp_eq_u32_e32 vcc, 0, v0
	s_and_saveexec_b64 s[0:1], vcc
	s_cbranch_execz .LBB14_38
; %bb.37:
	s_mul_i32 s0, s33, s3
	s_add_i32 s0, s0, s2
	s_ashr_i32 s1, s0, 31
	s_lshl_b64 s[0:1], s[0:1], 2
	s_add_u32 s0, s6, s0
	s_addc_u32 s1, s7, s1
	v_mov_b32_e32 v0, 0
	global_store_dword v0, v2, s[0:1]
.LBB14_38:
	s_endpgm
	.section	.rodata,"a",@progbits
	.p2align	6, 0x0
	.amdhsa_kernel _ZL25flash_attn_mask_to_KV_maxILi8EEvPK7__half2Piiii
		.amdhsa_group_segment_fixed_size 128
		.amdhsa_private_segment_fixed_size 0
		.amdhsa_kernarg_size 288
		.amdhsa_user_sgpr_count 2
		.amdhsa_user_sgpr_dispatch_ptr 0
		.amdhsa_user_sgpr_queue_ptr 0
		.amdhsa_user_sgpr_kernarg_segment_ptr 1
		.amdhsa_user_sgpr_dispatch_id 0
		.amdhsa_user_sgpr_kernarg_preload_length 0
		.amdhsa_user_sgpr_kernarg_preload_offset 0
		.amdhsa_user_sgpr_private_segment_size 0
		.amdhsa_uses_dynamic_stack 0
		.amdhsa_enable_private_segment 0
		.amdhsa_system_sgpr_workgroup_id_x 1
		.amdhsa_system_sgpr_workgroup_id_y 1
		.amdhsa_system_sgpr_workgroup_id_z 0
		.amdhsa_system_sgpr_workgroup_info 0
		.amdhsa_system_vgpr_workitem_id 0
		.amdhsa_next_free_vgpr 12
		.amdhsa_next_free_sgpr 46
		.amdhsa_accum_offset 12
		.amdhsa_reserve_vcc 1
		.amdhsa_float_round_mode_32 0
		.amdhsa_float_round_mode_16_64 0
		.amdhsa_float_denorm_mode_32 3
		.amdhsa_float_denorm_mode_16_64 3
		.amdhsa_dx10_clamp 1
		.amdhsa_ieee_mode 1
		.amdhsa_fp16_overflow 0
		.amdhsa_tg_split 0
		.amdhsa_exception_fp_ieee_invalid_op 0
		.amdhsa_exception_fp_denorm_src 0
		.amdhsa_exception_fp_ieee_div_zero 0
		.amdhsa_exception_fp_ieee_overflow 0
		.amdhsa_exception_fp_ieee_underflow 0
		.amdhsa_exception_fp_ieee_inexact 0
		.amdhsa_exception_int_div_zero 0
	.end_amdhsa_kernel
	.section	.text._ZL25flash_attn_mask_to_KV_maxILi8EEvPK7__half2Piiii,"axG",@progbits,_ZL25flash_attn_mask_to_KV_maxILi8EEvPK7__half2Piiii,comdat
.Lfunc_end14:
	.size	_ZL25flash_attn_mask_to_KV_maxILi8EEvPK7__half2Piiii, .Lfunc_end14-_ZL25flash_attn_mask_to_KV_maxILi8EEvPK7__half2Piiii
                                        ; -- End function
	.set _ZL25flash_attn_mask_to_KV_maxILi8EEvPK7__half2Piiii.num_vgpr, 12
	.set _ZL25flash_attn_mask_to_KV_maxILi8EEvPK7__half2Piiii.num_agpr, 0
	.set _ZL25flash_attn_mask_to_KV_maxILi8EEvPK7__half2Piiii.numbered_sgpr, 46
	.set _ZL25flash_attn_mask_to_KV_maxILi8EEvPK7__half2Piiii.num_named_barrier, 0
	.set _ZL25flash_attn_mask_to_KV_maxILi8EEvPK7__half2Piiii.private_seg_size, 0
	.set _ZL25flash_attn_mask_to_KV_maxILi8EEvPK7__half2Piiii.uses_vcc, 1
	.set _ZL25flash_attn_mask_to_KV_maxILi8EEvPK7__half2Piiii.uses_flat_scratch, 0
	.set _ZL25flash_attn_mask_to_KV_maxILi8EEvPK7__half2Piiii.has_dyn_sized_stack, 0
	.set _ZL25flash_attn_mask_to_KV_maxILi8EEvPK7__half2Piiii.has_recursion, 0
	.set _ZL25flash_attn_mask_to_KV_maxILi8EEvPK7__half2Piiii.has_indirect_call, 0
	.section	.AMDGPU.csdata,"",@progbits
; Kernel info:
; codeLenInByte = 1292
; TotalNumSgprs: 52
; NumVgprs: 12
; NumAgprs: 0
; TotalNumVgprs: 12
; ScratchSize: 0
; MemoryBound: 0
; FloatMode: 240
; IeeeMode: 1
; LDSByteSize: 128 bytes/workgroup (compile time only)
; SGPRBlocks: 6
; VGPRBlocks: 1
; NumSGPRsForWavesPerEU: 52
; NumVGPRsForWavesPerEU: 12
; AccumOffset: 12
; Occupancy: 8
; WaveLimiterHint : 0
; COMPUTE_PGM_RSRC2:SCRATCH_EN: 0
; COMPUTE_PGM_RSRC2:USER_SGPR: 2
; COMPUTE_PGM_RSRC2:TRAP_HANDLER: 0
; COMPUTE_PGM_RSRC2:TGID_X_EN: 1
; COMPUTE_PGM_RSRC2:TGID_Y_EN: 1
; COMPUTE_PGM_RSRC2:TGID_Z_EN: 0
; COMPUTE_PGM_RSRC2:TIDIG_COMP_CNT: 0
; COMPUTE_PGM_RSRC3_GFX90A:ACCUM_OFFSET: 2
; COMPUTE_PGM_RSRC3_GFX90A:TG_SPLIT: 0
	.section	.text._ZL33flash_attn_stream_k_fixup_uniformILi512ELi8ELi4EEvPfPK15HIP_vector_typeIfLj2EEiiiiiiS1_IjLj3EES5_S5_,"axG",@progbits,_ZL33flash_attn_stream_k_fixup_uniformILi512ELi8ELi4EEvPfPK15HIP_vector_typeIfLj2EEiiiiiiS1_IjLj3EES5_S5_,comdat
	.globl	_ZL33flash_attn_stream_k_fixup_uniformILi512ELi8ELi4EEvPfPK15HIP_vector_typeIfLj2EEiiiiiiS1_IjLj3EES5_S5_ ; -- Begin function _ZL33flash_attn_stream_k_fixup_uniformILi512ELi8ELi4EEvPfPK15HIP_vector_typeIfLj2EEiiiiiiS1_IjLj3EES5_S5_
	.p2align	8
	.type	_ZL33flash_attn_stream_k_fixup_uniformILi512ELi8ELi4EEvPfPK15HIP_vector_typeIfLj2EEiiiiiiS1_IjLj3EES5_S5_,@function
_ZL33flash_attn_stream_k_fixup_uniformILi512ELi8ELi4EEvPfPK15HIP_vector_typeIfLj2EEiiiiiiS1_IjLj3EES5_S5_: ; @_ZL33flash_attn_stream_k_fixup_uniformILi512ELi8ELi4EEvPfPK15HIP_vector_typeIfLj2EEiiiiiiS1_IjLj3EES5_S5_
; %bb.0:
	s_load_dwordx8 s[8:15], s[0:1], 0x1c
	s_load_dwordx2 s[6:7], s[0:1], 0x10
	s_load_dwordx4 s[20:23], s[0:1], 0x3c
	s_waitcnt lgkmcnt(0)
	s_mul_hi_u32 s5, s11, s2
	s_add_i32 s5, s2, s5
	s_lshr_b32 s5, s5, s12
	s_mul_i32 s11, s5, s13
	s_sub_i32 s11, s2, s11
	s_mul_hi_u32 s12, s11, s14
	s_add_i32 s12, s11, s12
	s_lshr_b32 s16, s12, s15
	s_mul_i32 s12, s16, s20
	s_sub_i32 s11, s11, s12
	;; [unrolled: 5-line block ×3, first 2 shown]
	s_lshl_b32 s11, s12, 2
	s_lshl_b32 s12, s17, 3
	s_add_i32 s12, s12, s3
	s_cmp_lt_i32 s12, s6
	s_cselect_b64 s[12:13], -1, 0
	s_add_i32 s14, s11, s4
	s_cmp_lt_i32 s14, s9
	s_cselect_b64 s[14:15], -1, 0
	s_and_b64 s[12:13], s[12:13], s[14:15]
	s_andn2_b64 vcc, exec, s[12:13]
	s_cbranch_vccnz .LBB15_6
; %bb.1:
	s_load_dwordx4 s[12:15], s[0:1], 0x0
	s_mul_i32 s0, s5, s6
	s_add_i32 s0, s0, s3
	s_mul_i32 s0, s0, s7
	s_mul_i32 s16, s16, s9
	s_add_i32 s0, s0, s4
	s_add_i32 s0, s0, s16
	s_mul_i32 s1, s7, s17
	s_add_i32 s0, s0, s11
	s_lshl_b32 s1, s1, 12
	s_lshl_b32 s0, s0, 9
	s_add_i32 s1, s1, s0
	v_or_b32_e32 v4, s1, v0
	s_waitcnt lgkmcnt(0)
	v_mov_b32_e32 v2, s12
	v_mov_b32_e32 v3, s13
	v_ashrrev_i32_e32 v5, 31, v4
	v_lshl_add_u64 v[2:3], v[4:5], 2, v[2:3]
	global_load_dword v5, v[2:3], off
	s_mul_i32 s5, s10, s2
	s_lshl_b32 s11, s3, 2
	s_add_i32 s9, s5, s10
	s_add_i32 s0, s11, s4
	s_lshl_b32 s1, s9, 5
	s_add_i32 s0, s0, s1
	s_sub_i32 s0, s0, 32
	s_ashr_i32 s1, s0, 31
	s_lshl_b64 s[0:1], s[0:1], 3
	s_add_u32 s0, s14, s0
	s_addc_u32 s1, s15, s1
	s_load_dword s12, s[0:1], 0x4
	s_add_i32 s6, s9, -2
	s_cmp_lt_i32 s6, s5
	s_cbranch_scc1 .LBB15_4
; %bb.2:
	s_lshl_b32 s6, s8, 7
	s_ashr_i32 s7, s6, 31
	s_lshl_b64 s[6:7], s[6:7], 2
	s_add_u32 s6, s14, s6
	s_addc_u32 s7, s15, s7
	s_add_i32 s2, s2, 1
	s_load_dword s0, s[0:1], 0x0
	s_mul_i32 s1, s10, s2
	s_lshl_b32 s3, s3, 11
	s_lshl_b32 s10, s4, 9
	;; [unrolled: 1-line block ×3, first 2 shown]
	s_add_i32 s3, s10, s3
	s_lshl_b32 s1, s1, 5
	s_add_i32 s3, s3, s2
	s_add_i32 s1, s4, s1
	s_lshl_b32 s2, s8, 5
	s_add_i32 s1, s1, s2
	v_or_b32_e32 v0, s3, v0
	s_add_i32 s1, s1, s11
	s_add_i32 s9, s9, -1
	v_add_u32_e32 v0, 0xffff8000, v0
	s_sub_i32 s2, s1, 64
	s_waitcnt lgkmcnt(0)
	v_mov_b32_e32 v7, s0
	v_mov_b32_e32 v4, s12
	s_mov_b32 s4, 0x3fb8aa3b
	s_mov_b32 s8, 0xc2ce8ed0
	;; [unrolled: 1-line block ×3, first 2 shown]
	v_mov_b32_e32 v6, 0x7f800000
	s_mov_b32 s11, 0xc1a00000
.LBB15_3:                               ; =>This Inner Loop Header: Depth=1
	v_ashrrev_i32_e32 v1, 31, v0
	v_lshl_add_u64 v[8:9], v[0:1], 2, s[6:7]
	global_load_dword v9, v[8:9], off
	s_ashr_i32 s3, s2, 31
	s_lshl_b64 s[0:1], s[2:3], 3
	s_add_u32 s0, s14, s0
	s_addc_u32 s1, s15, s1
	s_load_dwordx2 s[0:1], s[0:1], 0x0
	v_max_f32_e32 v1, v7, v7
	s_add_i32 s9, s9, -1
	s_sub_i32 s2, s2, 32
	v_add_u32_e32 v0, 0xffffc000, v0
	s_waitcnt lgkmcnt(0)
	v_max_f32_e64 v10, s0, s0
	v_max_f32_e32 v1, v1, v10
	v_sub_f32_e32 v11, s0, v1
	v_sub_f32_e32 v10, v7, v1
	v_mul_f32_e32 v12, 0x3fb8aa3b, v11
	v_mov_b32_e32 v7, v1
	v_mul_f32_e32 v1, 0x3fb8aa3b, v10
	v_fma_f32 v15, v11, s4, -v12
	v_rndne_f32_e32 v16, v12
	v_fma_f32 v13, v10, s4, -v1
	v_rndne_f32_e32 v14, v1
	v_fmac_f32_e32 v15, 0x32a5705f, v11
	v_sub_f32_e32 v12, v12, v16
	v_fmac_f32_e32 v13, 0x32a5705f, v10
	v_sub_f32_e32 v1, v1, v14
	v_add_f32_e32 v12, v12, v15
	v_cvt_i32_f32_e32 v16, v16
	v_add_f32_e32 v1, v1, v13
	v_exp_f32_e32 v12, v12
	v_cvt_i32_f32_e32 v14, v14
	v_exp_f32_e32 v1, v1
	v_cmp_ngt_f32_e32 vcc, s8, v11
	v_ldexp_f32 v12, v12, v16
	v_mov_b32_e32 v8, s1
	v_ldexp_f32 v1, v1, v14
	v_cmp_ngt_f32_e64 s[0:1], s8, v10
	v_cndmask_b32_e32 v12, 0, v12, vcc
	v_cmp_nlt_f32_e32 vcc, s10, v11
	v_cndmask_b32_e64 v1, 0, v1, s[0:1]
	v_cmp_nlt_f32_e64 s[0:1], s10, v10
	v_cndmask_b32_e32 v12, v6, v12, vcc
	v_cmp_le_f32_e32 vcc, s11, v11
	v_cndmask_b32_e64 v1, v6, v1, s[0:1]
	v_cmp_le_f32_e64 s[0:1], s11, v10
	v_cndmask_b32_e32 v12, 0, v12, vcc
	s_cmp_le_i32 s9, s5
	v_cndmask_b32_e64 v10, 0, v1, s[0:1]
	s_waitcnt vmcnt(0)
	v_pk_mul_f32 v[8:9], v[8:9], v[12:13] op_sel_hi:[1,0]
	s_nop 0
	v_pk_fma_f32 v[4:5], v[4:5], v[10:11], v[8:9] op_sel_hi:[1,0,1]
	s_cbranch_scc0 .LBB15_3
	s_branch .LBB15_5
.LBB15_4:
	s_waitcnt lgkmcnt(0)
	v_mov_b32_e32 v4, s12
.LBB15_5:
	s_waitcnt vmcnt(0)
	v_div_scale_f32 v0, s[0:1], v4, v4, v5
	v_rcp_f32_e32 v1, v0
	v_div_scale_f32 v6, vcc, v5, v4, v5
	v_fma_f32 v7, -v0, v1, 1.0
	v_fmac_f32_e32 v1, v7, v1
	v_mul_f32_e32 v7, v6, v1
	v_fma_f32 v8, -v0, v7, v6
	v_fmac_f32_e32 v7, v8, v1
	v_fma_f32 v0, -v0, v7, v6
	v_div_fmas_f32 v0, v0, v1, v7
	v_div_fixup_f32 v0, v0, v4, v5
	global_store_dword v[2:3], v0, off
.LBB15_6:
	s_endpgm
	.section	.rodata,"a",@progbits
	.p2align	6, 0x0
	.amdhsa_kernel _ZL33flash_attn_stream_k_fixup_uniformILi512ELi8ELi4EEvPfPK15HIP_vector_typeIfLj2EEiiiiiiS1_IjLj3EES5_S5_
		.amdhsa_group_segment_fixed_size 0
		.amdhsa_private_segment_fixed_size 0
		.amdhsa_kernarg_size 76
		.amdhsa_user_sgpr_count 2
		.amdhsa_user_sgpr_dispatch_ptr 0
		.amdhsa_user_sgpr_queue_ptr 0
		.amdhsa_user_sgpr_kernarg_segment_ptr 1
		.amdhsa_user_sgpr_dispatch_id 0
		.amdhsa_user_sgpr_kernarg_preload_length 0
		.amdhsa_user_sgpr_kernarg_preload_offset 0
		.amdhsa_user_sgpr_private_segment_size 0
		.amdhsa_uses_dynamic_stack 0
		.amdhsa_enable_private_segment 0
		.amdhsa_system_sgpr_workgroup_id_x 1
		.amdhsa_system_sgpr_workgroup_id_y 1
		.amdhsa_system_sgpr_workgroup_id_z 1
		.amdhsa_system_sgpr_workgroup_info 0
		.amdhsa_system_vgpr_workitem_id 0
		.amdhsa_next_free_vgpr 17
		.amdhsa_next_free_sgpr 24
		.amdhsa_accum_offset 20
		.amdhsa_reserve_vcc 1
		.amdhsa_float_round_mode_32 0
		.amdhsa_float_round_mode_16_64 0
		.amdhsa_float_denorm_mode_32 3
		.amdhsa_float_denorm_mode_16_64 3
		.amdhsa_dx10_clamp 1
		.amdhsa_ieee_mode 1
		.amdhsa_fp16_overflow 0
		.amdhsa_tg_split 0
		.amdhsa_exception_fp_ieee_invalid_op 0
		.amdhsa_exception_fp_denorm_src 0
		.amdhsa_exception_fp_ieee_div_zero 0
		.amdhsa_exception_fp_ieee_overflow 0
		.amdhsa_exception_fp_ieee_underflow 0
		.amdhsa_exception_fp_ieee_inexact 0
		.amdhsa_exception_int_div_zero 0
	.end_amdhsa_kernel
	.section	.text._ZL33flash_attn_stream_k_fixup_uniformILi512ELi8ELi4EEvPfPK15HIP_vector_typeIfLj2EEiiiiiiS1_IjLj3EES5_S5_,"axG",@progbits,_ZL33flash_attn_stream_k_fixup_uniformILi512ELi8ELi4EEvPfPK15HIP_vector_typeIfLj2EEiiiiiiS1_IjLj3EES5_S5_,comdat
.Lfunc_end15:
	.size	_ZL33flash_attn_stream_k_fixup_uniformILi512ELi8ELi4EEvPfPK15HIP_vector_typeIfLj2EEiiiiiiS1_IjLj3EES5_S5_, .Lfunc_end15-_ZL33flash_attn_stream_k_fixup_uniformILi512ELi8ELi4EEvPfPK15HIP_vector_typeIfLj2EEiiiiiiS1_IjLj3EES5_S5_
                                        ; -- End function
	.set _ZL33flash_attn_stream_k_fixup_uniformILi512ELi8ELi4EEvPfPK15HIP_vector_typeIfLj2EEiiiiiiS1_IjLj3EES5_S5_.num_vgpr, 17
	.set _ZL33flash_attn_stream_k_fixup_uniformILi512ELi8ELi4EEvPfPK15HIP_vector_typeIfLj2EEiiiiiiS1_IjLj3EES5_S5_.num_agpr, 0
	.set _ZL33flash_attn_stream_k_fixup_uniformILi512ELi8ELi4EEvPfPK15HIP_vector_typeIfLj2EEiiiiiiS1_IjLj3EES5_S5_.numbered_sgpr, 24
	.set _ZL33flash_attn_stream_k_fixup_uniformILi512ELi8ELi4EEvPfPK15HIP_vector_typeIfLj2EEiiiiiiS1_IjLj3EES5_S5_.num_named_barrier, 0
	.set _ZL33flash_attn_stream_k_fixup_uniformILi512ELi8ELi4EEvPfPK15HIP_vector_typeIfLj2EEiiiiiiS1_IjLj3EES5_S5_.private_seg_size, 0
	.set _ZL33flash_attn_stream_k_fixup_uniformILi512ELi8ELi4EEvPfPK15HIP_vector_typeIfLj2EEiiiiiiS1_IjLj3EES5_S5_.uses_vcc, 1
	.set _ZL33flash_attn_stream_k_fixup_uniformILi512ELi8ELi4EEvPfPK15HIP_vector_typeIfLj2EEiiiiiiS1_IjLj3EES5_S5_.uses_flat_scratch, 0
	.set _ZL33flash_attn_stream_k_fixup_uniformILi512ELi8ELi4EEvPfPK15HIP_vector_typeIfLj2EEiiiiiiS1_IjLj3EES5_S5_.has_dyn_sized_stack, 0
	.set _ZL33flash_attn_stream_k_fixup_uniformILi512ELi8ELi4EEvPfPK15HIP_vector_typeIfLj2EEiiiiiiS1_IjLj3EES5_S5_.has_recursion, 0
	.set _ZL33flash_attn_stream_k_fixup_uniformILi512ELi8ELi4EEvPfPK15HIP_vector_typeIfLj2EEiiiiiiS1_IjLj3EES5_S5_.has_indirect_call, 0
	.section	.AMDGPU.csdata,"",@progbits
; Kernel info:
; codeLenInByte = 836
; TotalNumSgprs: 30
; NumVgprs: 17
; NumAgprs: 0
; TotalNumVgprs: 17
; ScratchSize: 0
; MemoryBound: 0
; FloatMode: 240
; IeeeMode: 1
; LDSByteSize: 0 bytes/workgroup (compile time only)
; SGPRBlocks: 3
; VGPRBlocks: 2
; NumSGPRsForWavesPerEU: 30
; NumVGPRsForWavesPerEU: 17
; AccumOffset: 20
; Occupancy: 8
; WaveLimiterHint : 0
; COMPUTE_PGM_RSRC2:SCRATCH_EN: 0
; COMPUTE_PGM_RSRC2:USER_SGPR: 2
; COMPUTE_PGM_RSRC2:TRAP_HANDLER: 0
; COMPUTE_PGM_RSRC2:TGID_X_EN: 1
; COMPUTE_PGM_RSRC2:TGID_Y_EN: 1
; COMPUTE_PGM_RSRC2:TGID_Z_EN: 1
; COMPUTE_PGM_RSRC2:TIDIG_COMP_CNT: 0
; COMPUTE_PGM_RSRC3_GFX90A:ACCUM_OFFSET: 4
; COMPUTE_PGM_RSRC3_GFX90A:TG_SPLIT: 0
	.section	.text._ZL33flash_attn_stream_k_fixup_generalILi512ELi8ELi4EEvPfPK15HIP_vector_typeIfLj2EEiiiiS1_IjLj3EES5_S5_S5_,"axG",@progbits,_ZL33flash_attn_stream_k_fixup_generalILi512ELi8ELi4EEvPfPK15HIP_vector_typeIfLj2EEiiiiS1_IjLj3EES5_S5_S5_,comdat
	.globl	_ZL33flash_attn_stream_k_fixup_generalILi512ELi8ELi4EEvPfPK15HIP_vector_typeIfLj2EEiiiiS1_IjLj3EES5_S5_S5_ ; -- Begin function _ZL33flash_attn_stream_k_fixup_generalILi512ELi8ELi4EEvPfPK15HIP_vector_typeIfLj2EEiiiiS1_IjLj3EES5_S5_S5_
	.p2align	8
	.type	_ZL33flash_attn_stream_k_fixup_generalILi512ELi8ELi4EEvPfPK15HIP_vector_typeIfLj2EEiiiiS1_IjLj3EES5_S5_S5_,@function
_ZL33flash_attn_stream_k_fixup_generalILi512ELi8ELi4EEvPfPK15HIP_vector_typeIfLj2EEiiiiS1_IjLj3EES5_S5_S5_: ; @_ZL33flash_attn_stream_k_fixup_generalILi512ELi8ELi4EEvPfPK15HIP_vector_typeIfLj2EEiiiiS1_IjLj3EES5_S5_S5_
; %bb.0:
	s_load_dwordx4 s[8:11], s[0:1], 0x10
	s_load_dword s22, s[0:1], 0x50
	s_mov_b32 s12, 0
	s_waitcnt lgkmcnt(0)
	s_mul_hi_i32 s13, s11, s2
	s_cmp_lg_u64 s[12:13], 0
	s_mul_i32 s5, s11, s2
	s_cbranch_scc0 .LBB16_20
; %bb.1:
	s_add_u32 s6, s22, 0
	s_addc_u32 s7, 0, 0
	s_xor_b64 s[6:7], s[6:7], 0
	v_cvt_f32_u32_e32 v1, s6
	v_cvt_f32_u32_e32 v2, s7
	s_sub_u32 s12, 0, s6
	s_subb_u32 s18, 0, s7
	v_fmamk_f32 v1, v2, 0x4f800000, v1
	v_rcp_f32_e32 v1, v1
	s_nop 0
	v_mul_f32_e32 v1, 0x5f7ffffc, v1
	v_mul_f32_e32 v2, 0x2f800000, v1
	v_trunc_f32_e32 v2, v2
	v_fmamk_f32 v1, v2, 0xcf800000, v1
	v_cvt_u32_f32_e32 v2, v2
	v_cvt_u32_f32_e32 v1, v1
	v_readfirstlane_b32 s19, v2
	v_readfirstlane_b32 s14, v1
	s_mul_i32 s15, s12, s19
	s_mul_hi_u32 s21, s12, s14
	s_mul_i32 s20, s18, s14
	s_add_i32 s15, s21, s15
	s_add_i32 s15, s15, s20
	s_mul_i32 s23, s12, s14
	s_mul_i32 s21, s14, s15
	s_mul_hi_u32 s24, s14, s23
	s_mul_hi_u32 s20, s14, s15
	s_add_u32 s21, s24, s21
	s_addc_u32 s20, 0, s20
	s_mul_hi_u32 s25, s19, s23
	s_mul_i32 s23, s19, s23
	s_add_u32 s21, s21, s23
	s_mul_hi_u32 s24, s19, s15
	s_addc_u32 s20, s20, s25
	s_addc_u32 s21, s24, 0
	s_mul_i32 s15, s19, s15
	s_add_u32 s15, s20, s15
	s_addc_u32 s20, 0, s21
	s_add_u32 s21, s14, s15
	s_cselect_b64 s[14:15], -1, 0
	s_cmp_lg_u64 s[14:15], 0
	s_addc_u32 s19, s19, s20
	s_mul_i32 s14, s12, s19
	s_mul_hi_u32 s15, s12, s21
	s_add_i32 s14, s15, s14
	s_mul_i32 s18, s18, s21
	s_add_i32 s14, s14, s18
	s_mul_i32 s12, s12, s21
	s_mul_hi_u32 s18, s19, s12
	s_mul_i32 s20, s19, s12
	s_mul_i32 s24, s21, s14
	s_mul_hi_u32 s12, s21, s12
	s_mul_hi_u32 s23, s21, s14
	s_add_u32 s12, s12, s24
	s_addc_u32 s23, 0, s23
	s_add_u32 s12, s12, s20
	s_mul_hi_u32 s15, s19, s14
	s_addc_u32 s12, s23, s18
	s_addc_u32 s15, s15, 0
	s_mul_i32 s14, s19, s14
	s_add_u32 s12, s12, s14
	s_addc_u32 s18, 0, s15
	s_add_u32 s20, s21, s12
	s_cselect_b64 s[14:15], -1, 0
	s_cmp_lg_u64 s[14:15], 0
	s_addc_u32 s18, s19, s18
	s_ashr_i32 s14, s13, 31
	s_add_u32 s12, s5, s14
	s_mov_b32 s15, s14
	s_addc_u32 s13, s13, s14
	s_xor_b64 s[12:13], s[12:13], s[14:15]
	s_mul_i32 s21, s12, s18
	s_mul_hi_u32 s23, s12, s20
	s_mul_hi_u32 s19, s12, s18
	s_add_u32 s21, s23, s21
	s_addc_u32 s19, 0, s19
	s_mul_hi_u32 s24, s13, s20
	s_mul_i32 s20, s13, s20
	s_add_u32 s20, s21, s20
	s_mul_hi_u32 s23, s13, s18
	s_addc_u32 s19, s19, s24
	s_addc_u32 s20, s23, 0
	s_mul_i32 s18, s13, s18
	s_add_u32 s23, s19, s18
	s_addc_u32 s24, 0, s20
	s_mul_i32 s18, s6, s24
	s_mul_hi_u32 s19, s6, s23
	s_add_i32 s18, s19, s18
	s_mul_i32 s19, s7, s23
	s_add_i32 s25, s18, s19
	s_sub_i32 s20, s13, s25
	s_mul_i32 s18, s6, s23
	s_sub_u32 s12, s12, s18
	s_cselect_b64 s[18:19], -1, 0
	s_cmp_lg_u64 s[18:19], 0
	s_subb_u32 s26, s20, s7
	s_sub_u32 s27, s12, s6
	s_cselect_b64 s[20:21], -1, 0
	s_cmp_lg_u64 s[20:21], 0
	s_subb_u32 s20, s26, 0
	s_cmp_ge_u32 s20, s7
	s_cselect_b32 s21, -1, 0
	s_cmp_ge_u32 s27, s6
	s_cselect_b32 s26, -1, 0
	s_cmp_eq_u32 s20, s7
	s_cselect_b32 s20, s26, s21
	s_add_u32 s21, s23, 1
	s_addc_u32 s26, s24, 0
	s_add_u32 s27, s23, 2
	s_addc_u32 s28, s24, 0
	s_cmp_lg_u32 s20, 0
	s_cselect_b32 s20, s27, s21
	s_cselect_b32 s21, s28, s26
	s_cmp_lg_u64 s[18:19], 0
	s_subb_u32 s13, s13, s25
	s_cmp_ge_u32 s13, s7
	s_cselect_b32 s18, -1, 0
	s_cmp_ge_u32 s12, s6
	s_cselect_b32 s6, -1, 0
	s_cmp_eq_u32 s13, s7
	s_cselect_b32 s6, s6, s18
	s_cmp_lg_u32 s6, 0
	s_cselect_b32 s7, s21, s24
	s_cselect_b32 s6, s20, s23
	s_xor_b64 s[12:13], s[14:15], 0
	s_xor_b64 s[6:7], s[6:7], s[12:13]
	s_sub_u32 s6, s6, s12
	s_load_dwordx4 s[12:15], s[0:1], 0x44
	s_cbranch_execnz .LBB16_3
.LBB16_2:
	v_cvt_f32_u32_e32 v1, s22
	s_sub_i32 s6, 0, s22
	v_rcp_iflag_f32_e32 v1, v1
	s_nop 0
	v_mul_f32_e32 v1, 0x4f7ffffe, v1
	v_cvt_u32_f32_e32 v1, v1
	s_nop 0
	v_readfirstlane_b32 s7, v1
	s_mul_i32 s6, s6, s7
	s_mul_hi_u32 s6, s7, s6
	s_add_i32 s7, s7, s6
	s_mul_hi_u32 s6, s5, s7
	s_waitcnt lgkmcnt(0)
	s_mul_i32 s15, s6, s22
	s_sub_i32 s5, s5, s15
	s_add_i32 s7, s6, 1
	s_sub_i32 s15, s5, s22
	s_cmp_ge_u32 s5, s22
	s_cselect_b32 s6, s7, s6
	s_cselect_b32 s5, s15, s5
	s_add_i32 s7, s6, 1
	s_cmp_ge_u32 s5, s22
	s_cselect_b32 s6, s7, s6
.LBB16_3:
	s_add_i32 s5, s2, 1
	s_mul_hi_i32 s21, s11, s5
	s_mov_b32 s20, 0
	s_cmp_lg_u64 s[20:21], 0
	s_mul_i32 s5, s11, s5
	s_cbranch_scc0 .LBB16_21
; %bb.4:
	s_add_u32 s16, s22, 0
	s_addc_u32 s17, 0, 0
	s_xor_b64 s[18:19], s[16:17], 0
	v_cvt_f32_u32_e32 v1, s18
	v_cvt_f32_u32_e32 v2, s19
	s_sub_u32 s7, 0, s18
	s_waitcnt lgkmcnt(0)
	s_subb_u32 s15, 0, s19
	v_fmamk_f32 v1, v2, 0x4f800000, v1
	v_rcp_f32_e32 v1, v1
	s_nop 0
	v_mul_f32_e32 v1, 0x5f7ffffc, v1
	v_mul_f32_e32 v2, 0x2f800000, v1
	v_trunc_f32_e32 v2, v2
	v_fmamk_f32 v1, v2, 0xcf800000, v1
	v_cvt_u32_f32_e32 v2, v2
	v_cvt_u32_f32_e32 v1, v1
	v_readfirstlane_b32 s20, v2
	v_readfirstlane_b32 s23, v1
	s_mul_i32 s24, s7, s20
	s_mul_hi_u32 s26, s7, s23
	s_mul_i32 s25, s15, s23
	s_add_i32 s24, s26, s24
	s_add_i32 s24, s24, s25
	s_mul_i32 s27, s7, s23
	s_mul_i32 s26, s23, s24
	s_mul_hi_u32 s28, s23, s27
	s_mul_hi_u32 s25, s23, s24
	s_add_u32 s26, s28, s26
	s_addc_u32 s25, 0, s25
	s_mul_hi_u32 s29, s20, s27
	s_mul_i32 s27, s20, s27
	s_add_u32 s26, s26, s27
	s_mul_hi_u32 s28, s20, s24
	s_addc_u32 s25, s25, s29
	s_addc_u32 s26, s28, 0
	s_mul_i32 s24, s20, s24
	s_add_u32 s24, s25, s24
	s_addc_u32 s26, 0, s26
	s_add_u32 s23, s23, s24
	s_cselect_b64 s[24:25], -1, 0
	s_cmp_lg_u64 s[24:25], 0
	s_addc_u32 s20, s20, s26
	s_mul_i32 s24, s7, s20
	s_mul_hi_u32 s25, s7, s23
	s_add_i32 s24, s25, s24
	s_mul_i32 s15, s15, s23
	s_add_i32 s24, s24, s15
	s_mul_i32 s7, s7, s23
	s_mul_hi_u32 s25, s20, s7
	s_mul_i32 s26, s20, s7
	s_mul_i32 s28, s23, s24
	s_mul_hi_u32 s7, s23, s7
	s_mul_hi_u32 s27, s23, s24
	s_add_u32 s7, s7, s28
	s_addc_u32 s27, 0, s27
	s_add_u32 s7, s7, s26
	s_mul_hi_u32 s15, s20, s24
	s_addc_u32 s7, s27, s25
	s_addc_u32 s15, s15, 0
	s_mul_i32 s24, s20, s24
	s_add_u32 s7, s7, s24
	s_addc_u32 s15, 0, s15
	s_add_u32 s7, s23, s7
	s_cselect_b64 s[24:25], -1, 0
	s_cmp_lg_u64 s[24:25], 0
	s_addc_u32 s15, s20, s15
	s_ashr_i32 s24, s21, 31
	s_add_u32 s20, s5, s24
	s_mov_b32 s25, s24
	s_addc_u32 s21, s21, s24
	s_xor_b64 s[20:21], s[20:21], s[24:25]
	s_mul_i32 s26, s20, s15
	s_mul_hi_u32 s27, s20, s7
	s_mul_hi_u32 s23, s20, s15
	s_add_u32 s26, s27, s26
	s_addc_u32 s23, 0, s23
	s_mul_hi_u32 s28, s21, s7
	s_mul_i32 s7, s21, s7
	s_add_u32 s7, s26, s7
	s_mul_hi_u32 s27, s21, s15
	s_addc_u32 s7, s23, s28
	s_addc_u32 s23, s27, 0
	s_mul_i32 s15, s21, s15
	s_add_u32 s7, s7, s15
	s_addc_u32 s15, 0, s23
	s_mul_i32 s23, s18, s15
	s_mul_hi_u32 s26, s18, s7
	s_add_i32 s23, s26, s23
	s_mul_i32 s26, s19, s7
	s_add_i32 s23, s23, s26
	s_sub_i32 s28, s21, s23
	s_mul_i32 s26, s18, s7
	s_sub_u32 s20, s20, s26
	s_cselect_b64 s[26:27], -1, 0
	s_cmp_lg_u64 s[26:27], 0
	s_subb_u32 s30, s28, s19
	s_sub_u32 s31, s20, s18
	s_cselect_b64 s[28:29], -1, 0
	s_cmp_lg_u64 s[28:29], 0
	s_subb_u32 s28, s30, 0
	s_cmp_ge_u32 s28, s19
	s_cselect_b32 s29, -1, 0
	s_cmp_ge_u32 s31, s18
	s_cselect_b32 s30, -1, 0
	s_cmp_eq_u32 s28, s19
	s_cselect_b32 s28, s30, s29
	s_add_u32 s29, s7, 1
	s_addc_u32 s30, s15, 0
	s_add_u32 s31, s7, 2
	s_addc_u32 s33, s15, 0
	s_cmp_lg_u32 s28, 0
	s_cselect_b32 s28, s31, s29
	s_cselect_b32 s29, s33, s30
	s_cmp_lg_u64 s[26:27], 0
	s_subb_u32 s21, s21, s23
	s_cmp_ge_u32 s21, s19
	s_cselect_b32 s23, -1, 0
	s_cmp_ge_u32 s20, s18
	s_cselect_b32 s18, -1, 0
	s_cmp_eq_u32 s21, s19
	s_cselect_b32 s18, s18, s23
	s_cmp_lg_u32 s18, 0
	s_cselect_b32 s19, s29, s15
	s_cselect_b32 s18, s28, s7
	s_xor_b64 s[20:21], s[24:25], 0
	s_xor_b64 s[18:19], s[18:19], s[20:21]
	s_sub_u32 s18, s18, s20
	s_cbranch_execnz .LBB16_6
.LBB16_5:
	v_cvt_f32_u32_e32 v1, s22
	s_sub_i32 s7, 0, s22
	v_rcp_iflag_f32_e32 v1, v1
	s_nop 0
	v_mul_f32_e32 v1, 0x4f7ffffe, v1
	v_cvt_u32_f32_e32 v1, v1
	s_waitcnt lgkmcnt(0)
	v_readfirstlane_b32 s15, v1
	s_mul_i32 s7, s7, s15
	s_mul_hi_u32 s7, s15, s7
	s_add_i32 s15, s15, s7
	s_mul_hi_u32 s7, s5, s15
	s_mul_i32 s16, s7, s22
	s_sub_i32 s5, s5, s16
	s_add_i32 s15, s7, 1
	s_sub_i32 s16, s5, s22
	s_cmp_ge_u32 s5, s22
	s_cselect_b32 s7, s15, s7
	s_cselect_b32 s5, s16, s5
	s_add_i32 s15, s7, 1
	s_cmp_ge_u32 s5, s22
	s_cselect_b32 s18, s15, s7
.LBB16_6:
	s_cmp_eq_u32 s6, s18
	s_waitcnt lgkmcnt(0)
	s_mul_hi_u32 s5, s6, s12
	s_cselect_b64 s[16:17], -1, 0
	s_add_i32 s5, s5, s6
	s_lshr_b32 s7, s5, s13
	s_mul_i32 s5, s7, s14
	s_cmp_eq_u32 s5, s6
	s_mul_hi_u32 s5, s18, s12
	s_cselect_b64 s[20:21], -1, 0
	s_add_i32 s5, s5, s18
	s_lshr_b32 s5, s5, s13
	s_cmp_eq_u32 s7, s5
	s_mul_i32 s5, s5, s14
	s_cselect_b64 s[24:25], -1, 0
	s_cmp_lg_u32 s5, s18
	s_cselect_b64 s[18:19], -1, 0
	s_and_b64 s[18:19], s[24:25], s[18:19]
	s_or_b64 s[16:17], s[16:17], s[20:21]
	s_or_b64 s[16:17], s[16:17], s[18:19]
	s_and_b64 vcc, exec, s[16:17]
	s_cbranch_vccnz .LBB16_23
; %bb.7:
	s_load_dwordx8 s[24:31], s[0:1], 0x20
	s_load_dword s15, s[0:1], 0x40
	s_waitcnt lgkmcnt(0)
	s_mul_hi_u32 s5, s6, s24
	s_add_i32 s5, s5, s6
	s_lshr_b32 s5, s5, s25
	s_mul_i32 s16, s5, s26
	s_sub_i32 s16, s6, s16
	s_mul_hi_u32 s17, s16, s27
	s_add_i32 s17, s16, s17
	s_lshr_b32 s20, s17, s28
	s_mul_i32 s17, s20, s29
	s_sub_i32 s16, s16, s17
	;; [unrolled: 5-line block ×3, first 2 shown]
	s_mul_hi_u32 s16, s15, s12
	s_add_i32 s15, s15, s16
	s_lshr_b32 s23, s15, s13
	s_lshl_b32 s15, s23, 3
	s_lshl_b32 s21, s17, 2
	s_add_i32 s15, s15, s3
	s_cmp_lt_i32 s15, s8
	s_cselect_b64 s[16:17], -1, 0
	s_add_i32 s15, s21, s4
	s_cmp_lt_i32 s15, s10
	s_cselect_b64 s[18:19], -1, 0
	s_and_b64 s[16:17], s[16:17], s[18:19]
	s_andn2_b64 vcc, exec, s[16:17]
	s_cbranch_vccnz .LBB16_23
; %bb.8:
	s_load_dwordx4 s[16:19], s[0:1], 0x0
	s_mov_b32 s0, 0
	s_lshl_b32 s15, s3, 2
	s_lshl_b32 s24, s22, 7
	s_mov_b32 s25, s0
	s_add_i32 s15, s15, s4
	s_waitcnt lgkmcnt(0)
	v_mov_b32_e32 v2, s16
	v_mov_b32_e32 v3, s17
	s_lshl_b64 s[16:17], s[24:25], 2
	s_add_u32 s16, s18, s16
	s_mul_i32 s1, s5, s8
	s_addc_u32 s17, s19, s17
	s_add_i32 s1, s1, s3
	s_mul_i32 s1, s1, s9
	s_mul_i32 s20, s20, s10
	s_add_i32 s1, s1, s4
	s_add_i32 s1, s1, s20
	s_mul_i32 s5, s9, s23
	s_add_i32 s1, s1, s21
	s_lshl_b32 s5, s5, 12
	s_lshl_b32 s1, s1, 9
	s_add_i32 s5, s5, s1
	v_or_b32_e32 v4, s5, v0
	v_ashrrev_i32_e32 v5, 31, v4
	v_lshl_add_u64 v[2:3], v[4:5], 2, v[2:3]
	global_load_dword v1, v[2:3], off
	v_cvt_f32_u32_e32 v4, s22
	s_lshl_b32 s1, s2, 5
	s_add_i32 s4, s15, s1
	s_ashr_i32 s5, s4, 31
	s_lshl_b64 s[4:5], s[4:5], 3
	v_rcp_iflag_f32_e32 v4, v4
	s_add_u32 s4, s18, s4
	s_addc_u32 s5, s19, s5
	s_load_dwordx2 s[4:5], s[4:5], 0x0
	v_mul_f32_e32 v4, 0x4f7ffffe, v4
	v_cvt_u32_f32_e32 v7, v4
	s_add_i32 s24, s2, -1
	v_lshl_or_b32 v6, s15, 9, v0
	s_waitcnt lgkmcnt(0)
	v_mov_b32_e32 v0, s5
	v_mov_b32_e32 v9, s4
	s_mov_b32 s10, 0x3fb8aa3b
	s_mov_b32 s20, 0xc2ce8ed0
	;; [unrolled: 1-line block ×4, first 2 shown]
	v_mov_b32_e32 v8, 0x7f800000
	s_mul_hi_i32 s1, s24, s11
	s_cmp_lg_u64 s[0:1], 0
	s_mul_i32 s8, s24, s11
	s_cbranch_scc0 .LBB16_19
.LBB16_9:
	s_add_u32 s2, s22, 0
	s_addc_u32 s3, 0, 0
	s_xor_b64 s[2:3], s[2:3], 0
	v_cvt_f32_u32_e32 v4, s2
	v_cvt_f32_u32_e32 v5, s3
	s_sub_u32 s9, 0, s2
	s_subb_u32 s25, 0, s3
	v_fmac_f32_e32 v4, 0x4f800000, v5
	v_rcp_f32_e32 v4, v4
	s_nop 0
	v_mul_f32_e32 v4, 0x5f7ffffc, v4
	v_mul_f32_e32 v5, 0x2f800000, v4
	v_trunc_f32_e32 v5, v5
	v_fmac_f32_e32 v4, 0xcf800000, v5
	v_cvt_u32_f32_e32 v5, v5
	v_cvt_u32_f32_e32 v4, v4
	v_readfirstlane_b32 s26, v5
	v_readfirstlane_b32 s4, v4
	s_mul_i32 s5, s9, s26
	s_mul_hi_u32 s28, s9, s4
	s_mul_i32 s27, s25, s4
	s_add_i32 s5, s28, s5
	s_mul_i32 s29, s9, s4
	s_add_i32 s5, s5, s27
	s_mul_i32 s28, s4, s5
	s_mul_hi_u32 s30, s4, s29
	s_mul_hi_u32 s27, s4, s5
	s_add_u32 s28, s30, s28
	s_addc_u32 s27, 0, s27
	s_mul_hi_u32 s31, s26, s29
	s_mul_i32 s29, s26, s29
	s_add_u32 s28, s28, s29
	s_mul_hi_u32 s30, s26, s5
	s_addc_u32 s27, s27, s31
	s_addc_u32 s28, s30, 0
	s_mul_i32 s5, s26, s5
	s_add_u32 s5, s27, s5
	s_addc_u32 s27, 0, s28
	s_add_u32 s28, s4, s5
	s_cselect_b64 s[4:5], -1, 0
	s_cmp_lg_u64 s[4:5], 0
	s_addc_u32 s26, s26, s27
	s_mul_i32 s4, s9, s26
	s_mul_hi_u32 s5, s9, s28
	s_add_i32 s4, s5, s4
	s_mul_i32 s25, s25, s28
	s_add_i32 s4, s4, s25
	s_mul_i32 s9, s9, s28
	s_mul_hi_u32 s25, s26, s9
	s_mul_i32 s27, s26, s9
	s_mul_i32 s30, s28, s4
	s_mul_hi_u32 s9, s28, s9
	s_mul_hi_u32 s29, s28, s4
	s_add_u32 s9, s9, s30
	s_addc_u32 s29, 0, s29
	s_add_u32 s9, s9, s27
	s_mul_hi_u32 s5, s26, s4
	s_addc_u32 s9, s29, s25
	s_addc_u32 s5, s5, 0
	s_mul_i32 s4, s26, s4
	s_add_u32 s4, s9, s4
	s_addc_u32 s9, 0, s5
	s_add_u32 s25, s28, s4
	s_cselect_b64 s[4:5], -1, 0
	s_cmp_lg_u64 s[4:5], 0
	s_addc_u32 s9, s26, s9
	s_ashr_i32 s4, s1, 31
	s_add_u32 s26, s8, s4
	s_mov_b32 s5, s4
	s_addc_u32 s27, s1, s4
	s_xor_b64 s[26:27], s[26:27], s[4:5]
	s_mul_i32 s28, s26, s9
	s_mul_hi_u32 s29, s26, s25
	s_mul_hi_u32 s1, s26, s9
	s_add_u32 s28, s29, s28
	s_addc_u32 s1, 0, s1
	s_mul_hi_u32 s30, s27, s25
	s_mul_i32 s25, s27, s25
	s_add_u32 s25, s28, s25
	s_mul_hi_u32 s29, s27, s9
	s_addc_u32 s1, s1, s30
	s_addc_u32 s25, s29, 0
	s_mul_i32 s9, s27, s9
	s_add_u32 s1, s1, s9
	s_addc_u32 s9, 0, s25
	s_mul_i32 s25, s2, s9
	s_mul_hi_u32 s28, s2, s1
	s_add_i32 s25, s28, s25
	s_mul_i32 s28, s3, s1
	s_add_i32 s25, s25, s28
	s_sub_i32 s30, s27, s25
	s_mul_i32 s28, s2, s1
	s_sub_u32 s26, s26, s28
	s_cselect_b64 s[28:29], -1, 0
	s_cmp_lg_u64 s[28:29], 0
	s_subb_u32 s33, s30, s3
	s_sub_u32 s34, s26, s2
	s_cselect_b64 s[30:31], -1, 0
	s_cmp_lg_u64 s[30:31], 0
	s_subb_u32 s30, s33, 0
	s_cmp_ge_u32 s30, s3
	s_cselect_b32 s31, -1, 0
	s_cmp_ge_u32 s34, s2
	s_cselect_b32 s33, -1, 0
	s_cmp_eq_u32 s30, s3
	s_cselect_b32 s30, s33, s31
	s_add_u32 s31, s1, 1
	s_addc_u32 s33, s9, 0
	s_add_u32 s34, s1, 2
	s_addc_u32 s35, s9, 0
	s_cmp_lg_u32 s30, 0
	s_cselect_b32 s30, s34, s31
	s_cselect_b32 s31, s35, s33
	s_cmp_lg_u64 s[28:29], 0
	s_subb_u32 s25, s27, s25
	s_cmp_ge_u32 s25, s3
	s_cselect_b32 s27, -1, 0
	s_cmp_ge_u32 s26, s2
	s_cselect_b32 s2, -1, 0
	s_cmp_eq_u32 s25, s3
	s_cselect_b32 s2, s2, s27
	s_cmp_lg_u32 s2, 0
	s_cselect_b32 s3, s31, s9
	s_cselect_b32 s2, s30, s1
	s_xor_b64 s[4:5], s[4:5], 0
	s_xor_b64 s[2:3], s[2:3], s[4:5]
	s_sub_u32 s4, s2, s4
	s_cbranch_execnz .LBB16_11
.LBB16_10:
	s_sub_i32 s1, 0, s22
	v_readfirstlane_b32 s2, v7
	s_mul_i32 s1, s1, s2
	s_mul_hi_u32 s1, s2, s1
	s_add_i32 s2, s2, s1
	s_mul_hi_u32 s1, s8, s2
	s_mul_i32 s3, s1, s22
	s_sub_i32 s3, s8, s3
	s_add_i32 s2, s1, 1
	s_sub_i32 s4, s3, s22
	s_cmp_ge_u32 s3, s22
	s_cselect_b32 s1, s2, s1
	s_cselect_b32 s3, s4, s3
	s_add_i32 s2, s1, 1
	s_cmp_ge_u32 s3, s22
	s_cselect_b32 s4, s2, s1
.LBB16_11:
	s_cmp_lg_u32 s6, s4
	s_cbranch_scc0 .LBB16_15
; %bb.12:
	s_add_i32 s1, s24, s22
	s_lshl_b32 s1, s1, 5
	s_add_i32 s2, s1, s15
	s_mov_b32 s3, s0
	s_lshl_b64 s[2:3], s[2:3], 3
	s_add_u32 s8, s18, s2
	s_mul_hi_u32 s1, s4, s12
	s_addc_u32 s9, s19, s3
	s_add_i32 s1, s1, s4
	s_lshr_b32 s1, s1, s13
	s_mul_i32 s2, s1, s14
	s_cmp_eq_u32 s2, s4
	s_cselect_b64 s[2:3], -1, 0
	s_cmp_lt_u32 s1, s7
	s_cselect_b64 s[26:27], -1, 0
	s_or_b64 s[26:27], s[26:27], s[2:3]
	s_mov_b64 s[2:3], -1
	s_and_b64 vcc, exec, s[26:27]
	s_mov_b32 s1, s24
	s_mov_b32 s25, s6
	s_cbranch_vccnz .LBB16_14
; %bb.13:
	s_add_i32 s1, s24, -1
	s_mov_b64 s[2:3], 0
	s_mov_b32 s25, s4
.LBB16_14:
	v_lshl_add_u32 v4, s24, 14, v6
	v_ashrrev_i32_e32 v5, 31, v4
	v_lshl_add_u64 v[4:5], v[4:5], 2, s[16:17]
	global_load_dword v5, v[4:5], off
	s_load_dwordx2 s[4:5], s[8:9], 0x0
	v_max_f32_e32 v4, v9, v9
	s_waitcnt lgkmcnt(0)
	v_max_f32_e64 v10, s4, s4
	v_max_f32_e32 v10, v4, v10
	v_sub_f32_e32 v11, v9, v10
	v_sub_f32_e32 v13, s4, v10
	v_mul_f32_e32 v4, 0x3fb8aa3b, v11
	v_mul_f32_e32 v12, 0x3fb8aa3b, v13
	v_fma_f32 v14, v11, s10, -v4
	v_rndne_f32_e32 v15, v4
	v_fma_f32 v16, v13, s10, -v12
	v_rndne_f32_e32 v17, v12
	v_fmac_f32_e32 v14, 0x32a5705f, v11
	v_sub_f32_e32 v4, v4, v15
	v_fmac_f32_e32 v16, 0x32a5705f, v13
	v_sub_f32_e32 v12, v12, v17
	v_add_f32_e32 v4, v4, v14
	v_cvt_i32_f32_e32 v15, v15
	v_add_f32_e32 v12, v12, v16
	v_exp_f32_e32 v14, v4
	v_cvt_i32_f32_e32 v17, v17
	v_exp_f32_e32 v12, v12
	v_cmp_ngt_f32_e32 vcc, s20, v11
	v_ldexp_f32 v14, v14, v15
	v_mov_b32_e32 v4, s5
	v_ldexp_f32 v12, v12, v17
	v_cndmask_b32_e32 v14, 0, v14, vcc
	v_cmp_ngt_f32_e32 vcc, s20, v13
	s_nop 1
	v_cndmask_b32_e32 v12, 0, v12, vcc
	v_cmp_nlt_f32_e32 vcc, s21, v11
	s_nop 1
	v_cndmask_b32_e32 v14, v8, v14, vcc
	v_cmp_nlt_f32_e32 vcc, s21, v13
	s_nop 1
	v_cndmask_b32_e32 v15, v8, v12, vcc
	v_cmp_le_f32_e32 vcc, s23, v11
	s_nop 1
	v_cndmask_b32_e32 v12, 0, v14, vcc
	v_cmp_le_f32_e32 vcc, s23, v13
	s_nop 1
	v_cndmask_b32_e32 v14, 0, v15, vcc
	s_waitcnt vmcnt(0)
	v_pk_mul_f32 v[4:5], v[4:5], v[14:15] op_sel_hi:[1,0]
	s_nop 0
	v_pk_fma_f32 v[4:5], v[0:1], v[12:13], v[4:5] op_sel_hi:[1,0,1]
	s_cbranch_execz .LBB16_16
	s_branch .LBB16_17
.LBB16_15:
                                        ; implicit-def: $vgpr4_vgpr5
                                        ; implicit-def: $sgpr2_sgpr3
                                        ; implicit-def: $vgpr10
                                        ; implicit-def: $sgpr1
                                        ; implicit-def: $sgpr25
.LBB16_16:
	s_add_i32 s1, s24, -1
	s_mov_b64 s[2:3], 0
	s_mov_b32 s25, s6
	v_mov_b32_e32 v10, v9
	s_waitcnt vmcnt(0)
	v_mov_b64_e32 v[4:5], v[0:1]
.LBB16_17:
	s_andn2_b64 vcc, exec, s[2:3]
	s_cbranch_vccz .LBB16_22
; %bb.18:
	s_mov_b32 s6, s25
	s_mov_b32 s24, s1
	v_mov_b32_e32 v9, v10
	s_waitcnt vmcnt(0)
	v_mov_b64_e32 v[0:1], v[4:5]
	s_mul_hi_i32 s1, s24, s11
	s_cmp_lg_u64 s[0:1], 0
	s_mul_i32 s8, s24, s11
	s_cbranch_scc1 .LBB16_9
.LBB16_19:
                                        ; implicit-def: $sgpr4_sgpr5
	s_branch .LBB16_10
.LBB16_20:
                                        ; implicit-def: $sgpr6_sgpr7
	s_load_dwordx4 s[12:15], s[0:1], 0x44
	s_branch .LBB16_2
.LBB16_21:
                                        ; implicit-def: $sgpr18_sgpr19
	s_branch .LBB16_5
.LBB16_22:
	v_div_scale_f32 v0, s[0:1], v4, v4, v5
	s_waitcnt vmcnt(0)
	v_rcp_f32_e32 v1, v0
	v_div_scale_f32 v6, vcc, v5, v4, v5
	v_fma_f32 v7, -v0, v1, 1.0
	v_fmac_f32_e32 v1, v7, v1
	v_mul_f32_e32 v7, v6, v1
	v_fma_f32 v8, -v0, v7, v6
	v_fmac_f32_e32 v7, v8, v1
	v_fma_f32 v0, -v0, v7, v6
	v_div_fmas_f32 v0, v0, v1, v7
	v_div_fixup_f32 v0, v0, v4, v5
	global_store_dword v[2:3], v0, off
.LBB16_23:
	s_endpgm
	.section	.rodata,"a",@progbits
	.p2align	6, 0x0
	.amdhsa_kernel _ZL33flash_attn_stream_k_fixup_generalILi512ELi8ELi4EEvPfPK15HIP_vector_typeIfLj2EEiiiiS1_IjLj3EES5_S5_S5_
		.amdhsa_group_segment_fixed_size 0
		.amdhsa_private_segment_fixed_size 0
		.amdhsa_kernarg_size 336
		.amdhsa_user_sgpr_count 2
		.amdhsa_user_sgpr_dispatch_ptr 0
		.amdhsa_user_sgpr_queue_ptr 0
		.amdhsa_user_sgpr_kernarg_segment_ptr 1
		.amdhsa_user_sgpr_dispatch_id 0
		.amdhsa_user_sgpr_kernarg_preload_length 0
		.amdhsa_user_sgpr_kernarg_preload_offset 0
		.amdhsa_user_sgpr_private_segment_size 0
		.amdhsa_uses_dynamic_stack 0
		.amdhsa_enable_private_segment 0
		.amdhsa_system_sgpr_workgroup_id_x 1
		.amdhsa_system_sgpr_workgroup_id_y 1
		.amdhsa_system_sgpr_workgroup_id_z 1
		.amdhsa_system_sgpr_workgroup_info 0
		.amdhsa_system_vgpr_workitem_id 0
		.amdhsa_next_free_vgpr 18
		.amdhsa_next_free_sgpr 36
		.amdhsa_accum_offset 20
		.amdhsa_reserve_vcc 1
		.amdhsa_float_round_mode_32 0
		.amdhsa_float_round_mode_16_64 0
		.amdhsa_float_denorm_mode_32 3
		.amdhsa_float_denorm_mode_16_64 3
		.amdhsa_dx10_clamp 1
		.amdhsa_ieee_mode 1
		.amdhsa_fp16_overflow 0
		.amdhsa_tg_split 0
		.amdhsa_exception_fp_ieee_invalid_op 0
		.amdhsa_exception_fp_denorm_src 0
		.amdhsa_exception_fp_ieee_div_zero 0
		.amdhsa_exception_fp_ieee_overflow 0
		.amdhsa_exception_fp_ieee_underflow 0
		.amdhsa_exception_fp_ieee_inexact 0
		.amdhsa_exception_int_div_zero 0
	.end_amdhsa_kernel
	.section	.text._ZL33flash_attn_stream_k_fixup_generalILi512ELi8ELi4EEvPfPK15HIP_vector_typeIfLj2EEiiiiS1_IjLj3EES5_S5_S5_,"axG",@progbits,_ZL33flash_attn_stream_k_fixup_generalILi512ELi8ELi4EEvPfPK15HIP_vector_typeIfLj2EEiiiiS1_IjLj3EES5_S5_S5_,comdat
.Lfunc_end16:
	.size	_ZL33flash_attn_stream_k_fixup_generalILi512ELi8ELi4EEvPfPK15HIP_vector_typeIfLj2EEiiiiS1_IjLj3EES5_S5_S5_, .Lfunc_end16-_ZL33flash_attn_stream_k_fixup_generalILi512ELi8ELi4EEvPfPK15HIP_vector_typeIfLj2EEiiiiS1_IjLj3EES5_S5_S5_
                                        ; -- End function
	.set _ZL33flash_attn_stream_k_fixup_generalILi512ELi8ELi4EEvPfPK15HIP_vector_typeIfLj2EEiiiiS1_IjLj3EES5_S5_S5_.num_vgpr, 18
	.set _ZL33flash_attn_stream_k_fixup_generalILi512ELi8ELi4EEvPfPK15HIP_vector_typeIfLj2EEiiiiS1_IjLj3EES5_S5_S5_.num_agpr, 0
	.set _ZL33flash_attn_stream_k_fixup_generalILi512ELi8ELi4EEvPfPK15HIP_vector_typeIfLj2EEiiiiS1_IjLj3EES5_S5_S5_.numbered_sgpr, 36
	.set _ZL33flash_attn_stream_k_fixup_generalILi512ELi8ELi4EEvPfPK15HIP_vector_typeIfLj2EEiiiiS1_IjLj3EES5_S5_S5_.num_named_barrier, 0
	.set _ZL33flash_attn_stream_k_fixup_generalILi512ELi8ELi4EEvPfPK15HIP_vector_typeIfLj2EEiiiiS1_IjLj3EES5_S5_S5_.private_seg_size, 0
	.set _ZL33flash_attn_stream_k_fixup_generalILi512ELi8ELi4EEvPfPK15HIP_vector_typeIfLj2EEiiiiS1_IjLj3EES5_S5_S5_.uses_vcc, 1
	.set _ZL33flash_attn_stream_k_fixup_generalILi512ELi8ELi4EEvPfPK15HIP_vector_typeIfLj2EEiiiiS1_IjLj3EES5_S5_S5_.uses_flat_scratch, 0
	.set _ZL33flash_attn_stream_k_fixup_generalILi512ELi8ELi4EEvPfPK15HIP_vector_typeIfLj2EEiiiiS1_IjLj3EES5_S5_S5_.has_dyn_sized_stack, 0
	.set _ZL33flash_attn_stream_k_fixup_generalILi512ELi8ELi4EEvPfPK15HIP_vector_typeIfLj2EEiiiiS1_IjLj3EES5_S5_S5_.has_recursion, 0
	.set _ZL33flash_attn_stream_k_fixup_generalILi512ELi8ELi4EEvPfPK15HIP_vector_typeIfLj2EEiiiiS1_IjLj3EES5_S5_S5_.has_indirect_call, 0
	.section	.AMDGPU.csdata,"",@progbits
; Kernel info:
; codeLenInByte = 2940
; TotalNumSgprs: 42
; NumVgprs: 18
; NumAgprs: 0
; TotalNumVgprs: 18
; ScratchSize: 0
; MemoryBound: 0
; FloatMode: 240
; IeeeMode: 1
; LDSByteSize: 0 bytes/workgroup (compile time only)
; SGPRBlocks: 5
; VGPRBlocks: 2
; NumSGPRsForWavesPerEU: 42
; NumVGPRsForWavesPerEU: 18
; AccumOffset: 20
; Occupancy: 8
; WaveLimiterHint : 0
; COMPUTE_PGM_RSRC2:SCRATCH_EN: 0
; COMPUTE_PGM_RSRC2:USER_SGPR: 2
; COMPUTE_PGM_RSRC2:TRAP_HANDLER: 0
; COMPUTE_PGM_RSRC2:TGID_X_EN: 1
; COMPUTE_PGM_RSRC2:TGID_Y_EN: 1
; COMPUTE_PGM_RSRC2:TGID_Z_EN: 1
; COMPUTE_PGM_RSRC2:TIDIG_COMP_CNT: 0
; COMPUTE_PGM_RSRC3_GFX90A:ACCUM_OFFSET: 4
; COMPUTE_PGM_RSRC3_GFX90A:TG_SPLIT: 0
	.section	.text._ZL15flash_attn_tileILi512ELi512ELi4ELi4ELb0EEvPKcS1_S1_S1_S1_PKiPfP15HIP_vector_typeIfLj2EEffffjfiS5_IjLj3EEiiiiiiiiiiiliiliiiiil,"axG",@progbits,_ZL15flash_attn_tileILi512ELi512ELi4ELi4ELb0EEvPKcS1_S1_S1_S1_PKiPfP15HIP_vector_typeIfLj2EEffffjfiS5_IjLj3EEiiiiiiiiiiiliiliiiiil,comdat
	.globl	_ZL15flash_attn_tileILi512ELi512ELi4ELi4ELb0EEvPKcS1_S1_S1_S1_PKiPfP15HIP_vector_typeIfLj2EEffffjfiS5_IjLj3EEiiiiiiiiiiiliiliiiiil ; -- Begin function _ZL15flash_attn_tileILi512ELi512ELi4ELi4ELb0EEvPKcS1_S1_S1_S1_PKiPfP15HIP_vector_typeIfLj2EEffffjfiS5_IjLj3EEiiiiiiiiiiiliiliiiiil
	.p2align	8
	.type	_ZL15flash_attn_tileILi512ELi512ELi4ELi4ELb0EEvPKcS1_S1_S1_S1_PKiPfP15HIP_vector_typeIfLj2EEffffjfiS5_IjLj3EEiiiiiiiiiiiliiliiiiil,@function
_ZL15flash_attn_tileILi512ELi512ELi4ELi4ELb0EEvPKcS1_S1_S1_S1_PKiPfP15HIP_vector_typeIfLj2EEffffjfiS5_IjLj3EEiiiiiiiiiiiliiliiiiil: ; @_ZL15flash_attn_tileILi512ELi512ELi4ELi4ELb0EEvPKcS1_S1_S1_S1_PKiPfP15HIP_vector_typeIfLj2EEffffjfiS5_IjLj3EEiiiiiiiiiiiliiliiiiil
; %bb.0:
	s_load_dwordx4 s[24:27], s[0:1], 0x5c
	s_load_dwordx2 s[28:29], s[0:1], 0x80
	s_load_dwordx16 s[36:51], s[0:1], 0x0
	s_mov_b64 s[30:31], 0
	s_waitcnt lgkmcnt(0)
	s_ashr_i32 s5, s27, 31
	s_lshr_b32 s5, s5, 30
	s_add_i32 s5, s27, s5
	s_ashr_i32 s5, s5, 2
	v_cvt_f32_u32_e32 v1, s5
	s_sub_i32 s6, 0, s5
	v_rcp_iflag_f32_e32 v1, v1
	s_nop 0
	v_mul_f32_e32 v1, 0x4f7ffffe, v1
	v_cvt_u32_f32_e32 v1, v1
	s_nop 0
	v_readfirstlane_b32 s7, v1
	s_mul_i32 s6, s6, s7
	s_mul_hi_u32 s6, s7, s6
	s_add_i32 s7, s7, s6
	s_mul_hi_u32 s6, s4, s7
	s_mul_i32 s7, s6, s5
	s_sub_i32 s7, s4, s7
	s_add_i32 s8, s6, 1
	s_sub_i32 s9, s7, s5
	s_cmp_ge_u32 s7, s5
	s_cselect_b32 s6, s8, s6
	s_cselect_b32 s7, s9, s7
	s_add_i32 s8, s6, 1
	s_cmp_ge_u32 s7, s5
	s_cselect_b32 s33, s8, s6
	s_abs_i32 s5, s29
	v_cvt_f32_u32_e32 v1, s5
	s_lshl_b32 s4, s4, 2
	s_mul_i32 s8, s33, s27
	s_xor_b32 s6, s27, s29
	v_rcp_iflag_f32_e32 v1, v1
	s_sub_i32 s9, 0, s5
	s_sub_i32 s29, s4, s8
	s_abs_i32 s7, s27
	v_mul_f32_e32 v1, 0x4f7ffffe, v1
	v_cvt_u32_f32_e32 v1, v1
	s_ashr_i32 s6, s6, 31
	v_readfirstlane_b32 s4, v1
	s_mul_i32 s9, s9, s4
	s_mul_hi_u32 s8, s4, s9
	s_add_i32 s4, s4, s8
	s_mul_hi_u32 s4, s7, s4
	s_mul_i32 s8, s4, s5
	s_sub_i32 s7, s7, s8
	s_add_i32 s9, s4, 1
	s_sub_i32 s8, s7, s5
	s_cmp_ge_u32 s7, s5
	s_cselect_b32 s4, s9, s4
	s_cselect_b32 s7, s8, s7
	s_add_i32 s8, s4, 1
	s_cmp_ge_u32 s7, s5
	s_cselect_b32 s4, s8, s4
	s_xor_b32 s4, s4, s6
	s_sub_i32 s9, s4, s6
	s_abs_i32 s8, s9
	v_cvt_f32_u32_e32 v1, s8
	s_load_dwordx2 s[4:5], s[0:1], 0xb8
	s_cmp_eq_u64 s[42:43], 0
	v_rcp_iflag_f32_e32 v1, v1
	s_nop 0
	v_mul_f32_e32 v1, 0x4f7ffffe, v1
	v_cvt_u32_f32_e32 v1, v1
	s_nop 0
	v_readfirstlane_b32 s10, v1
	s_cbranch_scc1 .LBB17_2
; %bb.1:
	s_waitcnt lgkmcnt(0)
	s_abs_i32 s4, s4
	v_cvt_f32_u32_e32 v1, s4
	s_sub_i32 s13, 0, s4
	s_abs_i32 s12, s33
	s_ashr_i32 s11, s33, 31
	v_rcp_iflag_f32_e32 v1, v1
	s_load_dwordx2 s[6:7], s[0:1], 0xc8
	v_mul_f32_e32 v1, 0x4f7ffffe, v1
	v_cvt_u32_f32_e32 v1, v1
	s_nop 0
	v_readfirstlane_b32 s14, v1
	s_mul_i32 s13, s13, s14
	s_mul_hi_u32 s13, s14, s13
	s_add_i32 s14, s14, s13
	s_mul_hi_u32 s13, s12, s14
	s_mul_i32 s13, s13, s4
	s_sub_i32 s12, s12, s13
	s_sub_i32 s13, s12, s4
	s_cmp_ge_u32 s12, s4
	s_cselect_b32 s12, s13, s12
	s_sub_i32 s13, s12, s4
	s_cmp_ge_u32 s12, s4
	s_cselect_b32 s4, s13, s12
	s_xor_b32 s4, s4, s11
	s_sub_i32 s4, s4, s11
	s_ashr_i32 s11, s4, 31
	s_waitcnt lgkmcnt(0)
	s_mul_hi_u32 s12, s6, s4
	s_mul_i32 s11, s6, s11
	s_mul_i32 s7, s7, s4
	s_add_i32 s11, s12, s11
	s_add_i32 s11, s11, s7
	s_mul_i32 s4, s6, s4
	s_add_u32 s30, s42, s4
	s_addc_u32 s31, s43, s11
.LBB17_2:
	s_load_dwordx4 s[12:15], s[0:1], 0x70
	v_lshrrev_b32_e32 v2, 10, v0
	v_bfe_u32 v2, v2, 1, 9
	v_lshl_add_u32 v5, s2, 2, v2
	v_mul_hi_u32 v2, s24, v5
	s_waitcnt lgkmcnt(0)
	s_mul_i32 s4, s33, s14
	s_ashr_i32 s7, s4, 31
	s_mul_i32 s6, s29, s13
	s_add_u32 s4, s36, s4
	s_addc_u32 s7, s37, s7
	s_ashr_i32 s11, s6, 31
	v_add_u32_e32 v2, v5, v2
	s_add_u32 s6, s4, s6
	v_lshrrev_b32_e32 v2, s25, v2
	s_addc_u32 s7, s7, s11
	s_ashr_i32 s15, s13, 31
	s_mov_b32 s14, s13
	v_mul_lo_u32 v2, v2, s26
	s_ashr_i32 s13, s12, 31
	v_sub_u32_e32 v2, v5, v2
	s_lshr_b64 s[18:19], s[12:13], 2
	v_mad_u64_u32 v[6:7], s[18:19], s18, v2, 0
	v_mov_b32_e32 v4, v7
	s_lshr_b32 s4, s13, 2
	v_bfe_u32 v1, v0, 10, 10
	v_mad_u64_u32 v[8:9], s[12:13], s4, v2, v[4:5]
	v_lshlrev_b32_e32 v3, 1, v1
	v_mov_b32_e32 v7, v8
	v_and_b32_e32 v4, 0x3ff, v0
	s_lshr_b64 s[16:17], s[14:15], 2
	v_mov_b32_e32 v9, 0
	v_lshl_add_u64 v[6:7], v[6:7], 2, s[6:7]
	v_lshlrev_b32_e32 v8, 4, v4
	v_and_b32_e32 v34, 2, v3
	s_lshr_b32 s4, s15, 2
	v_lshl_add_u64 v[22:23], v[6:7], 0, v[8:9]
	v_mul_lo_u32 v0, s4, v34
	v_mad_u64_u32 v[6:7], s[6:7], s16, v34, 0
	v_or_b32_e32 v7, v7, v0
	v_lshl_add_u64 v[24:25], v[6:7], 2, v[22:23]
	global_load_dwordx4 v[6:9], v[24:25], off
	global_load_dwordx4 v[10:13], v[24:25], off offset:512
	global_load_dwordx4 v[14:17], v[24:25], off offset:1024
	;; [unrolled: 1-line block ×3, first 2 shown]
	v_bitop3_b32 v26, v3, 3, 1 bitop3:0xc8
	v_mad_u64_u32 v[24:25], s[6:7], s16, v26, 0
	v_mov_b32_e32 v0, v25
	v_mad_u64_u32 v[26:27], s[6:7], s4, v26, v[0:1]
	v_mov_b32_e32 v25, v26
	v_lshl_add_u64 v[38:39], v[24:25], 2, v[22:23]
	global_load_dwordx4 v[22:25], v[38:39], off
	global_load_dwordx4 v[26:29], v[38:39], off offset:512
	global_load_dwordx4 v[30:33], v[38:39], off offset:1024
	s_load_dword s4, s[0:1], 0x40
	global_load_dwordx4 v[38:41], v[38:39], off offset:1536
	v_lshlrev_b32_e32 v0, 3, v4
	v_lshlrev_b32_e32 v36, 11, v1
	v_add_u32_e32 v35, v0, v36
	v_or_b32_e32 v3, 1, v3
	v_lshl_add_u32 v3, v3, 10, v0
	s_cmp_eq_u64 s[46:47], 0
	s_waitcnt vmcnt(7) lgkmcnt(0)
	v_fma_mixlo_f16 v6, s4, v6, 0
	v_fma_mixlo_f16 v7, s4, v7, 0
	;; [unrolled: 1-line block ×4, first 2 shown]
	s_waitcnt vmcnt(6)
	v_fma_mixlo_f16 v10, s4, v10, 0
	v_fma_mixlo_f16 v11, s4, v11, 0
	;; [unrolled: 1-line block ×4, first 2 shown]
	v_lshlrev_b32_e32 v7, 16, v7
	v_and_b32_e32 v6, 0xffff, v6
	v_lshlrev_b32_e32 v9, 16, v9
	v_and_b32_e32 v8, 0xffff, v8
	;; [unrolled: 2-line block ×3, first 2 shown]
	s_waitcnt vmcnt(5)
	v_fma_mixlo_f16 v14, s4, v14, 0
	v_fma_mixlo_f16 v15, s4, v15, 0
	s_waitcnt vmcnt(4)
	v_fma_mixlo_f16 v18, s4, v18, 0
	v_fma_mixlo_f16 v19, s4, v19, 0
	v_lshlrev_b32_e32 v13, 16, v13
	v_and_b32_e32 v12, 0xffff, v12
	v_or_b32_e32 v6, v7, v6
	v_or3_b32 v7, v9, v8, 0
	v_or_b32_e32 v8, v11, v10
	v_fma_mixlo_f16 v16, s4, v16, 0
	v_fma_mixlo_f16 v17, s4, v17, 0
	;; [unrolled: 1-line block ×4, first 2 shown]
	v_lshlrev_b32_e32 v15, 16, v15
	v_and_b32_e32 v14, 0xffff, v14
	v_lshlrev_b32_e32 v19, 16, v19
	v_and_b32_e32 v18, 0xffff, v18
	v_or3_b32 v9, v13, v12, 0
	v_or3_b32 v6, 0, 0, v6
	;; [unrolled: 1-line block ×3, first 2 shown]
	v_lshlrev_b32_e32 v17, 16, v17
	v_and_b32_e32 v16, 0xffff, v16
	v_or_b32_e32 v10, v15, v14
	v_or_b32_e32 v12, v19, v18
	ds_write2_b64 v35, v[6:7], v[8:9] offset1:32
	v_lshlrev_b32_e32 v6, 16, v21
	v_and_b32_e32 v7, 0xffff, v20
	v_or3_b32 v11, v17, v16, 0
	v_or3_b32 v10, 0, 0, v10
	;; [unrolled: 1-line block ×4, first 2 shown]
	ds_write2_b64 v35, v[10:11], v[6:7] offset0:64 offset1:96
	s_waitcnt vmcnt(3)
	v_fma_mixlo_f16 v6, s4, v22, 0
	v_fma_mixlo_f16 v7, s4, v23, 0
	v_lshlrev_b32_e32 v7, 16, v7
	v_and_b32_e32 v6, 0xffff, v6
	v_or_b32_e32 v6, v7, v6
	v_fma_mixlo_f16 v7, s4, v24, 0
	v_fma_mixlo_f16 v8, s4, v25, 0
	v_lshlrev_b32_e32 v8, 16, v8
	v_and_b32_e32 v7, 0xffff, v7
	v_or3_b32 v7, v8, v7, 0
	s_waitcnt vmcnt(2)
	v_fma_mixlo_f16 v8, s4, v26, 0
	v_fma_mixlo_f16 v9, s4, v27, 0
	v_lshlrev_b32_e32 v9, 16, v9
	v_and_b32_e32 v8, 0xffff, v8
	v_or_b32_e32 v8, v9, v8
	v_fma_mixlo_f16 v9, s4, v28, 0
	v_fma_mixlo_f16 v10, s4, v29, 0
	v_lshlrev_b32_e32 v10, 16, v10
	v_and_b32_e32 v9, 0xffff, v9
	v_or3_b32 v6, 0, 0, v6
	v_or3_b32 v9, v10, v9, 0
	;; [unrolled: 1-line block ×3, first 2 shown]
	ds_write2_b64 v3, v[6:7], v[8:9] offset1:32
	s_waitcnt vmcnt(1)
	v_fma_mixlo_f16 v6, s4, v30, 0
	v_fma_mixlo_f16 v7, s4, v31, 0
	v_lshlrev_b32_e32 v7, 16, v7
	v_and_b32_e32 v6, 0xffff, v6
	v_or_b32_e32 v6, v7, v6
	v_fma_mixlo_f16 v7, s4, v32, 0
	v_fma_mixlo_f16 v8, s4, v33, 0
	v_lshlrev_b32_e32 v8, 16, v8
	v_and_b32_e32 v7, 0xffff, v7
	v_or3_b32 v7, v8, v7, 0
	s_waitcnt vmcnt(0)
	v_fma_mixlo_f16 v8, s4, v38, 0
	v_fma_mixlo_f16 v9, s4, v39, 0
	v_lshlrev_b32_e32 v9, 16, v9
	v_and_b32_e32 v8, 0xffff, v8
	v_or_b32_e32 v8, v9, v8
	v_fma_mixlo_f16 v9, s4, v40, 0
	v_fma_mixlo_f16 v10, s4, v41, 0
	v_lshlrev_b32_e32 v10, 16, v10
	v_and_b32_e32 v9, 0xffff, v9
	v_or3_b32 v6, 0, 0, v6
	v_or3_b32 v9, v10, v9, 0
	;; [unrolled: 1-line block ×3, first 2 shown]
	ds_write2_b64 v3, v[6:7], v[8:9] offset0:64 offset1:96
	s_waitcnt lgkmcnt(0)
	s_barrier
	s_cbranch_scc1 .LBB17_4
; %bb.3:
	s_load_dword s4, s[0:1], 0xd0
	s_mov_b32 s7, 0
	s_waitcnt lgkmcnt(0)
	s_mul_i32 s4, s4, s33
	s_add_i32 s6, s4, s2
	s_lshl_b64 s[6:7], s[6:7], 2
	s_add_u32 s6, s46, s6
	s_addc_u32 s7, s47, s7
	s_load_dword s28, s[6:7], 0x0
.LBB17_4:
	s_lshl_b32 s2, s3, 6
	v_lshlrev_b32_e32 v35, 2, v4
	s_waitcnt lgkmcnt(0)
	s_cmp_lt_i32 s2, s28
	v_mbcnt_lo_u32_b32 v3, -1, 0
	s_cbranch_scc1 .LBB17_7
; %bb.5:
	v_mbcnt_hi_u32_b32 v15, -1, v3
	v_and_b32_e32 v6, 0x60, v15
	v_add_u32_e32 v37, 32, v6
	v_xor_b32_e32 v42, 16, v15
	v_xor_b32_e32 v41, 8, v15
	v_xor_b32_e32 v40, 4, v15
	v_xor_b32_e32 v39, 2, v15
	v_xor_b32_e32 v38, 1, v15
	s_cbranch_execz .LBB17_8
; %bb.6:
	v_mov_b32_e32 v7, 0
	v_mov_b32_e32 v19, 0xfeffffff
	;; [unrolled: 1-line block ×20, first 2 shown]
	s_branch .LBB17_10
.LBB17_7:
                                        ; implicit-def: $vgpr15
                                        ; implicit-def: $vgpr37
                                        ; implicit-def: $vgpr42
                                        ; implicit-def: $vgpr41
                                        ; implicit-def: $vgpr40
                                        ; implicit-def: $vgpr39
                                        ; implicit-def: $vgpr38
.LBB17_8:
	s_load_dwordx2 s[6:7], s[0:1], 0x8c
	s_load_dwordx4 s[12:15], s[0:1], 0x98
	s_sub_i32 s4, 0, s8
	s_mul_i32 s4, s4, s10
	s_mul_hi_u32 s4, s10, s4
	s_waitcnt lgkmcnt(0)
	s_ashr_i32 s37, s6, 2
	s_ashr_i32 s36, s14, 2
	;; [unrolled: 1-line block ×4, first 2 shown]
	s_mul_hi_u32 s6, s12, s33
	s_mul_i32 s18, s12, s5
	s_abs_i32 s16, s29
	s_add_i32 s10, s10, s4
	s_add_i32 s6, s6, s18
	s_mul_i32 s13, s13, s33
	s_mul_hi_u32 s4, s16, s10
	s_ashr_i32 s17, s29, 31
	s_ashr_i32 s9, s9, 31
	s_add_i32 s6, s6, s13
	s_mul_i32 s12, s12, s33
	s_add_u32 s12, s38, s12
	s_mul_i32 s13, s4, s8
	s_addc_u32 s6, s39, s6
	s_sub_i32 s13, s16, s13
	s_xor_b32 s9, s17, s9
	s_add_i32 s16, s4, 1
	s_sub_i32 s17, s13, s8
	s_cmp_ge_u32 s13, s8
	s_cselect_b32 s4, s16, s4
	s_cselect_b32 s13, s17, s13
	s_add_i32 s16, s4, 1
	s_cmp_ge_u32 s13, s8
	s_cselect_b32 s4, s16, s4
	s_load_dwordx2 s[10:11], s[0:1], 0xa8
	s_xor_b32 s4, s4, s9
	s_sub_i32 s4, s4, s9
	s_mul_i32 s7, s4, s7
	s_ashr_i32 s8, s7, 31
	s_add_u32 s38, s12, s7
	s_addc_u32 s39, s6, s8
	s_waitcnt lgkmcnt(0)
	s_mul_hi_u32 s6, s10, s33
	s_mul_i32 s5, s10, s5
	s_add_i32 s5, s6, s5
	s_mul_i32 s6, s11, s33
	s_add_i32 s5, s5, s6
	s_mul_i32 s6, s10, s33
	s_add_u32 s6, s40, s6
	s_mul_i32 s4, s4, s15
	v_lshrrev_b32_e32 v6, 3, v4
	s_addc_u32 s5, s41, s5
	s_ashr_i32 s7, s4, 31
	v_lshl_add_u32 v7, v1, 2, v6
	v_and_b32_e32 v6, 28, v35
	s_add_u32 s4, s6, s4
	v_lshlrev_b32_e32 v8, 2, v6
	s_movk_i32 s6, 0x90
	v_mad_u32_u24 v8, v7, s6, v8
	v_mul_lo_u32 v10, s37, v7
	v_mov_b32_e32 v7, 0x4000
	s_addc_u32 s5, s5, s7
	v_mad_u32_u24 v45, v4, s6, v7
	v_mad_u64_u32 v[14:15], s[6:7], v2, s14, v[4:5]
	v_mul_lo_u32 v16, s36, v1
	v_add_u32_e32 v43, 0x4000, v8
	v_add_u32_e32 v44, 0x5200, v8
	v_mov_b32_e32 v2, 0x6400
	v_lshlrev_b32_e32 v8, 2, v35
	v_ashrrev_i32_e32 v17, 31, v16
	v_mbcnt_hi_u32_b32 v15, -1, v3
	v_mov_b32_e32 v9, 0
	v_lshl_add_u32 v12, s37, 5, v10
	v_lshl_add_u32 v46, v1, 8, v2
	;; [unrolled: 1-line block ×3, first 2 shown]
	v_lshl_add_u64 v[16:17], v[16:17], 2, s[4:5]
	v_or_b32_e32 v49, 0x4000, v0
	s_add_u32 s34, s0, 0xd0
	v_mov_b32_e32 v18, 0xfeffffff
	v_and_b32_e32 v0, 0x60, v15
	v_ashrrev_i32_e32 v11, 31, v10
	v_ashrrev_i32_e32 v13, 31, v12
	v_add_u32_e32 v47, 0x4000, v2
	v_add_u32_e32 v48, 0x4200, v2
	s_addc_u32 s35, s1, 0
	v_lshl_add_u64 v[16:17], v[16:17], 0, v[8:9]
	v_lshlrev_b32_e32 v8, 2, v6
	v_add_u32_e32 v37, 32, v0
	v_xor_b32_e32 v42, 16, v15
	v_xor_b32_e32 v41, 8, v15
	;; [unrolled: 1-line block ×5, first 2 shown]
	s_mov_b32 s40, 0x3fb8aa3b
	s_mov_b32 s41, 0xc2ce8ed0
	;; [unrolled: 1-line block ×3, first 2 shown]
	v_mov_b32_e32 v50, 0x7f800000
	s_mov_b32 s43, 0x10001
	v_add_u32_e32 v51, v46, v35
	v_add_u32_e32 v52, 0x800, v49
	v_add_u32_e32 v53, 0x1000, v49
	v_add_u32_e32 v54, 0x1800, v49
	v_mov_b32_e32 v55, v9
	v_mov_b32_e32 v56, v9
	;; [unrolled: 1-line block ×19, first 2 shown]
.LBB17_9:                               ; =>This Inner Loop Header: Depth=1
	s_mul_hi_i32 s13, s2, s37
	s_mul_i32 s12, s2, s37
	v_cmp_lt_i32_e64 s[4:5], v40, v37
	v_cmp_lt_i32_e32 vcc, v42, v37
	v_cmp_lt_i32_e64 s[10:11], v41, v37
	v_cndmask_b32_e64 v20, v15, v40, s[4:5]
	s_lshl_b64 s[4:5], s[12:13], 2
	s_add_u32 s4, s38, s4
	v_mov_b32_e32 v71, v19
	v_mov_b32_e32 v72, v18
	v_cmp_lt_i32_e64 s[6:7], v39, v37
	v_cndmask_b32_e32 v18, v15, v42, vcc
	v_cndmask_b32_e64 v19, v15, v41, s[10:11]
	s_addc_u32 s5, s39, s5
	v_cmp_lt_i32_e64 s[8:9], v38, v37
	v_cndmask_b32_e64 v21, v15, v39, s[6:7]
	v_lshlrev_b32_e32 v81, 2, v18
	v_lshlrev_b32_e32 v80, 2, v19
	v_lshl_add_u64 v[18:19], v[10:11], 2, s[4:5]
	v_cndmask_b32_e64 v22, v15, v38, s[8:9]
	v_lshlrev_b32_e32 v79, 2, v20
	v_lshlrev_b32_e32 v78, 2, v21
	v_lshl_add_u64 v[20:21], v[12:13], 2, s[4:5]
	v_lshl_add_u64 v[18:19], v[18:19], 0, v[8:9]
	v_lshlrev_b32_e32 v77, 2, v22
	v_lshl_add_u64 v[22:23], v[20:21], 0, v[8:9]
	global_load_dwordx4 v[24:27], v[18:19], off
	global_load_dwordx4 v[28:31], v[22:23], off
	v_mov_b32_e32 v73, 0
	v_mov_b32_e32 v74, 0
	;; [unrolled: 1-line block ×4, first 2 shown]
	v_add_u32_e32 v2, s2, v14
	v_ashrrev_i32_e32 v3, 31, v2
	v_lshl_add_u64 v[2:3], v[2:3], 1, s[30:31]
	s_mul_hi_i32 s15, s2, s36
	s_mul_i32 s14, s2, s36
	v_lshl_add_u64 v[0:1], s[14:15], 2, v[16:17]
	s_or_b32 s7, s2, 16
	s_or_b32 s8, s2, 24
	s_mul_hi_i32 s13, s7, s36
	s_mul_i32 s12, s7, s36
	s_or_b32 s17, s2, 48
	s_mul_hi_i32 s15, s8, s36
	s_mul_i32 s14, s8, s36
	v_lshl_add_u64 v[32:33], s[12:13], 2, v[16:17]
	s_or_b32 s6, s2, 8
	s_or_b32 s10, s2, 32
	;; [unrolled: 1-line block ×4, first 2 shown]
	s_mul_hi_i32 s5, s17, s36
	s_mul_i32 s4, s17, s36
	s_mul_hi_i32 s19, s6, s36
	s_mul_i32 s18, s6, s36
	s_mul_hi_i32 s9, s10, s36
	s_mul_i32 s8, s10, s36
	s_mul_hi_i32 s11, s16, s36
	s_mul_i32 s10, s16, s36
	s_mul_hi_i32 s7, s20, s36
	s_mul_i32 s6, s20, s36
	v_lshl_add_u64 v[20:21], s[18:19], 2, v[16:17]
	s_waitcnt vmcnt(1)
	ds_write_b128 v43, v[24:27]
	s_waitcnt vmcnt(0)
	ds_write_b128 v44, v[28:31]
	s_waitcnt lgkmcnt(0)
	s_barrier
	ds_read_b128 v[24:27], v36
	ds_read_b128 v[28:31], v45
	ds_read_b128 v[82:85], v45 offset:4608
	ds_read_b128 v[86:89], v36 offset:1024
	s_waitcnt lgkmcnt(2)
	;;#ASMSTART
	v_dot2_f32_f16 v73, v28, v24, v73
	;;#ASMEND
	s_nop 0
	;;#ASMSTART
	v_dot2_f32_f16 v73, v29, v25, v73
	;;#ASMEND
	s_nop 0
	;; [unrolled: 4-line block ×3, first 2 shown]
	;;#ASMSTART
	v_dot2_f32_f16 v73, v31, v27, v73
	;;#ASMEND
	s_waitcnt lgkmcnt(0)
	;;#ASMSTART
	v_dot2_f32_f16 v74, v28, v86, v74
	;;#ASMEND
	s_nop 0
	;;#ASMSTART
	v_dot2_f32_f16 v74, v29, v87, v74
	;;#ASMEND
	s_nop 0
	;;#ASMSTART
	v_dot2_f32_f16 v74, v30, v88, v74
	;;#ASMEND
	s_nop 0
	;;#ASMSTART
	v_dot2_f32_f16 v74, v31, v89, v74
	;;#ASMEND
	;;#ASMSTART
	v_dot2_f32_f16 v75, v82, v24, v75
	;;#ASMEND
	s_nop 0
	;;#ASMSTART
	v_dot2_f32_f16 v75, v83, v25, v75
	;;#ASMEND
	s_nop 0
	;;#ASMSTART
	v_dot2_f32_f16 v75, v84, v26, v75
	;;#ASMEND
	s_nop 0
	;;#ASMSTART
	v_dot2_f32_f16 v75, v85, v27, v75
	;;#ASMEND
	;; [unrolled: 15-line block ×3, first 2 shown]
	ds_read_b128 v[24:27], v36 offset:16
	ds_read_b128 v[28:31], v45 offset:16
	;; [unrolled: 1-line block ×4, first 2 shown]
	s_waitcnt lgkmcnt(2)
	;;#ASMSTART
	v_dot2_f32_f16 v73, v28, v24, v73
	;;#ASMEND
	s_nop 0
	;;#ASMSTART
	v_dot2_f32_f16 v73, v29, v25, v73
	;;#ASMEND
	s_nop 0
	;; [unrolled: 4-line block ×3, first 2 shown]
	;;#ASMSTART
	v_dot2_f32_f16 v73, v31, v27, v73
	;;#ASMEND
	s_waitcnt lgkmcnt(0)
	;;#ASMSTART
	v_dot2_f32_f16 v74, v28, v86, v74
	;;#ASMEND
	s_nop 0
	;;#ASMSTART
	v_dot2_f32_f16 v74, v29, v87, v74
	;;#ASMEND
	s_nop 0
	;;#ASMSTART
	v_dot2_f32_f16 v74, v30, v88, v74
	;;#ASMEND
	s_nop 0
	;;#ASMSTART
	v_dot2_f32_f16 v74, v31, v89, v74
	;;#ASMEND
	;;#ASMSTART
	v_dot2_f32_f16 v75, v82, v24, v75
	;;#ASMEND
	s_nop 0
	;;#ASMSTART
	v_dot2_f32_f16 v75, v83, v25, v75
	;;#ASMEND
	s_nop 0
	;;#ASMSTART
	v_dot2_f32_f16 v75, v84, v26, v75
	;;#ASMEND
	s_nop 0
	;;#ASMSTART
	v_dot2_f32_f16 v75, v85, v27, v75
	;;#ASMEND
	;; [unrolled: 15-line block ×3, first 2 shown]
	ds_read_b128 v[24:27], v36 offset:32
	ds_read_b128 v[28:31], v45 offset:32
	;; [unrolled: 1-line block ×4, first 2 shown]
	s_waitcnt lgkmcnt(2)
	;;#ASMSTART
	v_dot2_f32_f16 v73, v28, v24, v73
	;;#ASMEND
	s_nop 0
	;;#ASMSTART
	v_dot2_f32_f16 v73, v29, v25, v73
	;;#ASMEND
	s_nop 0
	;; [unrolled: 4-line block ×3, first 2 shown]
	;;#ASMSTART
	v_dot2_f32_f16 v73, v31, v27, v73
	;;#ASMEND
	s_waitcnt lgkmcnt(0)
	;;#ASMSTART
	v_dot2_f32_f16 v74, v28, v86, v74
	;;#ASMEND
	s_nop 0
	;;#ASMSTART
	v_dot2_f32_f16 v74, v29, v87, v74
	;;#ASMEND
	s_nop 0
	;;#ASMSTART
	v_dot2_f32_f16 v74, v30, v88, v74
	;;#ASMEND
	s_nop 0
	;;#ASMSTART
	v_dot2_f32_f16 v74, v31, v89, v74
	;;#ASMEND
	;;#ASMSTART
	v_dot2_f32_f16 v75, v82, v24, v75
	;;#ASMEND
	s_nop 0
	;;#ASMSTART
	v_dot2_f32_f16 v75, v83, v25, v75
	;;#ASMEND
	s_nop 0
	;;#ASMSTART
	v_dot2_f32_f16 v75, v84, v26, v75
	;;#ASMEND
	s_nop 0
	;;#ASMSTART
	v_dot2_f32_f16 v75, v85, v27, v75
	;;#ASMEND
	;; [unrolled: 15-line block ×3, first 2 shown]
	ds_read_b128 v[24:27], v36 offset:48
	ds_read_b128 v[28:31], v45 offset:48
	;; [unrolled: 1-line block ×4, first 2 shown]
	s_waitcnt lgkmcnt(2)
	;;#ASMSTART
	v_dot2_f32_f16 v73, v28, v24, v73
	;;#ASMEND
	s_nop 0
	;;#ASMSTART
	v_dot2_f32_f16 v73, v29, v25, v73
	;;#ASMEND
	s_nop 0
	;; [unrolled: 4-line block ×3, first 2 shown]
	;;#ASMSTART
	v_dot2_f32_f16 v73, v31, v27, v73
	;;#ASMEND
	s_waitcnt lgkmcnt(0)
	;;#ASMSTART
	v_dot2_f32_f16 v74, v28, v86, v74
	;;#ASMEND
	s_nop 0
	;;#ASMSTART
	v_dot2_f32_f16 v74, v29, v87, v74
	;;#ASMEND
	s_nop 0
	;;#ASMSTART
	v_dot2_f32_f16 v74, v30, v88, v74
	;;#ASMEND
	s_nop 0
	;;#ASMSTART
	v_dot2_f32_f16 v74, v31, v89, v74
	;;#ASMEND
	;;#ASMSTART
	v_dot2_f32_f16 v75, v82, v24, v75
	;;#ASMEND
	s_nop 0
	;;#ASMSTART
	v_dot2_f32_f16 v75, v83, v25, v75
	;;#ASMEND
	s_nop 0
	;;#ASMSTART
	v_dot2_f32_f16 v75, v84, v26, v75
	;;#ASMEND
	s_nop 0
	;;#ASMSTART
	v_dot2_f32_f16 v75, v85, v27, v75
	;;#ASMEND
	;; [unrolled: 15-line block ×3, first 2 shown]
	ds_read_b128 v[24:27], v36 offset:64
	ds_read_b128 v[28:31], v45 offset:64
	;; [unrolled: 1-line block ×4, first 2 shown]
	s_waitcnt lgkmcnt(2)
	;;#ASMSTART
	v_dot2_f32_f16 v73, v28, v24, v73
	;;#ASMEND
	s_nop 0
	;;#ASMSTART
	v_dot2_f32_f16 v73, v29, v25, v73
	;;#ASMEND
	s_nop 0
	;; [unrolled: 4-line block ×3, first 2 shown]
	;;#ASMSTART
	v_dot2_f32_f16 v73, v31, v27, v73
	;;#ASMEND
	s_waitcnt lgkmcnt(0)
	;;#ASMSTART
	v_dot2_f32_f16 v74, v28, v86, v74
	;;#ASMEND
	s_nop 0
	;;#ASMSTART
	v_dot2_f32_f16 v74, v29, v87, v74
	;;#ASMEND
	s_nop 0
	;;#ASMSTART
	v_dot2_f32_f16 v74, v30, v88, v74
	;;#ASMEND
	s_nop 0
	;;#ASMSTART
	v_dot2_f32_f16 v74, v31, v89, v74
	;;#ASMEND
	;;#ASMSTART
	v_dot2_f32_f16 v75, v82, v24, v75
	;;#ASMEND
	s_nop 0
	;;#ASMSTART
	v_dot2_f32_f16 v75, v83, v25, v75
	;;#ASMEND
	s_nop 0
	;;#ASMSTART
	v_dot2_f32_f16 v75, v84, v26, v75
	;;#ASMEND
	s_nop 0
	;;#ASMSTART
	v_dot2_f32_f16 v75, v85, v27, v75
	;;#ASMEND
	;; [unrolled: 15-line block ×3, first 2 shown]
	ds_read_b128 v[24:27], v36 offset:80
	ds_read_b128 v[28:31], v45 offset:80
	;; [unrolled: 1-line block ×4, first 2 shown]
	s_waitcnt lgkmcnt(2)
	;;#ASMSTART
	v_dot2_f32_f16 v73, v28, v24, v73
	;;#ASMEND
	s_nop 0
	;;#ASMSTART
	v_dot2_f32_f16 v73, v29, v25, v73
	;;#ASMEND
	s_nop 0
	;; [unrolled: 4-line block ×3, first 2 shown]
	;;#ASMSTART
	v_dot2_f32_f16 v73, v31, v27, v73
	;;#ASMEND
	s_waitcnt lgkmcnt(0)
	;;#ASMSTART
	v_dot2_f32_f16 v74, v28, v86, v74
	;;#ASMEND
	s_nop 0
	;;#ASMSTART
	v_dot2_f32_f16 v74, v29, v87, v74
	;;#ASMEND
	s_nop 0
	;;#ASMSTART
	v_dot2_f32_f16 v74, v30, v88, v74
	;;#ASMEND
	s_nop 0
	;;#ASMSTART
	v_dot2_f32_f16 v74, v31, v89, v74
	;;#ASMEND
	;;#ASMSTART
	v_dot2_f32_f16 v75, v82, v24, v75
	;;#ASMEND
	s_nop 0
	;;#ASMSTART
	v_dot2_f32_f16 v75, v83, v25, v75
	;;#ASMEND
	s_nop 0
	;;#ASMSTART
	v_dot2_f32_f16 v75, v84, v26, v75
	;;#ASMEND
	s_nop 0
	;;#ASMSTART
	v_dot2_f32_f16 v75, v85, v27, v75
	;;#ASMEND
	;; [unrolled: 15-line block ×3, first 2 shown]
	ds_read_b128 v[24:27], v36 offset:96
	ds_read_b128 v[28:31], v45 offset:96
	ds_read_b128 v[82:85], v45 offset:4704
	ds_read_b128 v[86:89], v36 offset:1120
	s_waitcnt lgkmcnt(2)
	;;#ASMSTART
	v_dot2_f32_f16 v73, v28, v24, v73
	;;#ASMEND
	s_nop 0
	;;#ASMSTART
	v_dot2_f32_f16 v73, v29, v25, v73
	;;#ASMEND
	s_nop 0
	;; [unrolled: 4-line block ×3, first 2 shown]
	;;#ASMSTART
	v_dot2_f32_f16 v73, v31, v27, v73
	;;#ASMEND
	s_waitcnt lgkmcnt(0)
	;;#ASMSTART
	v_dot2_f32_f16 v74, v28, v86, v74
	;;#ASMEND
	s_nop 0
	;;#ASMSTART
	v_dot2_f32_f16 v74, v29, v87, v74
	;;#ASMEND
	s_nop 0
	;;#ASMSTART
	v_dot2_f32_f16 v74, v30, v88, v74
	;;#ASMEND
	s_nop 0
	;;#ASMSTART
	v_dot2_f32_f16 v74, v31, v89, v74
	;;#ASMEND
	;;#ASMSTART
	v_dot2_f32_f16 v75, v82, v24, v75
	;;#ASMEND
	s_nop 0
	;;#ASMSTART
	v_dot2_f32_f16 v75, v83, v25, v75
	;;#ASMEND
	s_nop 0
	;;#ASMSTART
	v_dot2_f32_f16 v75, v84, v26, v75
	;;#ASMEND
	s_nop 0
	;;#ASMSTART
	v_dot2_f32_f16 v75, v85, v27, v75
	;;#ASMEND
	;; [unrolled: 15-line block ×3, first 2 shown]
	ds_read_b128 v[24:27], v36 offset:112
	ds_read_b128 v[28:31], v45 offset:112
	;; [unrolled: 1-line block ×4, first 2 shown]
	s_waitcnt lgkmcnt(2)
	;;#ASMSTART
	v_dot2_f32_f16 v73, v28, v24, v73
	;;#ASMEND
	s_nop 0
	;;#ASMSTART
	v_dot2_f32_f16 v73, v29, v25, v73
	;;#ASMEND
	s_nop 0
	;; [unrolled: 4-line block ×3, first 2 shown]
	;;#ASMSTART
	v_dot2_f32_f16 v73, v31, v27, v73
	;;#ASMEND
	s_waitcnt lgkmcnt(0)
	;;#ASMSTART
	v_dot2_f32_f16 v74, v28, v86, v74
	;;#ASMEND
	s_nop 0
	;;#ASMSTART
	v_dot2_f32_f16 v74, v29, v87, v74
	;;#ASMEND
	s_nop 0
	;;#ASMSTART
	v_dot2_f32_f16 v74, v30, v88, v74
	;;#ASMEND
	s_nop 0
	;;#ASMSTART
	v_dot2_f32_f16 v74, v31, v89, v74
	;;#ASMEND
	;;#ASMSTART
	v_dot2_f32_f16 v75, v82, v24, v75
	;;#ASMEND
	s_nop 0
	;;#ASMSTART
	v_dot2_f32_f16 v75, v83, v25, v75
	;;#ASMEND
	s_nop 0
	;;#ASMSTART
	v_dot2_f32_f16 v75, v84, v26, v75
	;;#ASMEND
	s_nop 0
	;;#ASMSTART
	v_dot2_f32_f16 v75, v85, v27, v75
	;;#ASMEND
	;; [unrolled: 15-line block ×3, first 2 shown]
	s_barrier
	global_load_dwordx4 v[24:27], v[18:19], off offset:128
	global_load_dwordx4 v[28:31], v[22:23], off offset:128
	s_waitcnt vmcnt(1)
	ds_write_b128 v43, v[24:27]
	s_waitcnt vmcnt(0)
	ds_write_b128 v44, v[28:31]
	s_waitcnt lgkmcnt(0)
	s_barrier
	ds_read_b128 v[24:27], v36 offset:128
	ds_read_b128 v[28:31], v45
	ds_read_b128 v[82:85], v45 offset:4608
	ds_read_b128 v[86:89], v36 offset:1152
	s_waitcnt lgkmcnt(2)
	;;#ASMSTART
	v_dot2_f32_f16 v73, v28, v24, v73
	;;#ASMEND
	s_nop 0
	;;#ASMSTART
	v_dot2_f32_f16 v73, v29, v25, v73
	;;#ASMEND
	s_nop 0
	;; [unrolled: 4-line block ×3, first 2 shown]
	;;#ASMSTART
	v_dot2_f32_f16 v73, v31, v27, v73
	;;#ASMEND
	s_waitcnt lgkmcnt(0)
	;;#ASMSTART
	v_dot2_f32_f16 v74, v28, v86, v74
	;;#ASMEND
	s_nop 0
	;;#ASMSTART
	v_dot2_f32_f16 v74, v29, v87, v74
	;;#ASMEND
	s_nop 0
	;;#ASMSTART
	v_dot2_f32_f16 v74, v30, v88, v74
	;;#ASMEND
	s_nop 0
	;;#ASMSTART
	v_dot2_f32_f16 v74, v31, v89, v74
	;;#ASMEND
	;;#ASMSTART
	v_dot2_f32_f16 v75, v82, v24, v75
	;;#ASMEND
	s_nop 0
	;;#ASMSTART
	v_dot2_f32_f16 v75, v83, v25, v75
	;;#ASMEND
	s_nop 0
	;;#ASMSTART
	v_dot2_f32_f16 v75, v84, v26, v75
	;;#ASMEND
	s_nop 0
	;;#ASMSTART
	v_dot2_f32_f16 v75, v85, v27, v75
	;;#ASMEND
	;; [unrolled: 15-line block ×3, first 2 shown]
	ds_read_b128 v[24:27], v36 offset:144
	ds_read_b128 v[28:31], v45 offset:16
	;; [unrolled: 1-line block ×4, first 2 shown]
	s_waitcnt lgkmcnt(2)
	;;#ASMSTART
	v_dot2_f32_f16 v73, v28, v24, v73
	;;#ASMEND
	s_nop 0
	;;#ASMSTART
	v_dot2_f32_f16 v73, v29, v25, v73
	;;#ASMEND
	s_nop 0
	;; [unrolled: 4-line block ×3, first 2 shown]
	;;#ASMSTART
	v_dot2_f32_f16 v73, v31, v27, v73
	;;#ASMEND
	s_waitcnt lgkmcnt(0)
	;;#ASMSTART
	v_dot2_f32_f16 v74, v28, v86, v74
	;;#ASMEND
	s_nop 0
	;;#ASMSTART
	v_dot2_f32_f16 v74, v29, v87, v74
	;;#ASMEND
	s_nop 0
	;;#ASMSTART
	v_dot2_f32_f16 v74, v30, v88, v74
	;;#ASMEND
	s_nop 0
	;;#ASMSTART
	v_dot2_f32_f16 v74, v31, v89, v74
	;;#ASMEND
	;;#ASMSTART
	v_dot2_f32_f16 v75, v82, v24, v75
	;;#ASMEND
	s_nop 0
	;;#ASMSTART
	v_dot2_f32_f16 v75, v83, v25, v75
	;;#ASMEND
	s_nop 0
	;;#ASMSTART
	v_dot2_f32_f16 v75, v84, v26, v75
	;;#ASMEND
	s_nop 0
	;;#ASMSTART
	v_dot2_f32_f16 v75, v85, v27, v75
	;;#ASMEND
	;; [unrolled: 15-line block ×3, first 2 shown]
	ds_read_b128 v[24:27], v36 offset:160
	ds_read_b128 v[28:31], v45 offset:32
	;; [unrolled: 1-line block ×4, first 2 shown]
	s_waitcnt lgkmcnt(2)
	;;#ASMSTART
	v_dot2_f32_f16 v73, v28, v24, v73
	;;#ASMEND
	s_nop 0
	;;#ASMSTART
	v_dot2_f32_f16 v73, v29, v25, v73
	;;#ASMEND
	s_nop 0
	;; [unrolled: 4-line block ×3, first 2 shown]
	;;#ASMSTART
	v_dot2_f32_f16 v73, v31, v27, v73
	;;#ASMEND
	s_waitcnt lgkmcnt(0)
	;;#ASMSTART
	v_dot2_f32_f16 v74, v28, v86, v74
	;;#ASMEND
	s_nop 0
	;;#ASMSTART
	v_dot2_f32_f16 v74, v29, v87, v74
	;;#ASMEND
	s_nop 0
	;;#ASMSTART
	v_dot2_f32_f16 v74, v30, v88, v74
	;;#ASMEND
	s_nop 0
	;;#ASMSTART
	v_dot2_f32_f16 v74, v31, v89, v74
	;;#ASMEND
	;;#ASMSTART
	v_dot2_f32_f16 v75, v82, v24, v75
	;;#ASMEND
	s_nop 0
	;;#ASMSTART
	v_dot2_f32_f16 v75, v83, v25, v75
	;;#ASMEND
	s_nop 0
	;;#ASMSTART
	v_dot2_f32_f16 v75, v84, v26, v75
	;;#ASMEND
	s_nop 0
	;;#ASMSTART
	v_dot2_f32_f16 v75, v85, v27, v75
	;;#ASMEND
	;; [unrolled: 15-line block ×3, first 2 shown]
	ds_read_b128 v[24:27], v36 offset:176
	ds_read_b128 v[28:31], v45 offset:48
	;; [unrolled: 1-line block ×4, first 2 shown]
	s_waitcnt lgkmcnt(2)
	;;#ASMSTART
	v_dot2_f32_f16 v73, v28, v24, v73
	;;#ASMEND
	s_nop 0
	;;#ASMSTART
	v_dot2_f32_f16 v73, v29, v25, v73
	;;#ASMEND
	s_nop 0
	;; [unrolled: 4-line block ×3, first 2 shown]
	;;#ASMSTART
	v_dot2_f32_f16 v73, v31, v27, v73
	;;#ASMEND
	s_waitcnt lgkmcnt(0)
	;;#ASMSTART
	v_dot2_f32_f16 v74, v28, v86, v74
	;;#ASMEND
	s_nop 0
	;;#ASMSTART
	v_dot2_f32_f16 v74, v29, v87, v74
	;;#ASMEND
	s_nop 0
	;;#ASMSTART
	v_dot2_f32_f16 v74, v30, v88, v74
	;;#ASMEND
	s_nop 0
	;;#ASMSTART
	v_dot2_f32_f16 v74, v31, v89, v74
	;;#ASMEND
	;;#ASMSTART
	v_dot2_f32_f16 v75, v82, v24, v75
	;;#ASMEND
	s_nop 0
	;;#ASMSTART
	v_dot2_f32_f16 v75, v83, v25, v75
	;;#ASMEND
	s_nop 0
	;;#ASMSTART
	v_dot2_f32_f16 v75, v84, v26, v75
	;;#ASMEND
	s_nop 0
	;;#ASMSTART
	v_dot2_f32_f16 v75, v85, v27, v75
	;;#ASMEND
	;; [unrolled: 15-line block ×3, first 2 shown]
	ds_read_b128 v[24:27], v36 offset:192
	ds_read_b128 v[28:31], v45 offset:64
	;; [unrolled: 1-line block ×4, first 2 shown]
	s_waitcnt lgkmcnt(2)
	;;#ASMSTART
	v_dot2_f32_f16 v73, v28, v24, v73
	;;#ASMEND
	s_nop 0
	;;#ASMSTART
	v_dot2_f32_f16 v73, v29, v25, v73
	;;#ASMEND
	s_nop 0
	;; [unrolled: 4-line block ×3, first 2 shown]
	;;#ASMSTART
	v_dot2_f32_f16 v73, v31, v27, v73
	;;#ASMEND
	s_waitcnt lgkmcnt(0)
	;;#ASMSTART
	v_dot2_f32_f16 v74, v28, v86, v74
	;;#ASMEND
	s_nop 0
	;;#ASMSTART
	v_dot2_f32_f16 v74, v29, v87, v74
	;;#ASMEND
	s_nop 0
	;;#ASMSTART
	v_dot2_f32_f16 v74, v30, v88, v74
	;;#ASMEND
	s_nop 0
	;;#ASMSTART
	v_dot2_f32_f16 v74, v31, v89, v74
	;;#ASMEND
	;;#ASMSTART
	v_dot2_f32_f16 v75, v82, v24, v75
	;;#ASMEND
	s_nop 0
	;;#ASMSTART
	v_dot2_f32_f16 v75, v83, v25, v75
	;;#ASMEND
	s_nop 0
	;;#ASMSTART
	v_dot2_f32_f16 v75, v84, v26, v75
	;;#ASMEND
	s_nop 0
	;;#ASMSTART
	v_dot2_f32_f16 v75, v85, v27, v75
	;;#ASMEND
	;; [unrolled: 15-line block ×3, first 2 shown]
	ds_read_b128 v[24:27], v36 offset:208
	ds_read_b128 v[28:31], v45 offset:80
	;; [unrolled: 1-line block ×4, first 2 shown]
	s_waitcnt lgkmcnt(2)
	;;#ASMSTART
	v_dot2_f32_f16 v73, v28, v24, v73
	;;#ASMEND
	s_nop 0
	;;#ASMSTART
	v_dot2_f32_f16 v73, v29, v25, v73
	;;#ASMEND
	s_nop 0
	;; [unrolled: 4-line block ×3, first 2 shown]
	;;#ASMSTART
	v_dot2_f32_f16 v73, v31, v27, v73
	;;#ASMEND
	s_waitcnt lgkmcnt(0)
	;;#ASMSTART
	v_dot2_f32_f16 v74, v28, v86, v74
	;;#ASMEND
	s_nop 0
	;;#ASMSTART
	v_dot2_f32_f16 v74, v29, v87, v74
	;;#ASMEND
	s_nop 0
	;;#ASMSTART
	v_dot2_f32_f16 v74, v30, v88, v74
	;;#ASMEND
	s_nop 0
	;;#ASMSTART
	v_dot2_f32_f16 v74, v31, v89, v74
	;;#ASMEND
	;;#ASMSTART
	v_dot2_f32_f16 v75, v82, v24, v75
	;;#ASMEND
	s_nop 0
	;;#ASMSTART
	v_dot2_f32_f16 v75, v83, v25, v75
	;;#ASMEND
	s_nop 0
	;;#ASMSTART
	v_dot2_f32_f16 v75, v84, v26, v75
	;;#ASMEND
	s_nop 0
	;;#ASMSTART
	v_dot2_f32_f16 v75, v85, v27, v75
	;;#ASMEND
	;; [unrolled: 15-line block ×3, first 2 shown]
	ds_read_b128 v[24:27], v36 offset:224
	ds_read_b128 v[28:31], v45 offset:96
	;; [unrolled: 1-line block ×4, first 2 shown]
	s_waitcnt lgkmcnt(2)
	;;#ASMSTART
	v_dot2_f32_f16 v73, v28, v24, v73
	;;#ASMEND
	s_nop 0
	;;#ASMSTART
	v_dot2_f32_f16 v73, v29, v25, v73
	;;#ASMEND
	s_nop 0
	;; [unrolled: 4-line block ×3, first 2 shown]
	;;#ASMSTART
	v_dot2_f32_f16 v73, v31, v27, v73
	;;#ASMEND
	s_waitcnt lgkmcnt(0)
	;;#ASMSTART
	v_dot2_f32_f16 v74, v28, v86, v74
	;;#ASMEND
	s_nop 0
	;;#ASMSTART
	v_dot2_f32_f16 v74, v29, v87, v74
	;;#ASMEND
	s_nop 0
	;;#ASMSTART
	v_dot2_f32_f16 v74, v30, v88, v74
	;;#ASMEND
	s_nop 0
	;;#ASMSTART
	v_dot2_f32_f16 v74, v31, v89, v74
	;;#ASMEND
	;;#ASMSTART
	v_dot2_f32_f16 v75, v82, v24, v75
	;;#ASMEND
	s_nop 0
	;;#ASMSTART
	v_dot2_f32_f16 v75, v83, v25, v75
	;;#ASMEND
	s_nop 0
	;;#ASMSTART
	v_dot2_f32_f16 v75, v84, v26, v75
	;;#ASMEND
	s_nop 0
	;;#ASMSTART
	v_dot2_f32_f16 v75, v85, v27, v75
	;;#ASMEND
	;; [unrolled: 15-line block ×3, first 2 shown]
	ds_read_b128 v[24:27], v36 offset:240
	ds_read_b128 v[28:31], v45 offset:112
	;; [unrolled: 1-line block ×4, first 2 shown]
	s_waitcnt lgkmcnt(2)
	;;#ASMSTART
	v_dot2_f32_f16 v73, v28, v24, v73
	;;#ASMEND
	s_nop 0
	;;#ASMSTART
	v_dot2_f32_f16 v73, v29, v25, v73
	;;#ASMEND
	s_nop 0
	;; [unrolled: 4-line block ×3, first 2 shown]
	;;#ASMSTART
	v_dot2_f32_f16 v73, v31, v27, v73
	;;#ASMEND
	s_waitcnt lgkmcnt(0)
	;;#ASMSTART
	v_dot2_f32_f16 v74, v28, v86, v74
	;;#ASMEND
	s_nop 0
	;;#ASMSTART
	v_dot2_f32_f16 v74, v29, v87, v74
	;;#ASMEND
	s_nop 0
	;;#ASMSTART
	v_dot2_f32_f16 v74, v30, v88, v74
	;;#ASMEND
	s_nop 0
	;;#ASMSTART
	v_dot2_f32_f16 v74, v31, v89, v74
	;;#ASMEND
	;;#ASMSTART
	v_dot2_f32_f16 v75, v82, v24, v75
	;;#ASMEND
	s_nop 0
	;;#ASMSTART
	v_dot2_f32_f16 v75, v83, v25, v75
	;;#ASMEND
	s_nop 0
	;;#ASMSTART
	v_dot2_f32_f16 v75, v84, v26, v75
	;;#ASMEND
	s_nop 0
	;;#ASMSTART
	v_dot2_f32_f16 v75, v85, v27, v75
	;;#ASMEND
	;; [unrolled: 15-line block ×3, first 2 shown]
	s_barrier
	global_load_dwordx4 v[24:27], v[18:19], off offset:256
	global_load_dwordx4 v[28:31], v[22:23], off offset:256
	s_waitcnt vmcnt(1)
	ds_write_b128 v43, v[24:27]
	s_waitcnt vmcnt(0)
	ds_write_b128 v44, v[28:31]
	s_waitcnt lgkmcnt(0)
	s_barrier
	ds_read_b128 v[24:27], v36 offset:256
	ds_read_b128 v[28:31], v45
	ds_read_b128 v[82:85], v45 offset:4608
	ds_read_b128 v[86:89], v36 offset:1280
	s_waitcnt lgkmcnt(2)
	;;#ASMSTART
	v_dot2_f32_f16 v73, v28, v24, v73
	;;#ASMEND
	s_nop 0
	;;#ASMSTART
	v_dot2_f32_f16 v73, v29, v25, v73
	;;#ASMEND
	s_nop 0
	;; [unrolled: 4-line block ×3, first 2 shown]
	;;#ASMSTART
	v_dot2_f32_f16 v73, v31, v27, v73
	;;#ASMEND
	s_waitcnt lgkmcnt(0)
	;;#ASMSTART
	v_dot2_f32_f16 v74, v28, v86, v74
	;;#ASMEND
	s_nop 0
	;;#ASMSTART
	v_dot2_f32_f16 v74, v29, v87, v74
	;;#ASMEND
	s_nop 0
	;;#ASMSTART
	v_dot2_f32_f16 v74, v30, v88, v74
	;;#ASMEND
	s_nop 0
	;;#ASMSTART
	v_dot2_f32_f16 v74, v31, v89, v74
	;;#ASMEND
	;;#ASMSTART
	v_dot2_f32_f16 v75, v82, v24, v75
	;;#ASMEND
	s_nop 0
	;;#ASMSTART
	v_dot2_f32_f16 v75, v83, v25, v75
	;;#ASMEND
	s_nop 0
	;;#ASMSTART
	v_dot2_f32_f16 v75, v84, v26, v75
	;;#ASMEND
	s_nop 0
	;;#ASMSTART
	v_dot2_f32_f16 v75, v85, v27, v75
	;;#ASMEND
	;; [unrolled: 15-line block ×3, first 2 shown]
	ds_read_b128 v[24:27], v36 offset:272
	ds_read_b128 v[28:31], v45 offset:16
	;; [unrolled: 1-line block ×4, first 2 shown]
	s_waitcnt lgkmcnt(2)
	;;#ASMSTART
	v_dot2_f32_f16 v73, v28, v24, v73
	;;#ASMEND
	s_nop 0
	;;#ASMSTART
	v_dot2_f32_f16 v73, v29, v25, v73
	;;#ASMEND
	s_nop 0
	;; [unrolled: 4-line block ×3, first 2 shown]
	;;#ASMSTART
	v_dot2_f32_f16 v73, v31, v27, v73
	;;#ASMEND
	s_waitcnt lgkmcnt(0)
	;;#ASMSTART
	v_dot2_f32_f16 v74, v28, v86, v74
	;;#ASMEND
	s_nop 0
	;;#ASMSTART
	v_dot2_f32_f16 v74, v29, v87, v74
	;;#ASMEND
	s_nop 0
	;;#ASMSTART
	v_dot2_f32_f16 v74, v30, v88, v74
	;;#ASMEND
	s_nop 0
	;;#ASMSTART
	v_dot2_f32_f16 v74, v31, v89, v74
	;;#ASMEND
	;;#ASMSTART
	v_dot2_f32_f16 v75, v82, v24, v75
	;;#ASMEND
	s_nop 0
	;;#ASMSTART
	v_dot2_f32_f16 v75, v83, v25, v75
	;;#ASMEND
	s_nop 0
	;;#ASMSTART
	v_dot2_f32_f16 v75, v84, v26, v75
	;;#ASMEND
	s_nop 0
	;;#ASMSTART
	v_dot2_f32_f16 v75, v85, v27, v75
	;;#ASMEND
	;; [unrolled: 15-line block ×3, first 2 shown]
	ds_read_b128 v[24:27], v36 offset:288
	ds_read_b128 v[28:31], v45 offset:32
	;; [unrolled: 1-line block ×4, first 2 shown]
	s_waitcnt lgkmcnt(2)
	;;#ASMSTART
	v_dot2_f32_f16 v73, v28, v24, v73
	;;#ASMEND
	s_nop 0
	;;#ASMSTART
	v_dot2_f32_f16 v73, v29, v25, v73
	;;#ASMEND
	s_nop 0
	;; [unrolled: 4-line block ×3, first 2 shown]
	;;#ASMSTART
	v_dot2_f32_f16 v73, v31, v27, v73
	;;#ASMEND
	s_waitcnt lgkmcnt(0)
	;;#ASMSTART
	v_dot2_f32_f16 v74, v28, v86, v74
	;;#ASMEND
	s_nop 0
	;;#ASMSTART
	v_dot2_f32_f16 v74, v29, v87, v74
	;;#ASMEND
	s_nop 0
	;;#ASMSTART
	v_dot2_f32_f16 v74, v30, v88, v74
	;;#ASMEND
	s_nop 0
	;;#ASMSTART
	v_dot2_f32_f16 v74, v31, v89, v74
	;;#ASMEND
	;;#ASMSTART
	v_dot2_f32_f16 v75, v82, v24, v75
	;;#ASMEND
	s_nop 0
	;;#ASMSTART
	v_dot2_f32_f16 v75, v83, v25, v75
	;;#ASMEND
	s_nop 0
	;;#ASMSTART
	v_dot2_f32_f16 v75, v84, v26, v75
	;;#ASMEND
	s_nop 0
	;;#ASMSTART
	v_dot2_f32_f16 v75, v85, v27, v75
	;;#ASMEND
	;; [unrolled: 15-line block ×3, first 2 shown]
	ds_read_b128 v[24:27], v36 offset:304
	ds_read_b128 v[28:31], v45 offset:48
	ds_read_b128 v[82:85], v45 offset:4656
	ds_read_b128 v[86:89], v36 offset:1328
	s_waitcnt lgkmcnt(2)
	;;#ASMSTART
	v_dot2_f32_f16 v73, v28, v24, v73
	;;#ASMEND
	s_nop 0
	;;#ASMSTART
	v_dot2_f32_f16 v73, v29, v25, v73
	;;#ASMEND
	s_nop 0
	;; [unrolled: 4-line block ×3, first 2 shown]
	;;#ASMSTART
	v_dot2_f32_f16 v73, v31, v27, v73
	;;#ASMEND
	s_waitcnt lgkmcnt(0)
	;;#ASMSTART
	v_dot2_f32_f16 v74, v28, v86, v74
	;;#ASMEND
	s_nop 0
	;;#ASMSTART
	v_dot2_f32_f16 v74, v29, v87, v74
	;;#ASMEND
	s_nop 0
	;;#ASMSTART
	v_dot2_f32_f16 v74, v30, v88, v74
	;;#ASMEND
	s_nop 0
	;;#ASMSTART
	v_dot2_f32_f16 v74, v31, v89, v74
	;;#ASMEND
	;;#ASMSTART
	v_dot2_f32_f16 v75, v82, v24, v75
	;;#ASMEND
	s_nop 0
	;;#ASMSTART
	v_dot2_f32_f16 v75, v83, v25, v75
	;;#ASMEND
	s_nop 0
	;;#ASMSTART
	v_dot2_f32_f16 v75, v84, v26, v75
	;;#ASMEND
	s_nop 0
	;;#ASMSTART
	v_dot2_f32_f16 v75, v85, v27, v75
	;;#ASMEND
	;; [unrolled: 15-line block ×3, first 2 shown]
	ds_read_b128 v[24:27], v36 offset:320
	ds_read_b128 v[28:31], v45 offset:64
	;; [unrolled: 1-line block ×4, first 2 shown]
	s_waitcnt lgkmcnt(2)
	;;#ASMSTART
	v_dot2_f32_f16 v73, v28, v24, v73
	;;#ASMEND
	s_nop 0
	;;#ASMSTART
	v_dot2_f32_f16 v73, v29, v25, v73
	;;#ASMEND
	s_nop 0
	;; [unrolled: 4-line block ×3, first 2 shown]
	;;#ASMSTART
	v_dot2_f32_f16 v73, v31, v27, v73
	;;#ASMEND
	s_waitcnt lgkmcnt(0)
	;;#ASMSTART
	v_dot2_f32_f16 v74, v28, v86, v74
	;;#ASMEND
	s_nop 0
	;;#ASMSTART
	v_dot2_f32_f16 v74, v29, v87, v74
	;;#ASMEND
	s_nop 0
	;;#ASMSTART
	v_dot2_f32_f16 v74, v30, v88, v74
	;;#ASMEND
	s_nop 0
	;;#ASMSTART
	v_dot2_f32_f16 v74, v31, v89, v74
	;;#ASMEND
	;;#ASMSTART
	v_dot2_f32_f16 v75, v82, v24, v75
	;;#ASMEND
	s_nop 0
	;;#ASMSTART
	v_dot2_f32_f16 v75, v83, v25, v75
	;;#ASMEND
	s_nop 0
	;;#ASMSTART
	v_dot2_f32_f16 v75, v84, v26, v75
	;;#ASMEND
	s_nop 0
	;;#ASMSTART
	v_dot2_f32_f16 v75, v85, v27, v75
	;;#ASMEND
	;; [unrolled: 15-line block ×3, first 2 shown]
	ds_read_b128 v[24:27], v36 offset:336
	ds_read_b128 v[28:31], v45 offset:80
	;; [unrolled: 1-line block ×4, first 2 shown]
	s_waitcnt lgkmcnt(2)
	;;#ASMSTART
	v_dot2_f32_f16 v73, v28, v24, v73
	;;#ASMEND
	s_nop 0
	;;#ASMSTART
	v_dot2_f32_f16 v73, v29, v25, v73
	;;#ASMEND
	s_nop 0
	;; [unrolled: 4-line block ×3, first 2 shown]
	;;#ASMSTART
	v_dot2_f32_f16 v73, v31, v27, v73
	;;#ASMEND
	s_waitcnt lgkmcnt(0)
	;;#ASMSTART
	v_dot2_f32_f16 v74, v28, v86, v74
	;;#ASMEND
	s_nop 0
	;;#ASMSTART
	v_dot2_f32_f16 v74, v29, v87, v74
	;;#ASMEND
	s_nop 0
	;;#ASMSTART
	v_dot2_f32_f16 v74, v30, v88, v74
	;;#ASMEND
	s_nop 0
	;;#ASMSTART
	v_dot2_f32_f16 v74, v31, v89, v74
	;;#ASMEND
	;;#ASMSTART
	v_dot2_f32_f16 v75, v82, v24, v75
	;;#ASMEND
	s_nop 0
	;;#ASMSTART
	v_dot2_f32_f16 v75, v83, v25, v75
	;;#ASMEND
	s_nop 0
	;;#ASMSTART
	v_dot2_f32_f16 v75, v84, v26, v75
	;;#ASMEND
	s_nop 0
	;;#ASMSTART
	v_dot2_f32_f16 v75, v85, v27, v75
	;;#ASMEND
	;; [unrolled: 15-line block ×3, first 2 shown]
	ds_read_b128 v[24:27], v36 offset:352
	ds_read_b128 v[28:31], v45 offset:96
	;; [unrolled: 1-line block ×4, first 2 shown]
	s_waitcnt lgkmcnt(2)
	;;#ASMSTART
	v_dot2_f32_f16 v73, v28, v24, v73
	;;#ASMEND
	s_nop 0
	;;#ASMSTART
	v_dot2_f32_f16 v73, v29, v25, v73
	;;#ASMEND
	s_nop 0
	;; [unrolled: 4-line block ×3, first 2 shown]
	;;#ASMSTART
	v_dot2_f32_f16 v73, v31, v27, v73
	;;#ASMEND
	s_waitcnt lgkmcnt(0)
	;;#ASMSTART
	v_dot2_f32_f16 v74, v28, v86, v74
	;;#ASMEND
	s_nop 0
	;;#ASMSTART
	v_dot2_f32_f16 v74, v29, v87, v74
	;;#ASMEND
	s_nop 0
	;;#ASMSTART
	v_dot2_f32_f16 v74, v30, v88, v74
	;;#ASMEND
	s_nop 0
	;;#ASMSTART
	v_dot2_f32_f16 v74, v31, v89, v74
	;;#ASMEND
	;;#ASMSTART
	v_dot2_f32_f16 v75, v82, v24, v75
	;;#ASMEND
	s_nop 0
	;;#ASMSTART
	v_dot2_f32_f16 v75, v83, v25, v75
	;;#ASMEND
	s_nop 0
	;;#ASMSTART
	v_dot2_f32_f16 v75, v84, v26, v75
	;;#ASMEND
	s_nop 0
	;;#ASMSTART
	v_dot2_f32_f16 v75, v85, v27, v75
	;;#ASMEND
	;; [unrolled: 15-line block ×3, first 2 shown]
	ds_read_b128 v[24:27], v36 offset:368
	ds_read_b128 v[28:31], v45 offset:112
	;; [unrolled: 1-line block ×4, first 2 shown]
	s_waitcnt lgkmcnt(2)
	;;#ASMSTART
	v_dot2_f32_f16 v73, v28, v24, v73
	;;#ASMEND
	s_nop 0
	;;#ASMSTART
	v_dot2_f32_f16 v73, v29, v25, v73
	;;#ASMEND
	s_nop 0
	;; [unrolled: 4-line block ×3, first 2 shown]
	;;#ASMSTART
	v_dot2_f32_f16 v73, v31, v27, v73
	;;#ASMEND
	s_waitcnt lgkmcnt(0)
	;;#ASMSTART
	v_dot2_f32_f16 v74, v28, v86, v74
	;;#ASMEND
	s_nop 0
	;;#ASMSTART
	v_dot2_f32_f16 v74, v29, v87, v74
	;;#ASMEND
	s_nop 0
	;;#ASMSTART
	v_dot2_f32_f16 v74, v30, v88, v74
	;;#ASMEND
	s_nop 0
	;;#ASMSTART
	v_dot2_f32_f16 v74, v31, v89, v74
	;;#ASMEND
	;;#ASMSTART
	v_dot2_f32_f16 v75, v82, v24, v75
	;;#ASMEND
	s_nop 0
	;;#ASMSTART
	v_dot2_f32_f16 v75, v83, v25, v75
	;;#ASMEND
	s_nop 0
	;;#ASMSTART
	v_dot2_f32_f16 v75, v84, v26, v75
	;;#ASMEND
	s_nop 0
	;;#ASMSTART
	v_dot2_f32_f16 v75, v85, v27, v75
	;;#ASMEND
	;; [unrolled: 15-line block ×3, first 2 shown]
	s_barrier
	global_load_dwordx4 v[24:27], v[18:19], off offset:384
	global_load_dwordx4 v[28:31], v[22:23], off offset:384
	s_waitcnt vmcnt(1)
	ds_write_b128 v43, v[24:27]
	s_waitcnt vmcnt(0)
	ds_write_b128 v44, v[28:31]
	s_waitcnt lgkmcnt(0)
	s_barrier
	ds_read_b128 v[24:27], v36 offset:384
	ds_read_b128 v[28:31], v45
	ds_read_b128 v[82:85], v45 offset:4608
	ds_read_b128 v[86:89], v36 offset:1408
	s_waitcnt lgkmcnt(2)
	;;#ASMSTART
	v_dot2_f32_f16 v73, v28, v24, v73
	;;#ASMEND
	s_nop 0
	;;#ASMSTART
	v_dot2_f32_f16 v73, v29, v25, v73
	;;#ASMEND
	s_nop 0
	;;#ASMSTART
	v_dot2_f32_f16 v73, v30, v26, v73
	;;#ASMEND
	s_nop 0
	;;#ASMSTART
	v_dot2_f32_f16 v73, v31, v27, v73
	;;#ASMEND
	s_waitcnt lgkmcnt(0)
	;;#ASMSTART
	v_dot2_f32_f16 v74, v28, v86, v74
	;;#ASMEND
	s_nop 0
	;;#ASMSTART
	v_dot2_f32_f16 v74, v29, v87, v74
	;;#ASMEND
	s_nop 0
	;;#ASMSTART
	v_dot2_f32_f16 v74, v30, v88, v74
	;;#ASMEND
	s_nop 0
	;;#ASMSTART
	v_dot2_f32_f16 v74, v31, v89, v74
	;;#ASMEND
	;;#ASMSTART
	v_dot2_f32_f16 v75, v82, v24, v75
	;;#ASMEND
	s_nop 0
	;;#ASMSTART
	v_dot2_f32_f16 v75, v83, v25, v75
	;;#ASMEND
	s_nop 0
	;;#ASMSTART
	v_dot2_f32_f16 v75, v84, v26, v75
	;;#ASMEND
	s_nop 0
	;;#ASMSTART
	v_dot2_f32_f16 v75, v85, v27, v75
	;;#ASMEND
	;; [unrolled: 15-line block ×3, first 2 shown]
	ds_read_b128 v[24:27], v36 offset:400
	ds_read_b128 v[28:31], v45 offset:16
	;; [unrolled: 1-line block ×4, first 2 shown]
	s_waitcnt lgkmcnt(2)
	;;#ASMSTART
	v_dot2_f32_f16 v73, v28, v24, v73
	;;#ASMEND
	s_nop 0
	;;#ASMSTART
	v_dot2_f32_f16 v73, v29, v25, v73
	;;#ASMEND
	s_nop 0
	;; [unrolled: 4-line block ×3, first 2 shown]
	;;#ASMSTART
	v_dot2_f32_f16 v73, v31, v27, v73
	;;#ASMEND
	s_waitcnt lgkmcnt(0)
	;;#ASMSTART
	v_dot2_f32_f16 v74, v28, v86, v74
	;;#ASMEND
	s_nop 0
	;;#ASMSTART
	v_dot2_f32_f16 v74, v29, v87, v74
	;;#ASMEND
	s_nop 0
	;;#ASMSTART
	v_dot2_f32_f16 v74, v30, v88, v74
	;;#ASMEND
	s_nop 0
	;;#ASMSTART
	v_dot2_f32_f16 v74, v31, v89, v74
	;;#ASMEND
	;;#ASMSTART
	v_dot2_f32_f16 v75, v82, v24, v75
	;;#ASMEND
	s_nop 0
	;;#ASMSTART
	v_dot2_f32_f16 v75, v83, v25, v75
	;;#ASMEND
	s_nop 0
	;;#ASMSTART
	v_dot2_f32_f16 v75, v84, v26, v75
	;;#ASMEND
	s_nop 0
	;;#ASMSTART
	v_dot2_f32_f16 v75, v85, v27, v75
	;;#ASMEND
	;; [unrolled: 15-line block ×3, first 2 shown]
	ds_read_b128 v[24:27], v36 offset:416
	ds_read_b128 v[28:31], v45 offset:32
	;; [unrolled: 1-line block ×4, first 2 shown]
	s_waitcnt lgkmcnt(2)
	;;#ASMSTART
	v_dot2_f32_f16 v73, v28, v24, v73
	;;#ASMEND
	s_nop 0
	;;#ASMSTART
	v_dot2_f32_f16 v73, v29, v25, v73
	;;#ASMEND
	s_nop 0
	;; [unrolled: 4-line block ×3, first 2 shown]
	;;#ASMSTART
	v_dot2_f32_f16 v73, v31, v27, v73
	;;#ASMEND
	s_waitcnt lgkmcnt(0)
	;;#ASMSTART
	v_dot2_f32_f16 v74, v28, v86, v74
	;;#ASMEND
	s_nop 0
	;;#ASMSTART
	v_dot2_f32_f16 v74, v29, v87, v74
	;;#ASMEND
	s_nop 0
	;;#ASMSTART
	v_dot2_f32_f16 v74, v30, v88, v74
	;;#ASMEND
	s_nop 0
	;;#ASMSTART
	v_dot2_f32_f16 v74, v31, v89, v74
	;;#ASMEND
	;;#ASMSTART
	v_dot2_f32_f16 v75, v82, v24, v75
	;;#ASMEND
	s_nop 0
	;;#ASMSTART
	v_dot2_f32_f16 v75, v83, v25, v75
	;;#ASMEND
	s_nop 0
	;;#ASMSTART
	v_dot2_f32_f16 v75, v84, v26, v75
	;;#ASMEND
	s_nop 0
	;;#ASMSTART
	v_dot2_f32_f16 v75, v85, v27, v75
	;;#ASMEND
	;; [unrolled: 15-line block ×3, first 2 shown]
	ds_read_b128 v[24:27], v36 offset:432
	ds_read_b128 v[28:31], v45 offset:48
	;; [unrolled: 1-line block ×4, first 2 shown]
	s_waitcnt lgkmcnt(2)
	;;#ASMSTART
	v_dot2_f32_f16 v73, v28, v24, v73
	;;#ASMEND
	s_nop 0
	;;#ASMSTART
	v_dot2_f32_f16 v73, v29, v25, v73
	;;#ASMEND
	s_nop 0
	;; [unrolled: 4-line block ×3, first 2 shown]
	;;#ASMSTART
	v_dot2_f32_f16 v73, v31, v27, v73
	;;#ASMEND
	s_waitcnt lgkmcnt(0)
	;;#ASMSTART
	v_dot2_f32_f16 v74, v28, v86, v74
	;;#ASMEND
	s_nop 0
	;;#ASMSTART
	v_dot2_f32_f16 v74, v29, v87, v74
	;;#ASMEND
	s_nop 0
	;;#ASMSTART
	v_dot2_f32_f16 v74, v30, v88, v74
	;;#ASMEND
	s_nop 0
	;;#ASMSTART
	v_dot2_f32_f16 v74, v31, v89, v74
	;;#ASMEND
	;;#ASMSTART
	v_dot2_f32_f16 v75, v82, v24, v75
	;;#ASMEND
	s_nop 0
	;;#ASMSTART
	v_dot2_f32_f16 v75, v83, v25, v75
	;;#ASMEND
	s_nop 0
	;;#ASMSTART
	v_dot2_f32_f16 v75, v84, v26, v75
	;;#ASMEND
	s_nop 0
	;;#ASMSTART
	v_dot2_f32_f16 v75, v85, v27, v75
	;;#ASMEND
	;; [unrolled: 15-line block ×3, first 2 shown]
	ds_read_b128 v[24:27], v36 offset:448
	ds_read_b128 v[28:31], v45 offset:64
	;; [unrolled: 1-line block ×4, first 2 shown]
	s_waitcnt lgkmcnt(2)
	;;#ASMSTART
	v_dot2_f32_f16 v73, v28, v24, v73
	;;#ASMEND
	s_nop 0
	;;#ASMSTART
	v_dot2_f32_f16 v73, v29, v25, v73
	;;#ASMEND
	s_nop 0
	;; [unrolled: 4-line block ×3, first 2 shown]
	;;#ASMSTART
	v_dot2_f32_f16 v73, v31, v27, v73
	;;#ASMEND
	s_waitcnt lgkmcnt(0)
	;;#ASMSTART
	v_dot2_f32_f16 v74, v28, v86, v74
	;;#ASMEND
	s_nop 0
	;;#ASMSTART
	v_dot2_f32_f16 v74, v29, v87, v74
	;;#ASMEND
	s_nop 0
	;;#ASMSTART
	v_dot2_f32_f16 v74, v30, v88, v74
	;;#ASMEND
	s_nop 0
	;;#ASMSTART
	v_dot2_f32_f16 v74, v31, v89, v74
	;;#ASMEND
	;;#ASMSTART
	v_dot2_f32_f16 v75, v82, v24, v75
	;;#ASMEND
	s_nop 0
	;;#ASMSTART
	v_dot2_f32_f16 v75, v83, v25, v75
	;;#ASMEND
	s_nop 0
	;;#ASMSTART
	v_dot2_f32_f16 v75, v84, v26, v75
	;;#ASMEND
	s_nop 0
	;;#ASMSTART
	v_dot2_f32_f16 v75, v85, v27, v75
	;;#ASMEND
	;; [unrolled: 15-line block ×3, first 2 shown]
	ds_read_b128 v[24:27], v36 offset:464
	ds_read_b128 v[28:31], v45 offset:80
	;; [unrolled: 1-line block ×4, first 2 shown]
	s_waitcnt lgkmcnt(2)
	;;#ASMSTART
	v_dot2_f32_f16 v73, v28, v24, v73
	;;#ASMEND
	s_nop 0
	;;#ASMSTART
	v_dot2_f32_f16 v73, v29, v25, v73
	;;#ASMEND
	s_nop 0
	;; [unrolled: 4-line block ×3, first 2 shown]
	;;#ASMSTART
	v_dot2_f32_f16 v73, v31, v27, v73
	;;#ASMEND
	s_waitcnt lgkmcnt(0)
	;;#ASMSTART
	v_dot2_f32_f16 v74, v28, v86, v74
	;;#ASMEND
	s_nop 0
	;;#ASMSTART
	v_dot2_f32_f16 v74, v29, v87, v74
	;;#ASMEND
	s_nop 0
	;;#ASMSTART
	v_dot2_f32_f16 v74, v30, v88, v74
	;;#ASMEND
	s_nop 0
	;;#ASMSTART
	v_dot2_f32_f16 v74, v31, v89, v74
	;;#ASMEND
	;;#ASMSTART
	v_dot2_f32_f16 v75, v82, v24, v75
	;;#ASMEND
	s_nop 0
	;;#ASMSTART
	v_dot2_f32_f16 v75, v83, v25, v75
	;;#ASMEND
	s_nop 0
	;;#ASMSTART
	v_dot2_f32_f16 v75, v84, v26, v75
	;;#ASMEND
	s_nop 0
	;;#ASMSTART
	v_dot2_f32_f16 v75, v85, v27, v75
	;;#ASMEND
	;; [unrolled: 15-line block ×3, first 2 shown]
	ds_read_b128 v[24:27], v36 offset:480
	ds_read_b128 v[28:31], v45 offset:96
	;; [unrolled: 1-line block ×4, first 2 shown]
	s_waitcnt lgkmcnt(2)
	;;#ASMSTART
	v_dot2_f32_f16 v73, v28, v24, v73
	;;#ASMEND
	s_nop 0
	;;#ASMSTART
	v_dot2_f32_f16 v73, v29, v25, v73
	;;#ASMEND
	s_nop 0
	;; [unrolled: 4-line block ×3, first 2 shown]
	;;#ASMSTART
	v_dot2_f32_f16 v73, v31, v27, v73
	;;#ASMEND
	s_waitcnt lgkmcnt(0)
	;;#ASMSTART
	v_dot2_f32_f16 v74, v28, v86, v74
	;;#ASMEND
	s_nop 0
	;;#ASMSTART
	v_dot2_f32_f16 v74, v29, v87, v74
	;;#ASMEND
	s_nop 0
	;;#ASMSTART
	v_dot2_f32_f16 v74, v30, v88, v74
	;;#ASMEND
	s_nop 0
	;;#ASMSTART
	v_dot2_f32_f16 v74, v31, v89, v74
	;;#ASMEND
	;;#ASMSTART
	v_dot2_f32_f16 v75, v82, v24, v75
	;;#ASMEND
	s_nop 0
	;;#ASMSTART
	v_dot2_f32_f16 v75, v83, v25, v75
	;;#ASMEND
	s_nop 0
	;;#ASMSTART
	v_dot2_f32_f16 v75, v84, v26, v75
	;;#ASMEND
	s_nop 0
	;;#ASMSTART
	v_dot2_f32_f16 v75, v85, v27, v75
	;;#ASMEND
	;; [unrolled: 15-line block ×3, first 2 shown]
	ds_read_b128 v[24:27], v36 offset:496
	ds_read_b128 v[28:31], v45 offset:112
	;; [unrolled: 1-line block ×4, first 2 shown]
	s_waitcnt lgkmcnt(2)
	;;#ASMSTART
	v_dot2_f32_f16 v73, v28, v24, v73
	;;#ASMEND
	s_nop 0
	;;#ASMSTART
	v_dot2_f32_f16 v73, v29, v25, v73
	;;#ASMEND
	s_nop 0
	;; [unrolled: 4-line block ×3, first 2 shown]
	;;#ASMSTART
	v_dot2_f32_f16 v73, v31, v27, v73
	;;#ASMEND
	s_waitcnt lgkmcnt(0)
	;;#ASMSTART
	v_dot2_f32_f16 v74, v28, v86, v74
	;;#ASMEND
	s_nop 0
	;;#ASMSTART
	v_dot2_f32_f16 v74, v29, v87, v74
	;;#ASMEND
	s_nop 0
	;;#ASMSTART
	v_dot2_f32_f16 v74, v30, v88, v74
	;;#ASMEND
	s_nop 0
	;;#ASMSTART
	v_dot2_f32_f16 v74, v31, v89, v74
	;;#ASMEND
	;;#ASMSTART
	v_dot2_f32_f16 v75, v82, v24, v75
	;;#ASMEND
	s_nop 0
	;;#ASMSTART
	v_dot2_f32_f16 v75, v83, v25, v75
	;;#ASMEND
	s_nop 0
	;;#ASMSTART
	v_dot2_f32_f16 v75, v84, v26, v75
	;;#ASMEND
	s_nop 0
	;;#ASMSTART
	v_dot2_f32_f16 v75, v85, v27, v75
	;;#ASMEND
	;; [unrolled: 15-line block ×3, first 2 shown]
	s_barrier
	global_load_dwordx4 v[24:27], v[18:19], off offset:512
	global_load_dwordx4 v[28:31], v[22:23], off offset:512
	s_waitcnt vmcnt(1)
	ds_write_b128 v43, v[24:27]
	s_waitcnt vmcnt(0)
	ds_write_b128 v44, v[28:31]
	s_waitcnt lgkmcnt(0)
	s_barrier
	ds_read_b128 v[24:27], v36 offset:512
	ds_read_b128 v[28:31], v45
	ds_read_b128 v[82:85], v45 offset:4608
	ds_read_b128 v[86:89], v36 offset:1536
	s_waitcnt lgkmcnt(2)
	;;#ASMSTART
	v_dot2_f32_f16 v73, v28, v24, v73
	;;#ASMEND
	s_nop 0
	;;#ASMSTART
	v_dot2_f32_f16 v73, v29, v25, v73
	;;#ASMEND
	s_nop 0
	;; [unrolled: 4-line block ×3, first 2 shown]
	;;#ASMSTART
	v_dot2_f32_f16 v73, v31, v27, v73
	;;#ASMEND
	s_waitcnt lgkmcnt(0)
	;;#ASMSTART
	v_dot2_f32_f16 v74, v28, v86, v74
	;;#ASMEND
	s_nop 0
	;;#ASMSTART
	v_dot2_f32_f16 v74, v29, v87, v74
	;;#ASMEND
	s_nop 0
	;;#ASMSTART
	v_dot2_f32_f16 v74, v30, v88, v74
	;;#ASMEND
	s_nop 0
	;;#ASMSTART
	v_dot2_f32_f16 v74, v31, v89, v74
	;;#ASMEND
	;;#ASMSTART
	v_dot2_f32_f16 v75, v82, v24, v75
	;;#ASMEND
	s_nop 0
	;;#ASMSTART
	v_dot2_f32_f16 v75, v83, v25, v75
	;;#ASMEND
	s_nop 0
	;;#ASMSTART
	v_dot2_f32_f16 v75, v84, v26, v75
	;;#ASMEND
	s_nop 0
	;;#ASMSTART
	v_dot2_f32_f16 v75, v85, v27, v75
	;;#ASMEND
	;; [unrolled: 15-line block ×3, first 2 shown]
	ds_read_b128 v[24:27], v36 offset:528
	ds_read_b128 v[28:31], v45 offset:16
	;; [unrolled: 1-line block ×4, first 2 shown]
	s_waitcnt lgkmcnt(2)
	;;#ASMSTART
	v_dot2_f32_f16 v73, v28, v24, v73
	;;#ASMEND
	s_nop 0
	;;#ASMSTART
	v_dot2_f32_f16 v73, v29, v25, v73
	;;#ASMEND
	s_nop 0
	;; [unrolled: 4-line block ×3, first 2 shown]
	;;#ASMSTART
	v_dot2_f32_f16 v73, v31, v27, v73
	;;#ASMEND
	s_waitcnt lgkmcnt(0)
	;;#ASMSTART
	v_dot2_f32_f16 v74, v28, v86, v74
	;;#ASMEND
	s_nop 0
	;;#ASMSTART
	v_dot2_f32_f16 v74, v29, v87, v74
	;;#ASMEND
	s_nop 0
	;;#ASMSTART
	v_dot2_f32_f16 v74, v30, v88, v74
	;;#ASMEND
	s_nop 0
	;;#ASMSTART
	v_dot2_f32_f16 v74, v31, v89, v74
	;;#ASMEND
	;;#ASMSTART
	v_dot2_f32_f16 v75, v82, v24, v75
	;;#ASMEND
	s_nop 0
	;;#ASMSTART
	v_dot2_f32_f16 v75, v83, v25, v75
	;;#ASMEND
	s_nop 0
	;;#ASMSTART
	v_dot2_f32_f16 v75, v84, v26, v75
	;;#ASMEND
	s_nop 0
	;;#ASMSTART
	v_dot2_f32_f16 v75, v85, v27, v75
	;;#ASMEND
	;; [unrolled: 15-line block ×3, first 2 shown]
	ds_read_b128 v[24:27], v36 offset:544
	ds_read_b128 v[28:31], v45 offset:32
	;; [unrolled: 1-line block ×4, first 2 shown]
	s_waitcnt lgkmcnt(2)
	;;#ASMSTART
	v_dot2_f32_f16 v73, v28, v24, v73
	;;#ASMEND
	s_nop 0
	;;#ASMSTART
	v_dot2_f32_f16 v73, v29, v25, v73
	;;#ASMEND
	s_nop 0
	;; [unrolled: 4-line block ×3, first 2 shown]
	;;#ASMSTART
	v_dot2_f32_f16 v73, v31, v27, v73
	;;#ASMEND
	s_waitcnt lgkmcnt(0)
	;;#ASMSTART
	v_dot2_f32_f16 v74, v28, v86, v74
	;;#ASMEND
	s_nop 0
	;;#ASMSTART
	v_dot2_f32_f16 v74, v29, v87, v74
	;;#ASMEND
	s_nop 0
	;;#ASMSTART
	v_dot2_f32_f16 v74, v30, v88, v74
	;;#ASMEND
	s_nop 0
	;;#ASMSTART
	v_dot2_f32_f16 v74, v31, v89, v74
	;;#ASMEND
	;;#ASMSTART
	v_dot2_f32_f16 v75, v82, v24, v75
	;;#ASMEND
	s_nop 0
	;;#ASMSTART
	v_dot2_f32_f16 v75, v83, v25, v75
	;;#ASMEND
	s_nop 0
	;;#ASMSTART
	v_dot2_f32_f16 v75, v84, v26, v75
	;;#ASMEND
	s_nop 0
	;;#ASMSTART
	v_dot2_f32_f16 v75, v85, v27, v75
	;;#ASMEND
	;; [unrolled: 15-line block ×3, first 2 shown]
	ds_read_b128 v[24:27], v36 offset:560
	ds_read_b128 v[28:31], v45 offset:48
	;; [unrolled: 1-line block ×4, first 2 shown]
	s_waitcnt lgkmcnt(2)
	;;#ASMSTART
	v_dot2_f32_f16 v73, v28, v24, v73
	;;#ASMEND
	s_nop 0
	;;#ASMSTART
	v_dot2_f32_f16 v73, v29, v25, v73
	;;#ASMEND
	s_nop 0
	;; [unrolled: 4-line block ×3, first 2 shown]
	;;#ASMSTART
	v_dot2_f32_f16 v73, v31, v27, v73
	;;#ASMEND
	s_waitcnt lgkmcnt(0)
	;;#ASMSTART
	v_dot2_f32_f16 v74, v28, v86, v74
	;;#ASMEND
	s_nop 0
	;;#ASMSTART
	v_dot2_f32_f16 v74, v29, v87, v74
	;;#ASMEND
	s_nop 0
	;;#ASMSTART
	v_dot2_f32_f16 v74, v30, v88, v74
	;;#ASMEND
	s_nop 0
	;;#ASMSTART
	v_dot2_f32_f16 v74, v31, v89, v74
	;;#ASMEND
	;;#ASMSTART
	v_dot2_f32_f16 v75, v82, v24, v75
	;;#ASMEND
	s_nop 0
	;;#ASMSTART
	v_dot2_f32_f16 v75, v83, v25, v75
	;;#ASMEND
	s_nop 0
	;;#ASMSTART
	v_dot2_f32_f16 v75, v84, v26, v75
	;;#ASMEND
	s_nop 0
	;;#ASMSTART
	v_dot2_f32_f16 v75, v85, v27, v75
	;;#ASMEND
	;; [unrolled: 15-line block ×3, first 2 shown]
	ds_read_b128 v[24:27], v36 offset:576
	ds_read_b128 v[28:31], v45 offset:64
	;; [unrolled: 1-line block ×4, first 2 shown]
	s_waitcnt lgkmcnt(2)
	;;#ASMSTART
	v_dot2_f32_f16 v73, v28, v24, v73
	;;#ASMEND
	s_nop 0
	;;#ASMSTART
	v_dot2_f32_f16 v73, v29, v25, v73
	;;#ASMEND
	s_nop 0
	;; [unrolled: 4-line block ×3, first 2 shown]
	;;#ASMSTART
	v_dot2_f32_f16 v73, v31, v27, v73
	;;#ASMEND
	s_waitcnt lgkmcnt(0)
	;;#ASMSTART
	v_dot2_f32_f16 v74, v28, v86, v74
	;;#ASMEND
	s_nop 0
	;;#ASMSTART
	v_dot2_f32_f16 v74, v29, v87, v74
	;;#ASMEND
	s_nop 0
	;;#ASMSTART
	v_dot2_f32_f16 v74, v30, v88, v74
	;;#ASMEND
	s_nop 0
	;;#ASMSTART
	v_dot2_f32_f16 v74, v31, v89, v74
	;;#ASMEND
	;;#ASMSTART
	v_dot2_f32_f16 v75, v82, v24, v75
	;;#ASMEND
	s_nop 0
	;;#ASMSTART
	v_dot2_f32_f16 v75, v83, v25, v75
	;;#ASMEND
	s_nop 0
	;;#ASMSTART
	v_dot2_f32_f16 v75, v84, v26, v75
	;;#ASMEND
	s_nop 0
	;;#ASMSTART
	v_dot2_f32_f16 v75, v85, v27, v75
	;;#ASMEND
	;; [unrolled: 15-line block ×3, first 2 shown]
	ds_read_b128 v[24:27], v36 offset:592
	ds_read_b128 v[28:31], v45 offset:80
	;; [unrolled: 1-line block ×4, first 2 shown]
	s_waitcnt lgkmcnt(2)
	;;#ASMSTART
	v_dot2_f32_f16 v73, v28, v24, v73
	;;#ASMEND
	s_nop 0
	;;#ASMSTART
	v_dot2_f32_f16 v73, v29, v25, v73
	;;#ASMEND
	s_nop 0
	;; [unrolled: 4-line block ×3, first 2 shown]
	;;#ASMSTART
	v_dot2_f32_f16 v73, v31, v27, v73
	;;#ASMEND
	s_waitcnt lgkmcnt(0)
	;;#ASMSTART
	v_dot2_f32_f16 v74, v28, v86, v74
	;;#ASMEND
	s_nop 0
	;;#ASMSTART
	v_dot2_f32_f16 v74, v29, v87, v74
	;;#ASMEND
	s_nop 0
	;;#ASMSTART
	v_dot2_f32_f16 v74, v30, v88, v74
	;;#ASMEND
	s_nop 0
	;;#ASMSTART
	v_dot2_f32_f16 v74, v31, v89, v74
	;;#ASMEND
	;;#ASMSTART
	v_dot2_f32_f16 v75, v82, v24, v75
	;;#ASMEND
	s_nop 0
	;;#ASMSTART
	v_dot2_f32_f16 v75, v83, v25, v75
	;;#ASMEND
	s_nop 0
	;;#ASMSTART
	v_dot2_f32_f16 v75, v84, v26, v75
	;;#ASMEND
	s_nop 0
	;;#ASMSTART
	v_dot2_f32_f16 v75, v85, v27, v75
	;;#ASMEND
	;; [unrolled: 15-line block ×3, first 2 shown]
	ds_read_b128 v[24:27], v36 offset:608
	ds_read_b128 v[28:31], v45 offset:96
	;; [unrolled: 1-line block ×4, first 2 shown]
	s_waitcnt lgkmcnt(2)
	;;#ASMSTART
	v_dot2_f32_f16 v73, v28, v24, v73
	;;#ASMEND
	s_nop 0
	;;#ASMSTART
	v_dot2_f32_f16 v73, v29, v25, v73
	;;#ASMEND
	s_nop 0
	;;#ASMSTART
	v_dot2_f32_f16 v73, v30, v26, v73
	;;#ASMEND
	s_nop 0
	;;#ASMSTART
	v_dot2_f32_f16 v73, v31, v27, v73
	;;#ASMEND
	s_waitcnt lgkmcnt(0)
	;;#ASMSTART
	v_dot2_f32_f16 v74, v28, v86, v74
	;;#ASMEND
	s_nop 0
	;;#ASMSTART
	v_dot2_f32_f16 v74, v29, v87, v74
	;;#ASMEND
	s_nop 0
	;;#ASMSTART
	v_dot2_f32_f16 v74, v30, v88, v74
	;;#ASMEND
	s_nop 0
	;;#ASMSTART
	v_dot2_f32_f16 v74, v31, v89, v74
	;;#ASMEND
	;;#ASMSTART
	v_dot2_f32_f16 v75, v82, v24, v75
	;;#ASMEND
	s_nop 0
	;;#ASMSTART
	v_dot2_f32_f16 v75, v83, v25, v75
	;;#ASMEND
	s_nop 0
	;;#ASMSTART
	v_dot2_f32_f16 v75, v84, v26, v75
	;;#ASMEND
	s_nop 0
	;;#ASMSTART
	v_dot2_f32_f16 v75, v85, v27, v75
	;;#ASMEND
	;; [unrolled: 15-line block ×3, first 2 shown]
	ds_read_b128 v[24:27], v36 offset:624
	ds_read_b128 v[28:31], v45 offset:112
	;; [unrolled: 1-line block ×4, first 2 shown]
	s_waitcnt lgkmcnt(2)
	;;#ASMSTART
	v_dot2_f32_f16 v73, v28, v24, v73
	;;#ASMEND
	s_nop 0
	;;#ASMSTART
	v_dot2_f32_f16 v73, v29, v25, v73
	;;#ASMEND
	s_nop 0
	;; [unrolled: 4-line block ×3, first 2 shown]
	;;#ASMSTART
	v_dot2_f32_f16 v73, v31, v27, v73
	;;#ASMEND
	s_waitcnt lgkmcnt(0)
	;;#ASMSTART
	v_dot2_f32_f16 v74, v28, v86, v74
	;;#ASMEND
	s_nop 0
	;;#ASMSTART
	v_dot2_f32_f16 v74, v29, v87, v74
	;;#ASMEND
	s_nop 0
	;;#ASMSTART
	v_dot2_f32_f16 v74, v30, v88, v74
	;;#ASMEND
	s_nop 0
	;;#ASMSTART
	v_dot2_f32_f16 v74, v31, v89, v74
	;;#ASMEND
	;;#ASMSTART
	v_dot2_f32_f16 v75, v82, v24, v75
	;;#ASMEND
	s_nop 0
	;;#ASMSTART
	v_dot2_f32_f16 v75, v83, v25, v75
	;;#ASMEND
	s_nop 0
	;;#ASMSTART
	v_dot2_f32_f16 v75, v84, v26, v75
	;;#ASMEND
	s_nop 0
	;;#ASMSTART
	v_dot2_f32_f16 v75, v85, v27, v75
	;;#ASMEND
	;; [unrolled: 15-line block ×3, first 2 shown]
	s_barrier
	global_load_dwordx4 v[24:27], v[18:19], off offset:640
	global_load_dwordx4 v[28:31], v[22:23], off offset:640
	s_waitcnt vmcnt(1)
	ds_write_b128 v43, v[24:27]
	s_waitcnt vmcnt(0)
	ds_write_b128 v44, v[28:31]
	s_waitcnt lgkmcnt(0)
	s_barrier
	ds_read_b128 v[24:27], v36 offset:640
	ds_read_b128 v[28:31], v45
	ds_read_b128 v[82:85], v45 offset:4608
	ds_read_b128 v[86:89], v36 offset:1664
	s_waitcnt lgkmcnt(2)
	;;#ASMSTART
	v_dot2_f32_f16 v73, v28, v24, v73
	;;#ASMEND
	s_nop 0
	;;#ASMSTART
	v_dot2_f32_f16 v73, v29, v25, v73
	;;#ASMEND
	s_nop 0
	;; [unrolled: 4-line block ×3, first 2 shown]
	;;#ASMSTART
	v_dot2_f32_f16 v73, v31, v27, v73
	;;#ASMEND
	s_waitcnt lgkmcnt(0)
	;;#ASMSTART
	v_dot2_f32_f16 v74, v28, v86, v74
	;;#ASMEND
	s_nop 0
	;;#ASMSTART
	v_dot2_f32_f16 v74, v29, v87, v74
	;;#ASMEND
	s_nop 0
	;;#ASMSTART
	v_dot2_f32_f16 v74, v30, v88, v74
	;;#ASMEND
	s_nop 0
	;;#ASMSTART
	v_dot2_f32_f16 v74, v31, v89, v74
	;;#ASMEND
	;;#ASMSTART
	v_dot2_f32_f16 v75, v82, v24, v75
	;;#ASMEND
	s_nop 0
	;;#ASMSTART
	v_dot2_f32_f16 v75, v83, v25, v75
	;;#ASMEND
	s_nop 0
	;;#ASMSTART
	v_dot2_f32_f16 v75, v84, v26, v75
	;;#ASMEND
	s_nop 0
	;;#ASMSTART
	v_dot2_f32_f16 v75, v85, v27, v75
	;;#ASMEND
	;; [unrolled: 15-line block ×3, first 2 shown]
	ds_read_b128 v[24:27], v36 offset:656
	ds_read_b128 v[28:31], v45 offset:16
	;; [unrolled: 1-line block ×4, first 2 shown]
	s_waitcnt lgkmcnt(2)
	;;#ASMSTART
	v_dot2_f32_f16 v73, v28, v24, v73
	;;#ASMEND
	s_nop 0
	;;#ASMSTART
	v_dot2_f32_f16 v73, v29, v25, v73
	;;#ASMEND
	s_nop 0
	;; [unrolled: 4-line block ×3, first 2 shown]
	;;#ASMSTART
	v_dot2_f32_f16 v73, v31, v27, v73
	;;#ASMEND
	s_waitcnt lgkmcnt(0)
	;;#ASMSTART
	v_dot2_f32_f16 v74, v28, v86, v74
	;;#ASMEND
	s_nop 0
	;;#ASMSTART
	v_dot2_f32_f16 v74, v29, v87, v74
	;;#ASMEND
	s_nop 0
	;;#ASMSTART
	v_dot2_f32_f16 v74, v30, v88, v74
	;;#ASMEND
	s_nop 0
	;;#ASMSTART
	v_dot2_f32_f16 v74, v31, v89, v74
	;;#ASMEND
	;;#ASMSTART
	v_dot2_f32_f16 v75, v82, v24, v75
	;;#ASMEND
	s_nop 0
	;;#ASMSTART
	v_dot2_f32_f16 v75, v83, v25, v75
	;;#ASMEND
	s_nop 0
	;;#ASMSTART
	v_dot2_f32_f16 v75, v84, v26, v75
	;;#ASMEND
	s_nop 0
	;;#ASMSTART
	v_dot2_f32_f16 v75, v85, v27, v75
	;;#ASMEND
	;; [unrolled: 15-line block ×3, first 2 shown]
	ds_read_b128 v[24:27], v36 offset:672
	ds_read_b128 v[28:31], v45 offset:32
	;; [unrolled: 1-line block ×4, first 2 shown]
	s_waitcnt lgkmcnt(2)
	;;#ASMSTART
	v_dot2_f32_f16 v73, v28, v24, v73
	;;#ASMEND
	s_nop 0
	;;#ASMSTART
	v_dot2_f32_f16 v73, v29, v25, v73
	;;#ASMEND
	s_nop 0
	;; [unrolled: 4-line block ×3, first 2 shown]
	;;#ASMSTART
	v_dot2_f32_f16 v73, v31, v27, v73
	;;#ASMEND
	s_waitcnt lgkmcnt(0)
	;;#ASMSTART
	v_dot2_f32_f16 v74, v28, v86, v74
	;;#ASMEND
	s_nop 0
	;;#ASMSTART
	v_dot2_f32_f16 v74, v29, v87, v74
	;;#ASMEND
	s_nop 0
	;;#ASMSTART
	v_dot2_f32_f16 v74, v30, v88, v74
	;;#ASMEND
	s_nop 0
	;;#ASMSTART
	v_dot2_f32_f16 v74, v31, v89, v74
	;;#ASMEND
	;;#ASMSTART
	v_dot2_f32_f16 v75, v82, v24, v75
	;;#ASMEND
	s_nop 0
	;;#ASMSTART
	v_dot2_f32_f16 v75, v83, v25, v75
	;;#ASMEND
	s_nop 0
	;;#ASMSTART
	v_dot2_f32_f16 v75, v84, v26, v75
	;;#ASMEND
	s_nop 0
	;;#ASMSTART
	v_dot2_f32_f16 v75, v85, v27, v75
	;;#ASMEND
	;; [unrolled: 15-line block ×3, first 2 shown]
	ds_read_b128 v[24:27], v36 offset:688
	ds_read_b128 v[28:31], v45 offset:48
	;; [unrolled: 1-line block ×4, first 2 shown]
	s_waitcnt lgkmcnt(2)
	;;#ASMSTART
	v_dot2_f32_f16 v73, v28, v24, v73
	;;#ASMEND
	s_nop 0
	;;#ASMSTART
	v_dot2_f32_f16 v73, v29, v25, v73
	;;#ASMEND
	s_nop 0
	;;#ASMSTART
	v_dot2_f32_f16 v73, v30, v26, v73
	;;#ASMEND
	s_nop 0
	;;#ASMSTART
	v_dot2_f32_f16 v73, v31, v27, v73
	;;#ASMEND
	s_waitcnt lgkmcnt(0)
	;;#ASMSTART
	v_dot2_f32_f16 v74, v28, v86, v74
	;;#ASMEND
	s_nop 0
	;;#ASMSTART
	v_dot2_f32_f16 v74, v29, v87, v74
	;;#ASMEND
	s_nop 0
	;;#ASMSTART
	v_dot2_f32_f16 v74, v30, v88, v74
	;;#ASMEND
	s_nop 0
	;;#ASMSTART
	v_dot2_f32_f16 v74, v31, v89, v74
	;;#ASMEND
	;;#ASMSTART
	v_dot2_f32_f16 v75, v82, v24, v75
	;;#ASMEND
	s_nop 0
	;;#ASMSTART
	v_dot2_f32_f16 v75, v83, v25, v75
	;;#ASMEND
	s_nop 0
	;;#ASMSTART
	v_dot2_f32_f16 v75, v84, v26, v75
	;;#ASMEND
	s_nop 0
	;;#ASMSTART
	v_dot2_f32_f16 v75, v85, v27, v75
	;;#ASMEND
	;; [unrolled: 15-line block ×3, first 2 shown]
	ds_read_b128 v[24:27], v36 offset:704
	ds_read_b128 v[28:31], v45 offset:64
	;; [unrolled: 1-line block ×4, first 2 shown]
	s_waitcnt lgkmcnt(2)
	;;#ASMSTART
	v_dot2_f32_f16 v73, v28, v24, v73
	;;#ASMEND
	s_nop 0
	;;#ASMSTART
	v_dot2_f32_f16 v73, v29, v25, v73
	;;#ASMEND
	s_nop 0
	;; [unrolled: 4-line block ×3, first 2 shown]
	;;#ASMSTART
	v_dot2_f32_f16 v73, v31, v27, v73
	;;#ASMEND
	s_waitcnt lgkmcnt(0)
	;;#ASMSTART
	v_dot2_f32_f16 v74, v28, v86, v74
	;;#ASMEND
	s_nop 0
	;;#ASMSTART
	v_dot2_f32_f16 v74, v29, v87, v74
	;;#ASMEND
	s_nop 0
	;;#ASMSTART
	v_dot2_f32_f16 v74, v30, v88, v74
	;;#ASMEND
	s_nop 0
	;;#ASMSTART
	v_dot2_f32_f16 v74, v31, v89, v74
	;;#ASMEND
	;;#ASMSTART
	v_dot2_f32_f16 v75, v82, v24, v75
	;;#ASMEND
	s_nop 0
	;;#ASMSTART
	v_dot2_f32_f16 v75, v83, v25, v75
	;;#ASMEND
	s_nop 0
	;;#ASMSTART
	v_dot2_f32_f16 v75, v84, v26, v75
	;;#ASMEND
	s_nop 0
	;;#ASMSTART
	v_dot2_f32_f16 v75, v85, v27, v75
	;;#ASMEND
	;; [unrolled: 15-line block ×3, first 2 shown]
	ds_read_b128 v[24:27], v36 offset:720
	ds_read_b128 v[28:31], v45 offset:80
	;; [unrolled: 1-line block ×4, first 2 shown]
	s_waitcnt lgkmcnt(2)
	;;#ASMSTART
	v_dot2_f32_f16 v73, v28, v24, v73
	;;#ASMEND
	s_nop 0
	;;#ASMSTART
	v_dot2_f32_f16 v73, v29, v25, v73
	;;#ASMEND
	s_nop 0
	;; [unrolled: 4-line block ×3, first 2 shown]
	;;#ASMSTART
	v_dot2_f32_f16 v73, v31, v27, v73
	;;#ASMEND
	s_waitcnt lgkmcnt(0)
	;;#ASMSTART
	v_dot2_f32_f16 v74, v28, v86, v74
	;;#ASMEND
	s_nop 0
	;;#ASMSTART
	v_dot2_f32_f16 v74, v29, v87, v74
	;;#ASMEND
	s_nop 0
	;;#ASMSTART
	v_dot2_f32_f16 v74, v30, v88, v74
	;;#ASMEND
	s_nop 0
	;;#ASMSTART
	v_dot2_f32_f16 v74, v31, v89, v74
	;;#ASMEND
	;;#ASMSTART
	v_dot2_f32_f16 v75, v82, v24, v75
	;;#ASMEND
	s_nop 0
	;;#ASMSTART
	v_dot2_f32_f16 v75, v83, v25, v75
	;;#ASMEND
	s_nop 0
	;;#ASMSTART
	v_dot2_f32_f16 v75, v84, v26, v75
	;;#ASMEND
	s_nop 0
	;;#ASMSTART
	v_dot2_f32_f16 v75, v85, v27, v75
	;;#ASMEND
	;; [unrolled: 15-line block ×3, first 2 shown]
	ds_read_b128 v[24:27], v36 offset:736
	ds_read_b128 v[28:31], v45 offset:96
	;; [unrolled: 1-line block ×4, first 2 shown]
	s_waitcnt lgkmcnt(2)
	;;#ASMSTART
	v_dot2_f32_f16 v73, v28, v24, v73
	;;#ASMEND
	s_nop 0
	;;#ASMSTART
	v_dot2_f32_f16 v73, v29, v25, v73
	;;#ASMEND
	s_nop 0
	;; [unrolled: 4-line block ×3, first 2 shown]
	;;#ASMSTART
	v_dot2_f32_f16 v73, v31, v27, v73
	;;#ASMEND
	s_waitcnt lgkmcnt(0)
	;;#ASMSTART
	v_dot2_f32_f16 v74, v28, v86, v74
	;;#ASMEND
	s_nop 0
	;;#ASMSTART
	v_dot2_f32_f16 v74, v29, v87, v74
	;;#ASMEND
	s_nop 0
	;;#ASMSTART
	v_dot2_f32_f16 v74, v30, v88, v74
	;;#ASMEND
	s_nop 0
	;;#ASMSTART
	v_dot2_f32_f16 v74, v31, v89, v74
	;;#ASMEND
	;;#ASMSTART
	v_dot2_f32_f16 v75, v82, v24, v75
	;;#ASMEND
	s_nop 0
	;;#ASMSTART
	v_dot2_f32_f16 v75, v83, v25, v75
	;;#ASMEND
	s_nop 0
	;;#ASMSTART
	v_dot2_f32_f16 v75, v84, v26, v75
	;;#ASMEND
	s_nop 0
	;;#ASMSTART
	v_dot2_f32_f16 v75, v85, v27, v75
	;;#ASMEND
	;; [unrolled: 15-line block ×3, first 2 shown]
	ds_read_b128 v[24:27], v36 offset:752
	ds_read_b128 v[28:31], v45 offset:112
	;; [unrolled: 1-line block ×4, first 2 shown]
	s_waitcnt lgkmcnt(2)
	;;#ASMSTART
	v_dot2_f32_f16 v73, v28, v24, v73
	;;#ASMEND
	s_nop 0
	;;#ASMSTART
	v_dot2_f32_f16 v73, v29, v25, v73
	;;#ASMEND
	s_nop 0
	;; [unrolled: 4-line block ×3, first 2 shown]
	;;#ASMSTART
	v_dot2_f32_f16 v73, v31, v27, v73
	;;#ASMEND
	s_waitcnt lgkmcnt(0)
	;;#ASMSTART
	v_dot2_f32_f16 v74, v28, v86, v74
	;;#ASMEND
	s_nop 0
	;;#ASMSTART
	v_dot2_f32_f16 v74, v29, v87, v74
	;;#ASMEND
	s_nop 0
	;;#ASMSTART
	v_dot2_f32_f16 v74, v30, v88, v74
	;;#ASMEND
	s_nop 0
	;;#ASMSTART
	v_dot2_f32_f16 v74, v31, v89, v74
	;;#ASMEND
	;;#ASMSTART
	v_dot2_f32_f16 v75, v82, v24, v75
	;;#ASMEND
	s_nop 0
	;;#ASMSTART
	v_dot2_f32_f16 v75, v83, v25, v75
	;;#ASMEND
	s_nop 0
	;;#ASMSTART
	v_dot2_f32_f16 v75, v84, v26, v75
	;;#ASMEND
	s_nop 0
	;;#ASMSTART
	v_dot2_f32_f16 v75, v85, v27, v75
	;;#ASMEND
	;; [unrolled: 15-line block ×3, first 2 shown]
	s_barrier
	global_load_dwordx4 v[24:27], v[18:19], off offset:768
	global_load_dwordx4 v[28:31], v[22:23], off offset:768
	s_waitcnt vmcnt(1)
	ds_write_b128 v43, v[24:27]
	s_waitcnt vmcnt(0)
	ds_write_b128 v44, v[28:31]
	s_waitcnt lgkmcnt(0)
	s_barrier
	ds_read_b128 v[24:27], v36 offset:768
	ds_read_b128 v[28:31], v45
	ds_read_b128 v[82:85], v45 offset:4608
	ds_read_b128 v[86:89], v36 offset:1792
	s_waitcnt lgkmcnt(2)
	;;#ASMSTART
	v_dot2_f32_f16 v73, v28, v24, v73
	;;#ASMEND
	s_nop 0
	;;#ASMSTART
	v_dot2_f32_f16 v73, v29, v25, v73
	;;#ASMEND
	s_nop 0
	;; [unrolled: 4-line block ×3, first 2 shown]
	;;#ASMSTART
	v_dot2_f32_f16 v73, v31, v27, v73
	;;#ASMEND
	s_waitcnt lgkmcnt(0)
	;;#ASMSTART
	v_dot2_f32_f16 v74, v28, v86, v74
	;;#ASMEND
	s_nop 0
	;;#ASMSTART
	v_dot2_f32_f16 v74, v29, v87, v74
	;;#ASMEND
	s_nop 0
	;;#ASMSTART
	v_dot2_f32_f16 v74, v30, v88, v74
	;;#ASMEND
	s_nop 0
	;;#ASMSTART
	v_dot2_f32_f16 v74, v31, v89, v74
	;;#ASMEND
	;;#ASMSTART
	v_dot2_f32_f16 v75, v82, v24, v75
	;;#ASMEND
	s_nop 0
	;;#ASMSTART
	v_dot2_f32_f16 v75, v83, v25, v75
	;;#ASMEND
	s_nop 0
	;;#ASMSTART
	v_dot2_f32_f16 v75, v84, v26, v75
	;;#ASMEND
	s_nop 0
	;;#ASMSTART
	v_dot2_f32_f16 v75, v85, v27, v75
	;;#ASMEND
	;; [unrolled: 15-line block ×3, first 2 shown]
	ds_read_b128 v[24:27], v36 offset:784
	ds_read_b128 v[28:31], v45 offset:16
	;; [unrolled: 1-line block ×4, first 2 shown]
	s_waitcnt lgkmcnt(2)
	;;#ASMSTART
	v_dot2_f32_f16 v73, v28, v24, v73
	;;#ASMEND
	s_nop 0
	;;#ASMSTART
	v_dot2_f32_f16 v73, v29, v25, v73
	;;#ASMEND
	s_nop 0
	;; [unrolled: 4-line block ×3, first 2 shown]
	;;#ASMSTART
	v_dot2_f32_f16 v73, v31, v27, v73
	;;#ASMEND
	s_waitcnt lgkmcnt(0)
	;;#ASMSTART
	v_dot2_f32_f16 v74, v28, v86, v74
	;;#ASMEND
	s_nop 0
	;;#ASMSTART
	v_dot2_f32_f16 v74, v29, v87, v74
	;;#ASMEND
	s_nop 0
	;;#ASMSTART
	v_dot2_f32_f16 v74, v30, v88, v74
	;;#ASMEND
	s_nop 0
	;;#ASMSTART
	v_dot2_f32_f16 v74, v31, v89, v74
	;;#ASMEND
	;;#ASMSTART
	v_dot2_f32_f16 v75, v82, v24, v75
	;;#ASMEND
	s_nop 0
	;;#ASMSTART
	v_dot2_f32_f16 v75, v83, v25, v75
	;;#ASMEND
	s_nop 0
	;;#ASMSTART
	v_dot2_f32_f16 v75, v84, v26, v75
	;;#ASMEND
	s_nop 0
	;;#ASMSTART
	v_dot2_f32_f16 v75, v85, v27, v75
	;;#ASMEND
	;; [unrolled: 15-line block ×3, first 2 shown]
	ds_read_b128 v[24:27], v36 offset:800
	ds_read_b128 v[28:31], v45 offset:32
	;; [unrolled: 1-line block ×4, first 2 shown]
	s_waitcnt lgkmcnt(2)
	;;#ASMSTART
	v_dot2_f32_f16 v73, v28, v24, v73
	;;#ASMEND
	s_nop 0
	;;#ASMSTART
	v_dot2_f32_f16 v73, v29, v25, v73
	;;#ASMEND
	s_nop 0
	;; [unrolled: 4-line block ×3, first 2 shown]
	;;#ASMSTART
	v_dot2_f32_f16 v73, v31, v27, v73
	;;#ASMEND
	s_waitcnt lgkmcnt(0)
	;;#ASMSTART
	v_dot2_f32_f16 v74, v28, v86, v74
	;;#ASMEND
	s_nop 0
	;;#ASMSTART
	v_dot2_f32_f16 v74, v29, v87, v74
	;;#ASMEND
	s_nop 0
	;;#ASMSTART
	v_dot2_f32_f16 v74, v30, v88, v74
	;;#ASMEND
	s_nop 0
	;;#ASMSTART
	v_dot2_f32_f16 v74, v31, v89, v74
	;;#ASMEND
	;;#ASMSTART
	v_dot2_f32_f16 v75, v82, v24, v75
	;;#ASMEND
	s_nop 0
	;;#ASMSTART
	v_dot2_f32_f16 v75, v83, v25, v75
	;;#ASMEND
	s_nop 0
	;;#ASMSTART
	v_dot2_f32_f16 v75, v84, v26, v75
	;;#ASMEND
	s_nop 0
	;;#ASMSTART
	v_dot2_f32_f16 v75, v85, v27, v75
	;;#ASMEND
	;; [unrolled: 15-line block ×3, first 2 shown]
	ds_read_b128 v[24:27], v36 offset:816
	ds_read_b128 v[28:31], v45 offset:48
	;; [unrolled: 1-line block ×4, first 2 shown]
	s_waitcnt lgkmcnt(2)
	;;#ASMSTART
	v_dot2_f32_f16 v73, v28, v24, v73
	;;#ASMEND
	s_nop 0
	;;#ASMSTART
	v_dot2_f32_f16 v73, v29, v25, v73
	;;#ASMEND
	s_nop 0
	;; [unrolled: 4-line block ×3, first 2 shown]
	;;#ASMSTART
	v_dot2_f32_f16 v73, v31, v27, v73
	;;#ASMEND
	s_waitcnt lgkmcnt(0)
	;;#ASMSTART
	v_dot2_f32_f16 v74, v28, v86, v74
	;;#ASMEND
	s_nop 0
	;;#ASMSTART
	v_dot2_f32_f16 v74, v29, v87, v74
	;;#ASMEND
	s_nop 0
	;;#ASMSTART
	v_dot2_f32_f16 v74, v30, v88, v74
	;;#ASMEND
	s_nop 0
	;;#ASMSTART
	v_dot2_f32_f16 v74, v31, v89, v74
	;;#ASMEND
	;;#ASMSTART
	v_dot2_f32_f16 v75, v82, v24, v75
	;;#ASMEND
	s_nop 0
	;;#ASMSTART
	v_dot2_f32_f16 v75, v83, v25, v75
	;;#ASMEND
	s_nop 0
	;;#ASMSTART
	v_dot2_f32_f16 v75, v84, v26, v75
	;;#ASMEND
	s_nop 0
	;;#ASMSTART
	v_dot2_f32_f16 v75, v85, v27, v75
	;;#ASMEND
	;; [unrolled: 15-line block ×3, first 2 shown]
	ds_read_b128 v[24:27], v36 offset:832
	ds_read_b128 v[28:31], v45 offset:64
	;; [unrolled: 1-line block ×4, first 2 shown]
	s_waitcnt lgkmcnt(2)
	;;#ASMSTART
	v_dot2_f32_f16 v73, v28, v24, v73
	;;#ASMEND
	s_nop 0
	;;#ASMSTART
	v_dot2_f32_f16 v73, v29, v25, v73
	;;#ASMEND
	s_nop 0
	;; [unrolled: 4-line block ×3, first 2 shown]
	;;#ASMSTART
	v_dot2_f32_f16 v73, v31, v27, v73
	;;#ASMEND
	s_waitcnt lgkmcnt(0)
	;;#ASMSTART
	v_dot2_f32_f16 v74, v28, v86, v74
	;;#ASMEND
	s_nop 0
	;;#ASMSTART
	v_dot2_f32_f16 v74, v29, v87, v74
	;;#ASMEND
	s_nop 0
	;;#ASMSTART
	v_dot2_f32_f16 v74, v30, v88, v74
	;;#ASMEND
	s_nop 0
	;;#ASMSTART
	v_dot2_f32_f16 v74, v31, v89, v74
	;;#ASMEND
	;;#ASMSTART
	v_dot2_f32_f16 v75, v82, v24, v75
	;;#ASMEND
	s_nop 0
	;;#ASMSTART
	v_dot2_f32_f16 v75, v83, v25, v75
	;;#ASMEND
	s_nop 0
	;;#ASMSTART
	v_dot2_f32_f16 v75, v84, v26, v75
	;;#ASMEND
	s_nop 0
	;;#ASMSTART
	v_dot2_f32_f16 v75, v85, v27, v75
	;;#ASMEND
	;; [unrolled: 15-line block ×3, first 2 shown]
	ds_read_b128 v[24:27], v36 offset:848
	ds_read_b128 v[28:31], v45 offset:80
	;; [unrolled: 1-line block ×4, first 2 shown]
	s_waitcnt lgkmcnt(2)
	;;#ASMSTART
	v_dot2_f32_f16 v73, v28, v24, v73
	;;#ASMEND
	s_nop 0
	;;#ASMSTART
	v_dot2_f32_f16 v73, v29, v25, v73
	;;#ASMEND
	s_nop 0
	;;#ASMSTART
	v_dot2_f32_f16 v73, v30, v26, v73
	;;#ASMEND
	s_nop 0
	;;#ASMSTART
	v_dot2_f32_f16 v73, v31, v27, v73
	;;#ASMEND
	s_waitcnt lgkmcnt(0)
	;;#ASMSTART
	v_dot2_f32_f16 v74, v28, v86, v74
	;;#ASMEND
	s_nop 0
	;;#ASMSTART
	v_dot2_f32_f16 v74, v29, v87, v74
	;;#ASMEND
	s_nop 0
	;;#ASMSTART
	v_dot2_f32_f16 v74, v30, v88, v74
	;;#ASMEND
	s_nop 0
	;;#ASMSTART
	v_dot2_f32_f16 v74, v31, v89, v74
	;;#ASMEND
	;;#ASMSTART
	v_dot2_f32_f16 v75, v82, v24, v75
	;;#ASMEND
	s_nop 0
	;;#ASMSTART
	v_dot2_f32_f16 v75, v83, v25, v75
	;;#ASMEND
	s_nop 0
	;;#ASMSTART
	v_dot2_f32_f16 v75, v84, v26, v75
	;;#ASMEND
	s_nop 0
	;;#ASMSTART
	v_dot2_f32_f16 v75, v85, v27, v75
	;;#ASMEND
	;; [unrolled: 15-line block ×3, first 2 shown]
	ds_read_b128 v[24:27], v36 offset:864
	ds_read_b128 v[28:31], v45 offset:96
	;; [unrolled: 1-line block ×4, first 2 shown]
	s_waitcnt lgkmcnt(2)
	;;#ASMSTART
	v_dot2_f32_f16 v73, v28, v24, v73
	;;#ASMEND
	s_nop 0
	;;#ASMSTART
	v_dot2_f32_f16 v73, v29, v25, v73
	;;#ASMEND
	s_nop 0
	;; [unrolled: 4-line block ×3, first 2 shown]
	;;#ASMSTART
	v_dot2_f32_f16 v73, v31, v27, v73
	;;#ASMEND
	s_waitcnt lgkmcnt(0)
	;;#ASMSTART
	v_dot2_f32_f16 v74, v28, v86, v74
	;;#ASMEND
	s_nop 0
	;;#ASMSTART
	v_dot2_f32_f16 v74, v29, v87, v74
	;;#ASMEND
	s_nop 0
	;;#ASMSTART
	v_dot2_f32_f16 v74, v30, v88, v74
	;;#ASMEND
	s_nop 0
	;;#ASMSTART
	v_dot2_f32_f16 v74, v31, v89, v74
	;;#ASMEND
	;;#ASMSTART
	v_dot2_f32_f16 v75, v82, v24, v75
	;;#ASMEND
	s_nop 0
	;;#ASMSTART
	v_dot2_f32_f16 v75, v83, v25, v75
	;;#ASMEND
	s_nop 0
	;;#ASMSTART
	v_dot2_f32_f16 v75, v84, v26, v75
	;;#ASMEND
	s_nop 0
	;;#ASMSTART
	v_dot2_f32_f16 v75, v85, v27, v75
	;;#ASMEND
	;; [unrolled: 15-line block ×3, first 2 shown]
	ds_read_b128 v[24:27], v36 offset:880
	ds_read_b128 v[28:31], v45 offset:112
	ds_read_b128 v[82:85], v45 offset:4720
	ds_read_b128 v[86:89], v36 offset:1904
	s_waitcnt lgkmcnt(2)
	;;#ASMSTART
	v_dot2_f32_f16 v73, v28, v24, v73
	;;#ASMEND
	s_nop 0
	;;#ASMSTART
	v_dot2_f32_f16 v73, v29, v25, v73
	;;#ASMEND
	s_nop 0
	;; [unrolled: 4-line block ×3, first 2 shown]
	;;#ASMSTART
	v_dot2_f32_f16 v73, v31, v27, v73
	;;#ASMEND
	s_waitcnt lgkmcnt(0)
	;;#ASMSTART
	v_dot2_f32_f16 v74, v28, v86, v74
	;;#ASMEND
	s_nop 0
	;;#ASMSTART
	v_dot2_f32_f16 v74, v29, v87, v74
	;;#ASMEND
	s_nop 0
	;; [unrolled: 4-line block ×3, first 2 shown]
	;;#ASMSTART
	v_dot2_f32_f16 v74, v31, v89, v74
	;;#ASMEND
	;;#ASMSTART
	v_dot2_f32_f16 v75, v82, v24, v75
	;;#ASMEND
	v_lshl_add_u64 v[30:31], s[14:15], 2, v[16:17]
	;;#ASMSTART
	v_dot2_f32_f16 v75, v83, v25, v75
	;;#ASMEND
	s_nop 0
	;;#ASMSTART
	v_dot2_f32_f16 v75, v84, v26, v75
	;;#ASMEND
	s_nop 0
	;;#ASMSTART
	v_dot2_f32_f16 v75, v85, v27, v75
	;;#ASMEND
	;;#ASMSTART
	v_dot2_f32_f16 v76, v82, v86, v76
	;;#ASMEND
	s_nop 0
	;;#ASMSTART
	v_dot2_f32_f16 v76, v83, v87, v76
	;;#ASMEND
	s_nop 0
	;; [unrolled: 4-line block ×3, first 2 shown]
	;;#ASMSTART
	v_dot2_f32_f16 v76, v85, v89, v76
	;;#ASMEND
	s_barrier
	global_load_dwordx4 v[24:27], v[18:19], off offset:896
	global_load_dwordx4 v[82:85], v[22:23], off offset:896
	s_waitcnt vmcnt(1)
	ds_write_b128 v43, v[24:27]
	s_waitcnt vmcnt(0)
	ds_write_b128 v44, v[82:85]
	s_waitcnt lgkmcnt(0)
	s_barrier
	ds_read_b128 v[22:25], v36 offset:896
	ds_read_b128 v[26:29], v45
	ds_read_b128 v[82:85], v45 offset:4608
	ds_read_b128 v[86:89], v36 offset:1920
	s_waitcnt lgkmcnt(2)
	;;#ASMSTART
	v_dot2_f32_f16 v73, v26, v22, v73
	;;#ASMEND
	s_nop 0
	;;#ASMSTART
	v_dot2_f32_f16 v73, v27, v23, v73
	;;#ASMEND
	s_nop 0
	;; [unrolled: 4-line block ×3, first 2 shown]
	;;#ASMSTART
	v_dot2_f32_f16 v73, v29, v25, v73
	;;#ASMEND
	s_waitcnt lgkmcnt(0)
	;;#ASMSTART
	v_dot2_f32_f16 v74, v26, v86, v74
	;;#ASMEND
	s_nop 0
	;;#ASMSTART
	v_dot2_f32_f16 v74, v27, v87, v74
	;;#ASMEND
	s_nop 0
	;;#ASMSTART
	v_dot2_f32_f16 v74, v28, v88, v74
	;;#ASMEND
	s_nop 0
	;;#ASMSTART
	v_dot2_f32_f16 v74, v29, v89, v74
	;;#ASMEND
	;;#ASMSTART
	v_dot2_f32_f16 v75, v82, v22, v75
	;;#ASMEND
	s_nop 0
	;;#ASMSTART
	v_dot2_f32_f16 v75, v83, v23, v75
	;;#ASMEND
	s_nop 0
	;;#ASMSTART
	v_dot2_f32_f16 v75, v84, v24, v75
	;;#ASMEND
	s_nop 0
	;;#ASMSTART
	v_dot2_f32_f16 v75, v85, v25, v75
	;;#ASMEND
	;; [unrolled: 15-line block ×3, first 2 shown]
	ds_read_b128 v[22:25], v36 offset:912
	ds_read_b128 v[26:29], v45 offset:16
	;; [unrolled: 1-line block ×4, first 2 shown]
	s_waitcnt lgkmcnt(2)
	;;#ASMSTART
	v_dot2_f32_f16 v73, v26, v22, v73
	;;#ASMEND
	s_nop 0
	;;#ASMSTART
	v_dot2_f32_f16 v73, v27, v23, v73
	;;#ASMEND
	s_nop 0
	;; [unrolled: 4-line block ×3, first 2 shown]
	;;#ASMSTART
	v_dot2_f32_f16 v73, v29, v25, v73
	;;#ASMEND
	s_waitcnt lgkmcnt(0)
	;;#ASMSTART
	v_dot2_f32_f16 v74, v26, v86, v74
	;;#ASMEND
	s_nop 0
	;;#ASMSTART
	v_dot2_f32_f16 v74, v27, v87, v74
	;;#ASMEND
	s_nop 0
	;;#ASMSTART
	v_dot2_f32_f16 v74, v28, v88, v74
	;;#ASMEND
	s_nop 0
	;;#ASMSTART
	v_dot2_f32_f16 v74, v29, v89, v74
	;;#ASMEND
	;;#ASMSTART
	v_dot2_f32_f16 v75, v82, v22, v75
	;;#ASMEND
	s_nop 0
	;;#ASMSTART
	v_dot2_f32_f16 v75, v83, v23, v75
	;;#ASMEND
	s_nop 0
	;;#ASMSTART
	v_dot2_f32_f16 v75, v84, v24, v75
	;;#ASMEND
	s_nop 0
	;;#ASMSTART
	v_dot2_f32_f16 v75, v85, v25, v75
	;;#ASMEND
	;; [unrolled: 15-line block ×3, first 2 shown]
	ds_read_b128 v[22:25], v36 offset:928
	ds_read_b128 v[26:29], v45 offset:32
	;; [unrolled: 1-line block ×4, first 2 shown]
	s_waitcnt lgkmcnt(2)
	;;#ASMSTART
	v_dot2_f32_f16 v73, v26, v22, v73
	;;#ASMEND
	s_nop 0
	;;#ASMSTART
	v_dot2_f32_f16 v73, v27, v23, v73
	;;#ASMEND
	s_nop 0
	;; [unrolled: 4-line block ×3, first 2 shown]
	;;#ASMSTART
	v_dot2_f32_f16 v73, v29, v25, v73
	;;#ASMEND
	s_waitcnt lgkmcnt(0)
	;;#ASMSTART
	v_dot2_f32_f16 v74, v26, v86, v74
	;;#ASMEND
	s_nop 0
	;;#ASMSTART
	v_dot2_f32_f16 v74, v27, v87, v74
	;;#ASMEND
	s_nop 0
	;;#ASMSTART
	v_dot2_f32_f16 v74, v28, v88, v74
	;;#ASMEND
	s_nop 0
	;;#ASMSTART
	v_dot2_f32_f16 v74, v29, v89, v74
	;;#ASMEND
	;;#ASMSTART
	v_dot2_f32_f16 v75, v82, v22, v75
	;;#ASMEND
	s_nop 0
	;;#ASMSTART
	v_dot2_f32_f16 v75, v83, v23, v75
	;;#ASMEND
	s_nop 0
	;;#ASMSTART
	v_dot2_f32_f16 v75, v84, v24, v75
	;;#ASMEND
	s_nop 0
	;;#ASMSTART
	v_dot2_f32_f16 v75, v85, v25, v75
	;;#ASMEND
	;; [unrolled: 15-line block ×3, first 2 shown]
	ds_read_b128 v[22:25], v36 offset:944
	ds_read_b128 v[26:29], v45 offset:48
	;; [unrolled: 1-line block ×4, first 2 shown]
	s_waitcnt lgkmcnt(2)
	;;#ASMSTART
	v_dot2_f32_f16 v73, v26, v22, v73
	;;#ASMEND
	s_nop 0
	;;#ASMSTART
	v_dot2_f32_f16 v73, v27, v23, v73
	;;#ASMEND
	s_nop 0
	;; [unrolled: 4-line block ×3, first 2 shown]
	;;#ASMSTART
	v_dot2_f32_f16 v73, v29, v25, v73
	;;#ASMEND
	s_waitcnt lgkmcnt(0)
	;;#ASMSTART
	v_dot2_f32_f16 v74, v26, v86, v74
	;;#ASMEND
	s_nop 0
	;;#ASMSTART
	v_dot2_f32_f16 v74, v27, v87, v74
	;;#ASMEND
	s_nop 0
	;;#ASMSTART
	v_dot2_f32_f16 v74, v28, v88, v74
	;;#ASMEND
	s_nop 0
	;;#ASMSTART
	v_dot2_f32_f16 v74, v29, v89, v74
	;;#ASMEND
	;;#ASMSTART
	v_dot2_f32_f16 v75, v82, v22, v75
	;;#ASMEND
	s_nop 0
	;;#ASMSTART
	v_dot2_f32_f16 v75, v83, v23, v75
	;;#ASMEND
	s_nop 0
	;;#ASMSTART
	v_dot2_f32_f16 v75, v84, v24, v75
	;;#ASMEND
	s_nop 0
	;;#ASMSTART
	v_dot2_f32_f16 v75, v85, v25, v75
	;;#ASMEND
	;;#ASMSTART
	v_dot2_f32_f16 v76, v82, v86, v76
	;;#ASMEND
	s_nop 0
	;;#ASMSTART
	v_dot2_f32_f16 v76, v83, v87, v76
	;;#ASMEND
	s_nop 0
	;;#ASMSTART
	v_dot2_f32_f16 v76, v84, v88, v76
	;;#ASMEND
	s_nop 0
	;;#ASMSTART
	v_dot2_f32_f16 v76, v85, v89, v76
	;;#ASMEND
	ds_read_b128 v[22:25], v36 offset:960
	ds_read_b128 v[26:29], v45 offset:64
	;; [unrolled: 1-line block ×4, first 2 shown]
	s_waitcnt lgkmcnt(2)
	;;#ASMSTART
	v_dot2_f32_f16 v73, v26, v22, v73
	;;#ASMEND
	s_nop 0
	;;#ASMSTART
	v_dot2_f32_f16 v73, v27, v23, v73
	;;#ASMEND
	s_nop 0
	;; [unrolled: 4-line block ×3, first 2 shown]
	;;#ASMSTART
	v_dot2_f32_f16 v73, v29, v25, v73
	;;#ASMEND
	s_waitcnt lgkmcnt(0)
	;;#ASMSTART
	v_dot2_f32_f16 v74, v26, v86, v74
	;;#ASMEND
	s_nop 0
	;;#ASMSTART
	v_dot2_f32_f16 v74, v27, v87, v74
	;;#ASMEND
	s_nop 0
	;;#ASMSTART
	v_dot2_f32_f16 v74, v28, v88, v74
	;;#ASMEND
	s_nop 0
	;;#ASMSTART
	v_dot2_f32_f16 v74, v29, v89, v74
	;;#ASMEND
	;;#ASMSTART
	v_dot2_f32_f16 v75, v82, v22, v75
	;;#ASMEND
	s_nop 0
	;;#ASMSTART
	v_dot2_f32_f16 v75, v83, v23, v75
	;;#ASMEND
	s_nop 0
	;;#ASMSTART
	v_dot2_f32_f16 v75, v84, v24, v75
	;;#ASMEND
	s_nop 0
	;;#ASMSTART
	v_dot2_f32_f16 v75, v85, v25, v75
	;;#ASMEND
	;;#ASMSTART
	v_dot2_f32_f16 v76, v82, v86, v76
	;;#ASMEND
	s_nop 0
	;;#ASMSTART
	v_dot2_f32_f16 v76, v83, v87, v76
	;;#ASMEND
	s_nop 0
	;;#ASMSTART
	v_dot2_f32_f16 v76, v84, v88, v76
	;;#ASMEND
	s_nop 0
	;;#ASMSTART
	v_dot2_f32_f16 v76, v85, v89, v76
	;;#ASMEND
	ds_read_b128 v[22:25], v36 offset:976
	ds_read_b128 v[26:29], v45 offset:80
	;; [unrolled: 1-line block ×4, first 2 shown]
	s_waitcnt lgkmcnt(2)
	;;#ASMSTART
	v_dot2_f32_f16 v73, v26, v22, v73
	;;#ASMEND
	s_nop 0
	;;#ASMSTART
	v_dot2_f32_f16 v73, v27, v23, v73
	;;#ASMEND
	s_nop 0
	;;#ASMSTART
	v_dot2_f32_f16 v73, v28, v24, v73
	;;#ASMEND
	s_nop 0
	;;#ASMSTART
	v_dot2_f32_f16 v73, v29, v25, v73
	;;#ASMEND
	s_waitcnt lgkmcnt(0)
	;;#ASMSTART
	v_dot2_f32_f16 v74, v26, v86, v74
	;;#ASMEND
	s_nop 0
	;;#ASMSTART
	v_dot2_f32_f16 v74, v27, v87, v74
	;;#ASMEND
	s_nop 0
	;;#ASMSTART
	v_dot2_f32_f16 v74, v28, v88, v74
	;;#ASMEND
	s_nop 0
	;;#ASMSTART
	v_dot2_f32_f16 v74, v29, v89, v74
	;;#ASMEND
	;;#ASMSTART
	v_dot2_f32_f16 v75, v82, v22, v75
	;;#ASMEND
	s_nop 0
	;;#ASMSTART
	v_dot2_f32_f16 v75, v83, v23, v75
	;;#ASMEND
	s_nop 0
	;;#ASMSTART
	v_dot2_f32_f16 v75, v84, v24, v75
	;;#ASMEND
	s_nop 0
	;;#ASMSTART
	v_dot2_f32_f16 v75, v85, v25, v75
	;;#ASMEND
	;; [unrolled: 15-line block ×3, first 2 shown]
	ds_read_b128 v[22:25], v36 offset:992
	ds_read_b128 v[26:29], v45 offset:96
	;; [unrolled: 1-line block ×4, first 2 shown]
	s_waitcnt lgkmcnt(2)
	;;#ASMSTART
	v_dot2_f32_f16 v73, v26, v22, v73
	;;#ASMEND
	s_nop 0
	;;#ASMSTART
	v_dot2_f32_f16 v73, v27, v23, v73
	;;#ASMEND
	s_nop 0
	;;#ASMSTART
	v_dot2_f32_f16 v73, v28, v24, v73
	;;#ASMEND
	s_nop 0
	;;#ASMSTART
	v_dot2_f32_f16 v73, v29, v25, v73
	;;#ASMEND
	s_waitcnt lgkmcnt(0)
	;;#ASMSTART
	v_dot2_f32_f16 v74, v26, v86, v74
	;;#ASMEND
	s_nop 0
	;;#ASMSTART
	v_dot2_f32_f16 v74, v27, v87, v74
	;;#ASMEND
	s_nop 0
	;;#ASMSTART
	v_dot2_f32_f16 v74, v28, v88, v74
	;;#ASMEND
	s_nop 0
	;;#ASMSTART
	v_dot2_f32_f16 v74, v29, v89, v74
	;;#ASMEND
	;;#ASMSTART
	v_dot2_f32_f16 v75, v82, v22, v75
	;;#ASMEND
	s_nop 0
	;;#ASMSTART
	v_dot2_f32_f16 v75, v83, v23, v75
	;;#ASMEND
	s_nop 0
	;;#ASMSTART
	v_dot2_f32_f16 v75, v84, v24, v75
	;;#ASMEND
	s_nop 0
	;;#ASMSTART
	v_dot2_f32_f16 v75, v85, v25, v75
	;;#ASMEND
	;; [unrolled: 15-line block ×3, first 2 shown]
	ds_read_b128 v[22:25], v36 offset:1008
	ds_read_b128 v[26:29], v45 offset:112
	;; [unrolled: 1-line block ×4, first 2 shown]
	s_waitcnt lgkmcnt(2)
	;;#ASMSTART
	v_dot2_f32_f16 v73, v26, v22, v73
	;;#ASMEND
	s_nop 0
	;;#ASMSTART
	v_dot2_f32_f16 v73, v27, v23, v73
	;;#ASMEND
	s_nop 0
	;; [unrolled: 4-line block ×3, first 2 shown]
	;;#ASMSTART
	v_dot2_f32_f16 v73, v29, v25, v73
	;;#ASMEND
	s_waitcnt lgkmcnt(0)
	;;#ASMSTART
	v_dot2_f32_f16 v74, v26, v86, v74
	;;#ASMEND
	s_nop 0
	;;#ASMSTART
	v_dot2_f32_f16 v74, v27, v87, v74
	;;#ASMEND
	v_lshl_add_u64 v[26:27], s[10:11], 2, v[16:17]
	;;#ASMSTART
	v_dot2_f32_f16 v74, v28, v88, v74
	;;#ASMEND
	s_nop 0
	;;#ASMSTART
	v_dot2_f32_f16 v74, v29, v89, v74
	;;#ASMEND
	;;#ASMSTART
	v_dot2_f32_f16 v75, v82, v22, v75
	;;#ASMEND
	v_lshl_add_u64 v[28:29], s[8:9], 2, v[16:17]
	;;#ASMSTART
	v_dot2_f32_f16 v75, v83, v23, v75
	;;#ASMEND
	v_lshl_add_u64 v[22:23], s[6:7], 2, v[16:17]
	;;#ASMSTART
	v_dot2_f32_f16 v75, v84, v24, v75
	;;#ASMEND
	s_nop 0
	;;#ASMSTART
	v_dot2_f32_f16 v75, v85, v25, v75
	;;#ASMEND
	;;#ASMSTART
	v_dot2_f32_f16 v76, v82, v86, v76
	;;#ASMEND
	v_lshl_add_u64 v[24:25], s[4:5], 2, v[16:17]
	;;#ASMSTART
	v_dot2_f32_f16 v76, v83, v87, v76
	;;#ASMEND
	s_nop 0
	;;#ASMSTART
	v_dot2_f32_f16 v76, v84, v88, v76
	;;#ASMEND
	s_nop 0
	;;#ASMSTART
	v_dot2_f32_f16 v76, v85, v89, v76
	;;#ASMEND
	global_load_ushort v18, v[2:3], off
	global_load_ushort v19, v[2:3], off offset:64
	s_barrier
	global_load_dwordx4 v[82:85], v[0:1], off
	global_load_dwordx4 v[86:89], v[0:1], off offset:512
	s_waitcnt vmcnt(3)
	v_cvt_f32_f16_e32 v0, v18
	s_waitcnt vmcnt(2)
	v_cvt_f32_f16_e32 v1, v19
	v_add_f32_e32 v2, v73, v0
	v_add_f32_e32 v3, v75, v1
	;; [unrolled: 1-line block ×8, first 2 shown]
	v_max3_f32 v18, v72, v18, v19
	v_max3_f32 v19, v71, v73, v74
	ds_bpermute_b32 v73, v81, v18
	ds_bpermute_b32 v74, v81, v19
	s_waitcnt lgkmcnt(1)
	v_max_f32_e32 v73, v73, v73
	v_max_f32_e32 v18, v18, v73
	ds_bpermute_b32 v73, v80, v18
	s_waitcnt lgkmcnt(1)
	v_max_f32_e32 v74, v74, v74
	v_max_f32_e32 v19, v19, v74
	;; [unrolled: 4-line block ×9, first 2 shown]
	v_sub_f32_e32 v2, v2, v18
	s_waitcnt lgkmcnt(0)
	v_max_f32_e32 v74, v74, v74
	v_sub_f32_e32 v3, v3, v18
	v_mul_f32_e32 v73, 0x3fb8aa3b, v2
	v_max_f32_e32 v19, v19, v74
	v_sub_f32_e32 v72, v72, v18
	v_mul_f32_e32 v74, 0x3fb8aa3b, v3
	v_fma_f32 v79, v2, s40, -v73
	v_sub_f32_e32 v0, v0, v19
	v_mul_f32_e32 v75, 0x3fb8aa3b, v72
	v_cmp_ngt_f32_e64 s[12:13], s41, v2
	v_cmp_nlt_f32_e64 s[24:25], s42, v2
	v_fmac_f32_e32 v79, 0x32a5705f, v2
	v_fma_f32 v2, v3, s40, -v74
	v_sub_f32_e32 v1, v1, v19
	v_mul_f32_e32 v76, 0x3fb8aa3b, v0
	v_cmp_ngt_f32_e32 vcc, s41, v3
	v_cmp_nlt_f32_e64 s[14:15], s42, v3
	v_fmac_f32_e32 v2, 0x32a5705f, v3
	v_fma_f32 v3, v72, s40, -v75
	v_sub_f32_e32 v71, v71, v19
	v_mul_f32_e32 v77, 0x3fb8aa3b, v1
	v_cmp_ngt_f32_e64 s[4:5], s41, v72
	v_cmp_nlt_f32_e64 s[16:17], s42, v72
	v_fmac_f32_e32 v3, 0x32a5705f, v72
	v_fma_f32 v72, v0, s40, -v76
	v_mul_f32_e32 v78, 0x3fb8aa3b, v71
	v_cmp_ngt_f32_e64 s[6:7], s41, v0
	v_cmp_nlt_f32_e64 s[18:19], s42, v0
	v_fmac_f32_e32 v72, 0x32a5705f, v0
	v_fma_f32 v0, v1, s40, -v77
	v_cmp_ngt_f32_e64 s[8:9], s41, v1
	v_cmp_nlt_f32_e64 s[20:21], s42, v1
	v_fmac_f32_e32 v0, 0x32a5705f, v1
	v_fma_f32 v1, v71, s40, -v78
	v_cmp_ngt_f32_e64 s[10:11], s41, v71
	v_cmp_nlt_f32_e64 s[22:23], s42, v71
	v_fmac_f32_e32 v1, 0x32a5705f, v71
	v_rndne_f32_e32 v71, v73
	v_sub_f32_e32 v73, v73, v71
	v_add_f32_e32 v73, v73, v79
	v_rndne_f32_e32 v79, v74
	v_sub_f32_e32 v74, v74, v79
	v_add_f32_e32 v2, v74, v2
	;; [unrolled: 3-line block ×6, first 2 shown]
	v_cvt_i32_f32_e32 v71, v71
	v_cvt_i32_f32_e32 v79, v79
	;; [unrolled: 1-line block ×6, first 2 shown]
	v_exp_f32_e32 v73, v73
	v_exp_f32_e32 v2, v2
	;; [unrolled: 1-line block ×6, first 2 shown]
	v_ldexp_f32 v71, v73, v71
	v_ldexp_f32 v2, v2, v79
	;; [unrolled: 1-line block ×6, first 2 shown]
	v_cndmask_b32_e64 v71, 0, v71, s[12:13]
	v_cndmask_b32_e32 v2, 0, v2, vcc
	v_cndmask_b32_e64 v3, 0, v3, s[4:5]
	v_cndmask_b32_e64 v73, 0, v72, s[6:7]
	;; [unrolled: 1-line block ×10, first 2 shown]
	v_cvt_f16_f32_e32 v71, v72
	v_pk_add_f32 v[74:75], v[0:1], v[2:3]
	v_cvt_f16_f32_e32 v90, v73
	v_cvt_pk_f16_f32 v0, v0, v1
	v_cvt_pk_f16_f32 v1, v2, v3
	v_pk_fma_f32 v[6:7], v[6:7], v[72:73], v[74:75]
	ds_write2_b32 v51, v0, v1 offset1:32
	s_waitcnt vmcnt(1)
	ds_write_b128 v47, v[82:85]
	s_waitcnt vmcnt(0)
	ds_write_b128 v48, v[86:89]
	s_waitcnt lgkmcnt(0)
	s_barrier
	ds_read2_b64 v[0:3], v49 offset1:32
	ds_read2_b64 v[72:75], v49 offset0:64 offset1:96
	ds_read_b128 v[76:79], v46
	ds_read_b128 v[80:83], v46 offset:16
	v_mul_u32_u24_e32 v71, 0x10001, v71
	v_mul_u32_u24_e32 v84, 0x10001, v90
	v_pk_mul_f16 v69, v69, v71
	v_pk_mul_f16 v67, v67, v71
	;; [unrolled: 1-line block ×8, first 2 shown]
	s_waitcnt lgkmcnt(1)
	v_mul_u32_u24_sdwa v85, v76, s43 dst_sel:DWORD dst_unused:UNUSED_PAD src0_sel:WORD_0 src1_sel:DWORD
	v_mul_u32_u24_sdwa v76, v76, s43 dst_sel:DWORD dst_unused:UNUSED_PAD src0_sel:WORD_1 src1_sel:DWORD
	v_pk_mul_f16 v70, v70, v71
	v_pk_mul_f16 v68, v68, v71
	;; [unrolled: 1-line block ×6, first 2 shown]
	v_pk_fma_f16 v69, v72, v85, v69
	v_pk_fma_f16 v61, v72, v76, v61
	;; [unrolled: 1-line block ×8, first 2 shown]
	ds_read2_b64 v[72:75], v49 offset0:192 offset1:224
	v_pk_fma_f16 v70, v1, v85, v70
	v_pk_fma_f16 v68, v2, v85, v68
	;; [unrolled: 1-line block ×3, first 2 shown]
	v_pk_mul_f16 v85, v0, v85
	v_pk_fma_f16 v86, v1, v76, v62
	v_pk_fma_f16 v87, v2, v76, v60
	v_pk_fma_f16 v88, v3, v76, v58
	v_pk_mul_f16 v62, v0, v76
	ds_read2_b64 v[0:3], v49 offset0:128 offset1:160
	v_mul_u32_u24_sdwa v76, v77, s43 dst_sel:DWORD dst_unused:UNUSED_PAD src0_sel:WORD_0 src1_sel:DWORD
	v_pk_fma_f16 v65, v65, v71, v85
	v_mul_u32_u24_sdwa v71, v77, s43 dst_sel:DWORD dst_unused:UNUSED_PAD src0_sel:WORD_1 src1_sel:DWORD
	s_waitcnt lgkmcnt(1)
	v_pk_fma_f16 v77, v74, v76, v64
	v_pk_fma_f16 v56, v74, v71, v56
	;; [unrolled: 1-line block ×5, first 2 shown]
	s_waitcnt lgkmcnt(0)
	v_pk_fma_f16 v75, v0, v76, v65
	ds_read2_b64 v[62:65], v52 offset0:64 offset1:96
	v_pk_fma_f16 v69, v72, v76, v69
	v_pk_fma_f16 v72, v72, v71, v61
	;; [unrolled: 1-line block ×4, first 2 shown]
	ds_read2_b64 v[58:61], v52 offset1:32
	v_pk_fma_f16 v70, v1, v76, v70
	v_pk_fma_f16 v68, v2, v76, v68
	;; [unrolled: 1-line block ×7, first 2 shown]
	v_mul_u32_u24_sdwa v71, v78, s43 dst_sel:DWORD dst_unused:UNUSED_PAD src0_sel:WORD_0 src1_sel:DWORD
	v_mul_u32_u24_sdwa v78, v78, s43 dst_sel:DWORD dst_unused:UNUSED_PAD src0_sel:WORD_1 src1_sel:DWORD
	s_waitcnt lgkmcnt(1)
	v_pk_fma_f16 v69, v62, v71, v69
	v_pk_fma_f16 v72, v62, v78, v72
	;; [unrolled: 1-line block ×8, first 2 shown]
	ds_read2_b64 v[62:65], v52 offset0:192 offset1:224
	ds_read2_b64 v[0:3], v52 offset0:128 offset1:160
	s_waitcnt lgkmcnt(2)
	v_pk_fma_f16 v70, v59, v71, v70
	v_pk_fma_f16 v68, v60, v71, v68
	;; [unrolled: 1-line block ×7, first 2 shown]
	v_mul_u32_u24_sdwa v85, v79, s43 dst_sel:DWORD dst_unused:UNUSED_PAD src0_sel:WORD_0 src1_sel:DWORD
	v_mul_u32_u24_sdwa v79, v79, s43 dst_sel:DWORD dst_unused:UNUSED_PAD src0_sel:WORD_1 src1_sel:DWORD
	v_pk_fma_f16 v78, v58, v78, v57
	ds_read2_b64 v[56:59], v53 offset1:32
	s_waitcnt lgkmcnt(2)
	v_pk_fma_f16 v69, v62, v85, v69
	v_pk_fma_f16 v72, v62, v79, v72
	;; [unrolled: 1-line block ×4, first 2 shown]
	ds_read2_b64 v[60:63], v53 offset0:64 offset1:96
	s_waitcnt lgkmcnt(2)
	v_pk_fma_f16 v70, v1, v85, v70
	v_pk_fma_f16 v68, v2, v85, v68
	;; [unrolled: 1-line block ×8, first 2 shown]
	ds_read2_b64 v[0:3], v53 offset0:192 offset1:224
	v_pk_fma_f16 v77, v64, v85, v77
	v_pk_fma_f16 v86, v64, v79, v86
	;; [unrolled: 1-line block ×4, first 2 shown]
	v_mul_u32_u24_sdwa v79, v80, s43 dst_sel:DWORD dst_unused:UNUSED_PAD src0_sel:WORD_0 src1_sel:DWORD
	v_mul_u32_u24_sdwa v80, v80, s43 dst_sel:DWORD dst_unused:UNUSED_PAD src0_sel:WORD_1 src1_sel:DWORD
	s_waitcnt lgkmcnt(1)
	v_pk_fma_f16 v69, v60, v79, v69
	v_pk_fma_f16 v72, v60, v80, v72
	;; [unrolled: 1-line block ×16, first 2 shown]
	v_mul_u32_u24_sdwa v56, v81, s43 dst_sel:DWORD dst_unused:UNUSED_PAD src0_sel:WORD_0 src1_sel:DWORD
	v_mul_u32_u24_sdwa v80, v81, s43 dst_sel:DWORD dst_unused:UNUSED_PAD src0_sel:WORD_1 src1_sel:DWORD
	ds_read2_b64 v[64:67], v53 offset0:128 offset1:160
	s_waitcnt lgkmcnt(1)
	v_pk_fma_f16 v69, v0, v56, v69
	v_pk_fma_f16 v72, v0, v80, v72
	;; [unrolled: 1-line block ×8, first 2 shown]
	ds_read2_b64 v[0:3], v54 offset0:64 offset1:96
	ds_read2_b64 v[60:63], v54 offset1:32
	v_mul_u32_u24_sdwa v85, v82, s43 dst_sel:DWORD dst_unused:UNUSED_PAD src0_sel:WORD_0 src1_sel:DWORD
	v_mul_u32_u24_sdwa v82, v82, s43 dst_sel:DWORD dst_unused:UNUSED_PAD src0_sel:WORD_1 src1_sel:DWORD
	s_waitcnt lgkmcnt(2)
	v_pk_fma_f16 v70, v65, v56, v70
	v_pk_fma_f16 v68, v66, v56, v68
	;; [unrolled: 1-line block ×4, first 2 shown]
	ds_read2_b64 v[56:59], v54 offset0:128 offset1:160
	v_pk_fma_f16 v75, v65, v80, v75
	v_pk_fma_f16 v76, v66, v80, v76
	;; [unrolled: 1-line block ×4, first 2 shown]
	ds_read2_b64 v[64:67], v54 offset0:192 offset1:224
	s_waitcnt lgkmcnt(0)
	s_barrier
	v_pk_fma_f16 v80, v0, v85, v69
	v_pk_fma_f16 v72, v0, v82, v72
	;; [unrolled: 1-line block ×8, first 2 shown]
	global_load_dwordx4 v[0:3], v[20:21], off
	v_pk_fma_f16 v88, v61, v85, v70
	v_pk_fma_f16 v89, v62, v85, v68
	;; [unrolled: 1-line block ×4, first 2 shown]
	global_load_dwordx4 v[68:71], v[20:21], off offset:512
	v_mul_u32_u24_sdwa v86, v83, s43 dst_sel:DWORD dst_unused:UNUSED_PAD src0_sel:WORD_0 src1_sel:DWORD
	v_mul_u32_u24_sdwa v83, v83, s43 dst_sel:DWORD dst_unused:UNUSED_PAD src0_sel:WORD_1 src1_sel:DWORD
	v_pk_fma_f16 v20, v61, v82, v75
	v_pk_fma_f16 v21, v62, v82, v76
	v_pk_fma_f16 v61, v63, v82, v79
	v_pk_fma_f16 v60, v60, v82, v78
	v_pk_fma_f16 v75, v57, v86, v88
	v_pk_fma_f16 v20, v57, v83, v20
	v_pk_fma_f16 v76, v58, v86, v89
	v_pk_fma_f16 v21, v58, v83, v21
	v_pk_fma_f16 v78, v59, v86, v87
	v_pk_fma_f16 v79, v59, v83, v61
	v_pk_fma_f16 v80, v64, v86, v80
	v_pk_fma_f16 v72, v64, v83, v72
	v_pk_fma_f16 v81, v65, v86, v81
	v_pk_fma_f16 v73, v65, v83, v73
	v_pk_fma_f16 v77, v66, v86, v77
	v_pk_fma_f16 v82, v66, v83, v84
	v_pk_fma_f16 v74, v67, v86, v74
	v_pk_fma_f16 v55, v67, v83, v55
	v_pk_fma_f16 v84, v56, v86, v85
	v_pk_fma_f16 v83, v56, v83, v60
	s_waitcnt vmcnt(1)
	ds_write_b128 v47, v[0:3]
	s_waitcnt vmcnt(0)
	ds_write_b128 v48, v[68:71]
	s_waitcnt lgkmcnt(0)
	s_barrier
	ds_read_b128 v[0:3], v46 offset:32
	ds_read2_b64 v[56:59], v49 offset1:32
	ds_read2_b64 v[60:63], v49 offset0:64 offset1:96
	ds_read_b128 v[64:67], v46 offset:48
	ds_read2_b64 v[68:71], v49 offset0:128 offset1:160
	s_waitcnt lgkmcnt(4)
	v_mul_u32_u24_sdwa v85, v0, s43 dst_sel:DWORD dst_unused:UNUSED_PAD src0_sel:WORD_0 src1_sel:DWORD
	v_mul_u32_u24_sdwa v0, v0, s43 dst_sel:DWORD dst_unused:UNUSED_PAD src0_sel:WORD_1 src1_sel:DWORD
	s_waitcnt lgkmcnt(3)
	v_pk_fma_f16 v84, v56, v85, v84
	v_pk_fma_f16 v83, v56, v0, v83
	;; [unrolled: 1-line block ×8, first 2 shown]
	ds_read2_b64 v[56:59], v49 offset0:192 offset1:224
	s_waitcnt lgkmcnt(3)
	v_pk_fma_f16 v72, v60, v0, v72
	v_pk_fma_f16 v73, v61, v0, v73
	;; [unrolled: 1-line block ×4, first 2 shown]
	v_mul_u32_u24_sdwa v55, v1, s43 dst_sel:DWORD dst_unused:UNUSED_PAD src0_sel:WORD_0 src1_sel:DWORD
	v_mul_u32_u24_sdwa v1, v1, s43 dst_sel:DWORD dst_unused:UNUSED_PAD src0_sel:WORD_1 src1_sel:DWORD
	v_pk_fma_f16 v80, v60, v85, v80
	v_pk_fma_f16 v81, v61, v85, v81
	;; [unrolled: 1-line block ×4, first 2 shown]
	ds_read2_b64 v[60:63], v52 offset1:32
	s_waitcnt lgkmcnt(2)
	v_pk_fma_f16 v84, v68, v55, v84
	v_pk_fma_f16 v83, v68, v1, v83
	;; [unrolled: 1-line block ×8, first 2 shown]
	ds_read2_b64 v[68:71], v52 offset0:64 offset1:96
	s_waitcnt lgkmcnt(2)
	v_pk_fma_f16 v80, v56, v55, v80
	v_pk_fma_f16 v72, v56, v1, v72
	v_pk_fma_f16 v81, v57, v55, v81
	v_pk_fma_f16 v73, v57, v1, v73
	v_pk_fma_f16 v77, v58, v55, v77
	v_pk_fma_f16 v82, v58, v1, v82
	v_pk_fma_f16 v55, v59, v55, v74
	v_pk_fma_f16 v74, v59, v1, v0
	ds_read2_b64 v[56:59], v52 offset0:128 offset1:160
	v_mul_u32_u24_sdwa v0, v2, s43 dst_sel:DWORD dst_unused:UNUSED_PAD src0_sel:WORD_0 src1_sel:DWORD
	v_mul_u32_u24_sdwa v85, v2, s43 dst_sel:DWORD dst_unused:UNUSED_PAD src0_sel:WORD_1 src1_sel:DWORD
	s_waitcnt lgkmcnt(2)
	v_pk_fma_f16 v84, v60, v0, v84
	v_pk_fma_f16 v83, v60, v85, v83
	;; [unrolled: 1-line block ×8, first 2 shown]
	ds_read2_b64 v[60:63], v52 offset0:192 offset1:224
	v_mul_u32_u24_sdwa v86, v3, s43 dst_sel:DWORD dst_unused:UNUSED_PAD src0_sel:WORD_0 src1_sel:DWORD
	v_mul_u32_u24_sdwa v87, v3, s43 dst_sel:DWORD dst_unused:UNUSED_PAD src0_sel:WORD_1 src1_sel:DWORD
	s_waitcnt lgkmcnt(2)
	v_pk_fma_f16 v80, v68, v0, v80
	v_pk_fma_f16 v81, v69, v0, v81
	;; [unrolled: 1-line block ×4, first 2 shown]
	ds_read2_b64 v[0:3], v53 offset1:32
	v_pk_fma_f16 v72, v68, v85, v72
	v_pk_fma_f16 v73, v69, v85, v73
	;; [unrolled: 1-line block ×4, first 2 shown]
	ds_read2_b64 v[68:71], v53 offset0:64 offset1:96
	s_waitcnt lgkmcnt(3)
	v_pk_fma_f16 v84, v56, v86, v84
	v_pk_fma_f16 v83, v56, v87, v83
	;; [unrolled: 1-line block ×8, first 2 shown]
	ds_read2_b64 v[56:59], v53 offset0:128 offset1:160
	v_mul_u32_u24_sdwa v85, v64, s43 dst_sel:DWORD dst_unused:UNUSED_PAD src0_sel:WORD_0 src1_sel:DWORD
	v_mul_u32_u24_sdwa v64, v64, s43 dst_sel:DWORD dst_unused:UNUSED_PAD src0_sel:WORD_1 src1_sel:DWORD
	s_waitcnt lgkmcnt(3)
	v_pk_fma_f16 v80, v60, v86, v80
	v_pk_fma_f16 v72, v60, v87, v72
	;; [unrolled: 1-line block ×8, first 2 shown]
	ds_read2_b64 v[60:63], v53 offset0:192 offset1:224
	s_waitcnt lgkmcnt(3)
	v_pk_fma_f16 v84, v0, v85, v84
	v_pk_fma_f16 v83, v0, v64, v83
	;; [unrolled: 1-line block ×8, first 2 shown]
	ds_read2_b64 v[0:3], v54 offset1:32
	s_waitcnt lgkmcnt(3)
	v_pk_fma_f16 v72, v68, v64, v72
	v_pk_fma_f16 v73, v69, v64, v73
	;; [unrolled: 1-line block ×4, first 2 shown]
	v_mul_u32_u24_sdwa v74, v65, s43 dst_sel:DWORD dst_unused:UNUSED_PAD src0_sel:WORD_0 src1_sel:DWORD
	v_mul_u32_u24_sdwa v65, v65, s43 dst_sel:DWORD dst_unused:UNUSED_PAD src0_sel:WORD_1 src1_sel:DWORD
	v_pk_fma_f16 v80, v68, v85, v80
	v_pk_fma_f16 v81, v69, v85, v81
	;; [unrolled: 1-line block ×4, first 2 shown]
	s_waitcnt lgkmcnt(2)
	v_pk_fma_f16 v84, v56, v74, v84
	v_pk_fma_f16 v83, v56, v65, v83
	;; [unrolled: 1-line block ×8, first 2 shown]
	v_mul_u32_u24_sdwa v85, v66, s43 dst_sel:DWORD dst_unused:UNUSED_PAD src0_sel:WORD_0 src1_sel:DWORD
	v_mul_u32_u24_sdwa v86, v66, s43 dst_sel:DWORD dst_unused:UNUSED_PAD src0_sel:WORD_1 src1_sel:DWORD
	ds_read2_b64 v[68:71], v54 offset0:64 offset1:96
	ds_read2_b64 v[56:59], v54 offset0:128 offset1:160
	s_waitcnt lgkmcnt(3)
	v_pk_fma_f16 v80, v60, v74, v80
	v_pk_fma_f16 v72, v60, v65, v72
	;; [unrolled: 1-line block ×8, first 2 shown]
	ds_read2_b64 v[60:63], v54 offset0:192 offset1:224
	s_waitcnt lgkmcnt(0)
	s_barrier
	v_pk_fma_f16 v84, v0, v85, v84
	v_pk_fma_f16 v83, v0, v86, v83
	;; [unrolled: 1-line block ×8, first 2 shown]
	global_load_dwordx4 v[0:3], v[32:33], off
	v_mul_u32_u24_sdwa v87, v67, s43 dst_sel:DWORD dst_unused:UNUSED_PAD src0_sel:WORD_0 src1_sel:DWORD
	v_mul_u32_u24_sdwa v88, v67, s43 dst_sel:DWORD dst_unused:UNUSED_PAD src0_sel:WORD_1 src1_sel:DWORD
	global_load_dwordx4 v[64:67], v[32:33], off offset:512
	v_pk_fma_f16 v32, v68, v85, v80
	v_pk_fma_f16 v33, v68, v86, v72
	;; [unrolled: 1-line block ×24, first 2 shown]
	s_waitcnt vmcnt(1)
	ds_write_b128 v47, v[0:3]
	s_waitcnt vmcnt(0)
	ds_write_b128 v48, v[64:67]
	s_waitcnt lgkmcnt(0)
	s_barrier
	ds_read_b128 v[0:3], v46 offset:64
	ds_read2_b64 v[56:59], v49 offset1:32
	ds_read2_b64 v[60:63], v49 offset0:64 offset1:96
	ds_read_b128 v[64:67], v46 offset:80
	ds_read2_b64 v[68:71], v49 offset0:128 offset1:160
	s_waitcnt lgkmcnt(4)
	v_mul_u32_u24_sdwa v83, v0, s43 dst_sel:DWORD dst_unused:UNUSED_PAD src0_sel:WORD_0 src1_sel:DWORD
	v_mul_u32_u24_sdwa v0, v0, s43 dst_sel:DWORD dst_unused:UNUSED_PAD src0_sel:WORD_1 src1_sel:DWORD
	s_waitcnt lgkmcnt(3)
	v_pk_fma_f16 v84, v56, v83, v73
	v_pk_fma_f16 v85, v56, v0, v74
	v_pk_fma_f16 v86, v57, v83, v75
	v_pk_fma_f16 v20, v57, v0, v20
	v_pk_fma_f16 v76, v58, v83, v76
	v_pk_fma_f16 v21, v58, v0, v21
	v_pk_fma_f16 v77, v59, v83, v77
	v_pk_fma_f16 v78, v59, v0, v78
	ds_read2_b64 v[56:59], v49 offset0:192 offset1:224
	s_waitcnt lgkmcnt(3)
	v_pk_fma_f16 v32, v60, v83, v32
	v_pk_fma_f16 v79, v61, v83, v79
	;; [unrolled: 1-line block ×4, first 2 shown]
	ds_read2_b64 v[72:75], v52 offset1:32
	v_pk_fma_f16 v33, v60, v0, v33
	v_pk_fma_f16 v80, v61, v0, v80
	;; [unrolled: 1-line block ×4, first 2 shown]
	v_mul_u32_u24_sdwa v82, v1, s43 dst_sel:DWORD dst_unused:UNUSED_PAD src0_sel:WORD_0 src1_sel:DWORD
	v_mul_u32_u24_sdwa v1, v1, s43 dst_sel:DWORD dst_unused:UNUSED_PAD src0_sel:WORD_1 src1_sel:DWORD
	ds_read2_b64 v[60:63], v52 offset0:64 offset1:96
	s_waitcnt lgkmcnt(3)
	v_pk_fma_f16 v83, v68, v82, v84
	v_pk_fma_f16 v84, v68, v1, v85
	;; [unrolled: 1-line block ×8, first 2 shown]
	ds_read2_b64 v[68:71], v52 offset0:128 offset1:160
	s_waitcnt lgkmcnt(3)
	v_pk_fma_f16 v32, v56, v82, v32
	v_pk_fma_f16 v79, v57, v82, v79
	;; [unrolled: 1-line block ×8, first 2 shown]
	ds_read2_b64 v[56:59], v52 offset0:192 offset1:224
	v_mul_u32_u24_sdwa v1, v2, s43 dst_sel:DWORD dst_unused:UNUSED_PAD src0_sel:WORD_0 src1_sel:DWORD
	v_mul_u32_u24_sdwa v2, v2, s43 dst_sel:DWORD dst_unused:UNUSED_PAD src0_sel:WORD_1 src1_sel:DWORD
	s_waitcnt lgkmcnt(3)
	v_pk_fma_f16 v82, v72, v1, v83
	v_pk_fma_f16 v83, v72, v2, v84
	;; [unrolled: 1-line block ×8, first 2 shown]
	s_waitcnt lgkmcnt(2)
	v_pk_fma_f16 v32, v60, v1, v32
	v_pk_fma_f16 v79, v61, v1, v79
	;; [unrolled: 1-line block ×4, first 2 shown]
	ds_read2_b64 v[72:75], v53 offset1:32
	v_pk_fma_f16 v33, v60, v2, v33
	v_pk_fma_f16 v80, v61, v2, v80
	;; [unrolled: 1-line block ×4, first 2 shown]
	ds_read2_b64 v[60:63], v53 offset0:64 offset1:96
	v_mul_u32_u24_sdwa v87, v3, s43 dst_sel:DWORD dst_unused:UNUSED_PAD src0_sel:WORD_0 src1_sel:DWORD
	v_mul_u32_u24_sdwa v88, v3, s43 dst_sel:DWORD dst_unused:UNUSED_PAD src0_sel:WORD_1 src1_sel:DWORD
	s_waitcnt lgkmcnt(3)
	v_pk_fma_f16 v82, v68, v87, v82
	v_pk_fma_f16 v83, v68, v88, v83
	;; [unrolled: 1-line block ×8, first 2 shown]
	ds_read2_b64 v[0:3], v53 offset0:128 offset1:160
	ds_read2_b64 v[68:71], v53 offset0:192 offset1:224
	s_waitcnt lgkmcnt(4)
	v_pk_fma_f16 v32, v56, v87, v32
	v_pk_fma_f16 v79, v57, v87, v79
	v_pk_fma_f16 v85, v58, v87, v85
	v_pk_fma_f16 v55, v59, v87, v55
	v_pk_fma_f16 v33, v56, v88, v33
	v_pk_fma_f16 v80, v57, v88, v80
	v_pk_fma_f16 v81, v58, v88, v81
	v_pk_fma_f16 v86, v59, v88, v86
	ds_read2_b64 v[56:59], v54 offset1:32
	v_mul_u32_u24_sdwa v87, v64, s43 dst_sel:DWORD dst_unused:UNUSED_PAD src0_sel:WORD_0 src1_sel:DWORD
	v_mul_u32_u24_sdwa v64, v64, s43 dst_sel:DWORD dst_unused:UNUSED_PAD src0_sel:WORD_1 src1_sel:DWORD
	s_waitcnt lgkmcnt(4)
	v_pk_fma_f16 v82, v72, v87, v82
	v_pk_fma_f16 v83, v72, v64, v83
	;; [unrolled: 1-line block ×8, first 2 shown]
	s_waitcnt lgkmcnt(3)
	v_pk_fma_f16 v32, v60, v87, v32
	v_pk_fma_f16 v33, v60, v64, v33
	;; [unrolled: 1-line block ×5, first 2 shown]
	v_mul_u32_u24_sdwa v60, v65, s43 dst_sel:DWORD dst_unused:UNUSED_PAD src0_sel:WORD_0 src1_sel:DWORD
	v_mul_u32_u24_sdwa v65, v65, s43 dst_sel:DWORD dst_unused:UNUSED_PAD src0_sel:WORD_1 src1_sel:DWORD
	v_pk_fma_f16 v79, v61, v87, v79
	v_pk_fma_f16 v85, v62, v87, v85
	;; [unrolled: 1-line block ×3, first 2 shown]
	s_waitcnt lgkmcnt(2)
	v_pk_fma_f16 v82, v0, v60, v82
	v_pk_fma_f16 v83, v0, v65, v83
	;; [unrolled: 1-line block ×8, first 2 shown]
	s_waitcnt lgkmcnt(1)
	v_pk_fma_f16 v33, v68, v65, v33
	v_pk_fma_f16 v80, v69, v65, v80
	;; [unrolled: 1-line block ×4, first 2 shown]
	v_mul_u32_u24_sdwa v65, v66, s43 dst_sel:DWORD dst_unused:UNUSED_PAD src0_sel:WORD_0 src1_sel:DWORD
	v_mul_u32_u24_sdwa v66, v66, s43 dst_sel:DWORD dst_unused:UNUSED_PAD src0_sel:WORD_1 src1_sel:DWORD
	ds_read2_b64 v[72:75], v54 offset0:64 offset1:96
	ds_read2_b64 v[0:3], v54 offset0:128 offset1:160
	v_pk_fma_f16 v32, v68, v60, v32
	v_pk_fma_f16 v79, v69, v60, v79
	;; [unrolled: 1-line block ×4, first 2 shown]
	ds_read2_b64 v[60:63], v54 offset0:192 offset1:224
	s_waitcnt lgkmcnt(0)
	s_barrier
	v_pk_fma_f16 v82, v56, v65, v82
	v_pk_fma_f16 v83, v56, v66, v83
	;; [unrolled: 1-line block ×8, first 2 shown]
	global_load_dwordx4 v[56:59], v[30:31], off
	global_load_dwordx4 v[68:71], v[30:31], off offset:512
	v_mul_u32_u24_sdwa v30, v67, s43 dst_sel:DWORD dst_unused:UNUSED_PAD src0_sel:WORD_0 src1_sel:DWORD
	v_mul_u32_u24_sdwa v31, v67, s43 dst_sel:DWORD dst_unused:UNUSED_PAD src0_sel:WORD_1 src1_sel:DWORD
	v_pk_fma_f16 v32, v72, v65, v32
	v_pk_fma_f16 v33, v72, v66, v33
	;; [unrolled: 1-line block ×24, first 2 shown]
	s_waitcnt vmcnt(1)
	ds_write_b128 v47, v[56:59]
	s_waitcnt vmcnt(0)
	ds_write_b128 v48, v[68:71]
	s_waitcnt lgkmcnt(0)
	s_barrier
	ds_read2_b64 v[0:3], v49 offset1:32
	ds_read_b128 v[30:33], v46 offset:96
	ds_read2_b64 v[56:59], v49 offset0:64 offset1:96
	ds_read_b128 v[60:63], v46 offset:112
	ds_read2_b64 v[64:67], v49 offset0:128 offset1:160
	ds_read2_b64 v[68:71], v49 offset0:192 offset1:224
	s_waitcnt lgkmcnt(4)
	v_mul_u32_u24_sdwa v85, v30, s43 dst_sel:DWORD dst_unused:UNUSED_PAD src0_sel:WORD_0 src1_sel:DWORD
	v_mul_u32_u24_sdwa v30, v30, s43 dst_sel:DWORD dst_unused:UNUSED_PAD src0_sel:WORD_1 src1_sel:DWORD
	v_pk_fma_f16 v75, v0, v85, v75
	v_pk_fma_f16 v79, v0, v30, v79
	;; [unrolled: 1-line block ×8, first 2 shown]
	ds_read2_b64 v[0:3], v52 offset1:32
	s_waitcnt lgkmcnt(4)
	v_pk_fma_f16 v81, v56, v85, v81
	v_pk_fma_f16 v82, v56, v30, v82
	;; [unrolled: 1-line block ×8, first 2 shown]
	ds_read2_b64 v[56:59], v52 offset0:64 offset1:96
	v_mul_u32_u24_sdwa v84, v31, s43 dst_sel:DWORD dst_unused:UNUSED_PAD src0_sel:WORD_0 src1_sel:DWORD
	v_mul_u32_u24_sdwa v31, v31, s43 dst_sel:DWORD dst_unused:UNUSED_PAD src0_sel:WORD_1 src1_sel:DWORD
	s_waitcnt lgkmcnt(3)
	v_pk_fma_f16 v75, v64, v84, v75
	v_pk_fma_f16 v79, v64, v31, v79
	;; [unrolled: 1-line block ×8, first 2 shown]
	ds_read2_b64 v[64:67], v52 offset0:128 offset1:160
	s_waitcnt lgkmcnt(3)
	v_pk_fma_f16 v81, v68, v84, v81
	v_pk_fma_f16 v82, v68, v31, v82
	;; [unrolled: 1-line block ×8, first 2 shown]
	ds_read2_b64 v[68:71], v52 offset0:192 offset1:224
	v_mul_u32_u24_sdwa v30, v32, s43 dst_sel:DWORD dst_unused:UNUSED_PAD src0_sel:WORD_0 src1_sel:DWORD
	v_mul_u32_u24_sdwa v85, v32, s43 dst_sel:DWORD dst_unused:UNUSED_PAD src0_sel:WORD_1 src1_sel:DWORD
	s_waitcnt lgkmcnt(3)
	v_pk_fma_f16 v75, v0, v30, v75
	v_pk_fma_f16 v79, v0, v85, v79
	;; [unrolled: 1-line block ×8, first 2 shown]
	ds_read2_b64 v[0:3], v53 offset1:32
	v_mul_u32_u24_sdwa v86, v33, s43 dst_sel:DWORD dst_unused:UNUSED_PAD src0_sel:WORD_0 src1_sel:DWORD
	v_mul_u32_u24_sdwa v87, v33, s43 dst_sel:DWORD dst_unused:UNUSED_PAD src0_sel:WORD_1 src1_sel:DWORD
	s_waitcnt lgkmcnt(3)
	v_pk_fma_f16 v81, v56, v30, v81
	v_pk_fma_f16 v83, v57, v30, v83
	;; [unrolled: 1-line block ×4, first 2 shown]
	ds_read2_b64 v[30:33], v53 offset0:64 offset1:96
	v_pk_fma_f16 v82, v56, v85, v82
	v_pk_fma_f16 v72, v57, v85, v72
	v_pk_fma_f16 v74, v58, v85, v74
	v_pk_fma_f16 v84, v59, v85, v84
	ds_read2_b64 v[56:59], v53 offset0:128 offset1:160
	s_waitcnt lgkmcnt(4)
	v_pk_fma_f16 v75, v64, v86, v75
	v_pk_fma_f16 v79, v64, v87, v79
	;; [unrolled: 1-line block ×8, first 2 shown]
	ds_read2_b64 v[64:67], v53 offset0:192 offset1:224
	s_waitcnt lgkmcnt(4)
	v_pk_fma_f16 v81, v68, v86, v81
	v_pk_fma_f16 v82, v68, v87, v82
	;; [unrolled: 1-line block ×8, first 2 shown]
	v_mul_u32_u24_sdwa v85, v60, s43 dst_sel:DWORD dst_unused:UNUSED_PAD src0_sel:WORD_0 src1_sel:DWORD
	v_mul_u32_u24_sdwa v60, v60, s43 dst_sel:DWORD dst_unused:UNUSED_PAD src0_sel:WORD_1 src1_sel:DWORD
	s_waitcnt lgkmcnt(3)
	v_pk_fma_f16 v75, v0, v85, v75
	v_pk_fma_f16 v79, v0, v60, v79
	;; [unrolled: 1-line block ×8, first 2 shown]
	s_waitcnt lgkmcnt(2)
	v_pk_fma_f16 v81, v30, v85, v81
	v_pk_fma_f16 v83, v31, v85, v83
	;; [unrolled: 1-line block ×8, first 2 shown]
	v_mul_u32_u24_sdwa v84, v61, s43 dst_sel:DWORD dst_unused:UNUSED_PAD src0_sel:WORD_0 src1_sel:DWORD
	v_mul_u32_u24_sdwa v61, v61, s43 dst_sel:DWORD dst_unused:UNUSED_PAD src0_sel:WORD_1 src1_sel:DWORD
	ds_read2_b64 v[68:71], v54 offset1:32
	ds_read2_b64 v[0:3], v54 offset0:64 offset1:96
	ds_read2_b64 v[30:33], v54 offset0:128 offset1:160
	s_waitcnt lgkmcnt(4)
	v_pk_fma_f16 v75, v56, v84, v75
	v_pk_fma_f16 v79, v56, v61, v79
	;; [unrolled: 1-line block ×8, first 2 shown]
	ds_read2_b64 v[56:59], v54 offset0:192 offset1:224
	s_waitcnt lgkmcnt(0)
	s_barrier
	v_pk_fma_f16 v81, v64, v84, v81
	v_pk_fma_f16 v82, v64, v61, v82
	;; [unrolled: 1-line block ×8, first 2 shown]
	global_load_dwordx4 v[64:67], v[28:29], off
	v_mul_u32_u24_sdwa v85, v62, s43 dst_sel:DWORD dst_unused:UNUSED_PAD src0_sel:WORD_0 src1_sel:DWORD
	v_mul_u32_u24_sdwa v86, v62, s43 dst_sel:DWORD dst_unused:UNUSED_PAD src0_sel:WORD_1 src1_sel:DWORD
	v_mul_u32_u24_sdwa v87, v63, s43 dst_sel:DWORD dst_unused:UNUSED_PAD src0_sel:WORD_0 src1_sel:DWORD
	v_mul_u32_u24_sdwa v88, v63, s43 dst_sel:DWORD dst_unused:UNUSED_PAD src0_sel:WORD_1 src1_sel:DWORD
	global_load_dwordx4 v[60:63], v[28:29], off offset:512
	v_pk_fma_f16 v28, v68, v85, v75
	v_pk_fma_f16 v29, v68, v86, v79
	;; [unrolled: 1-line block ×32, first 2 shown]
	s_waitcnt vmcnt(1)
	ds_write_b128 v47, v[64:67]
	s_waitcnt vmcnt(0)
	ds_write_b128 v48, v[60:63]
	s_waitcnt lgkmcnt(0)
	s_barrier
	ds_read2_b64 v[0:3], v49 offset1:32
	ds_read_b128 v[28:31], v46 offset:128
	ds_read2_b64 v[56:59], v49 offset0:64 offset1:96
	ds_read_b128 v[60:63], v46 offset:144
	ds_read2_b64 v[64:67], v49 offset0:128 offset1:160
	ds_read2_b64 v[68:71], v49 offset0:192 offset1:224
	s_waitcnt lgkmcnt(4)
	v_mul_u32_u24_sdwa v83, v28, s43 dst_sel:DWORD dst_unused:UNUSED_PAD src0_sel:WORD_0 src1_sel:DWORD
	v_mul_u32_u24_sdwa v28, v28, s43 dst_sel:DWORD dst_unused:UNUSED_PAD src0_sel:WORD_1 src1_sel:DWORD
	v_pk_fma_f16 v84, v0, v83, v73
	v_pk_fma_f16 v85, v0, v28, v74
	;; [unrolled: 1-line block ×8, first 2 shown]
	ds_read2_b64 v[0:3], v52 offset1:32
	s_waitcnt lgkmcnt(4)
	v_pk_fma_f16 v86, v56, v83, v75
	v_pk_fma_f16 v87, v58, v83, v72
	ds_read2_b64 v[72:75], v52 offset0:64 offset1:96
	v_pk_fma_f16 v79, v56, v28, v79
	v_pk_fma_f16 v80, v57, v28, v80
	v_pk_fma_f16 v81, v58, v28, v81
	v_pk_fma_f16 v28, v59, v28, v82
	v_mul_u32_u24_sdwa v82, v29, s43 dst_sel:DWORD dst_unused:UNUSED_PAD src0_sel:WORD_0 src1_sel:DWORD
	v_mul_u32_u24_sdwa v29, v29, s43 dst_sel:DWORD dst_unused:UNUSED_PAD src0_sel:WORD_1 src1_sel:DWORD
	v_pk_fma_f16 v76, v57, v83, v76
	v_pk_fma_f16 v55, v59, v83, v55
	s_waitcnt lgkmcnt(3)
	v_pk_fma_f16 v83, v64, v82, v84
	v_pk_fma_f16 v84, v64, v29, v85
	;; [unrolled: 1-line block ×8, first 2 shown]
	ds_read2_b64 v[56:59], v52 offset0:128 offset1:160
	ds_read2_b64 v[64:67], v52 offset0:192 offset1:224
	s_waitcnt lgkmcnt(4)
	v_pk_fma_f16 v79, v68, v29, v79
	v_pk_fma_f16 v80, v69, v29, v80
	;; [unrolled: 1-line block ×4, first 2 shown]
	v_mul_u32_u24_sdwa v29, v30, s43 dst_sel:DWORD dst_unused:UNUSED_PAD src0_sel:WORD_0 src1_sel:DWORD
	v_mul_u32_u24_sdwa v30, v30, s43 dst_sel:DWORD dst_unused:UNUSED_PAD src0_sel:WORD_1 src1_sel:DWORD
	v_pk_fma_f16 v85, v68, v82, v86
	v_pk_fma_f16 v76, v69, v82, v76
	;; [unrolled: 1-line block ×4, first 2 shown]
	s_waitcnt lgkmcnt(3)
	v_pk_fma_f16 v82, v0, v29, v83
	v_pk_fma_f16 v83, v0, v30, v84
	;; [unrolled: 1-line block ×8, first 2 shown]
	ds_read2_b64 v[0:3], v53 offset1:32
	ds_read2_b64 v[68:71], v53 offset0:64 offset1:96
	s_waitcnt lgkmcnt(4)
	v_pk_fma_f16 v84, v72, v29, v85
	v_pk_fma_f16 v76, v73, v29, v76
	v_pk_fma_f16 v85, v74, v29, v86
	v_pk_fma_f16 v55, v75, v29, v55
	v_pk_fma_f16 v79, v72, v30, v79
	v_pk_fma_f16 v80, v73, v30, v80
	v_pk_fma_f16 v81, v74, v30, v81
	v_pk_fma_f16 v86, v75, v30, v28
	ds_read2_b64 v[72:75], v53 offset0:128 offset1:160
	v_mul_u32_u24_sdwa v87, v31, s43 dst_sel:DWORD dst_unused:UNUSED_PAD src0_sel:WORD_0 src1_sel:DWORD
	v_mul_u32_u24_sdwa v88, v31, s43 dst_sel:DWORD dst_unused:UNUSED_PAD src0_sel:WORD_1 src1_sel:DWORD
	ds_read2_b64 v[28:31], v53 offset0:192 offset1:224
	s_waitcnt lgkmcnt(5)
	v_pk_fma_f16 v82, v56, v87, v82
	v_pk_fma_f16 v83, v56, v88, v83
	;; [unrolled: 1-line block ×8, first 2 shown]
	s_waitcnt lgkmcnt(4)
	v_pk_fma_f16 v84, v64, v87, v84
	v_pk_fma_f16 v79, v64, v88, v79
	;; [unrolled: 1-line block ×5, first 2 shown]
	v_mul_u32_u24_sdwa v64, v60, s43 dst_sel:DWORD dst_unused:UNUSED_PAD src0_sel:WORD_0 src1_sel:DWORD
	v_mul_u32_u24_sdwa v60, v60, s43 dst_sel:DWORD dst_unused:UNUSED_PAD src0_sel:WORD_1 src1_sel:DWORD
	v_pk_fma_f16 v76, v65, v87, v76
	v_pk_fma_f16 v85, v66, v87, v85
	;; [unrolled: 1-line block ×3, first 2 shown]
	s_waitcnt lgkmcnt(3)
	v_pk_fma_f16 v82, v0, v64, v82
	v_pk_fma_f16 v83, v0, v60, v83
	;; [unrolled: 1-line block ×8, first 2 shown]
	s_waitcnt lgkmcnt(2)
	v_pk_fma_f16 v79, v68, v60, v79
	v_pk_fma_f16 v80, v69, v60, v80
	;; [unrolled: 1-line block ×4, first 2 shown]
	v_mul_u32_u24_sdwa v86, v61, s43 dst_sel:DWORD dst_unused:UNUSED_PAD src0_sel:WORD_0 src1_sel:DWORD
	v_mul_u32_u24_sdwa v61, v61, s43 dst_sel:DWORD dst_unused:UNUSED_PAD src0_sel:WORD_1 src1_sel:DWORD
	ds_read2_b64 v[56:59], v54 offset1:32
	ds_read2_b64 v[0:3], v54 offset0:64 offset1:96
	v_pk_fma_f16 v84, v68, v64, v84
	v_pk_fma_f16 v76, v69, v64, v76
	;; [unrolled: 1-line block ×4, first 2 shown]
	ds_read2_b64 v[64:67], v54 offset0:128 offset1:160
	s_waitcnt lgkmcnt(4)
	v_pk_fma_f16 v82, v72, v86, v82
	v_pk_fma_f16 v83, v72, v61, v83
	;; [unrolled: 1-line block ×8, first 2 shown]
	ds_read2_b64 v[68:71], v54 offset0:192 offset1:224
	s_waitcnt lgkmcnt(0)
	s_barrier
	global_load_dwordx4 v[72:75], v[26:27], off
	v_pk_fma_f16 v84, v28, v86, v84
	v_pk_fma_f16 v76, v29, v86, v76
	;; [unrolled: 1-line block ×4, first 2 shown]
	global_load_dwordx4 v[26:29], v[26:27], off offset:512
	v_pk_fma_f16 v85, v30, v86, v85
	v_pk_fma_f16 v55, v31, v86, v55
	;; [unrolled: 1-line block ×4, first 2 shown]
	v_mul_u32_u24_sdwa v60, v62, s43 dst_sel:DWORD dst_unused:UNUSED_PAD src0_sel:WORD_0 src1_sel:DWORD
	v_mul_u32_u24_sdwa v61, v62, s43 dst_sel:DWORD dst_unused:UNUSED_PAD src0_sel:WORD_1 src1_sel:DWORD
	v_mul_u32_u24_sdwa v62, v63, s43 dst_sel:DWORD dst_unused:UNUSED_PAD src0_sel:WORD_0 src1_sel:DWORD
	v_mul_u32_u24_sdwa v63, v63, s43 dst_sel:DWORD dst_unused:UNUSED_PAD src0_sel:WORD_1 src1_sel:DWORD
	v_pk_fma_f16 v81, v56, v60, v82
	v_pk_fma_f16 v56, v56, v61, v83
	;; [unrolled: 1-line block ×32, first 2 shown]
	s_waitcnt vmcnt(1)
	ds_write_b128 v47, v[72:75]
	s_waitcnt vmcnt(0)
	ds_write_b128 v48, v[26:29]
	s_waitcnt lgkmcnt(0)
	s_barrier
	ds_read2_b64 v[0:3], v49 offset1:32
	ds_read2_b64 v[26:29], v49 offset0:64 offset1:96
	ds_read_b128 v[30:33], v46 offset:160
	ds_read_b128 v[56:59], v46 offset:176
	ds_read2_b64 v[60:63], v49 offset0:128 offset1:160
	ds_read2_b64 v[64:67], v49 offset0:192 offset1:224
	ds_read2_b64 v[68:71], v52 offset1:32
	s_waitcnt lgkmcnt(4)
	v_mul_u32_u24_sdwa v72, v30, s43 dst_sel:DWORD dst_unused:UNUSED_PAD src0_sel:WORD_0 src1_sel:DWORD
	v_mul_u32_u24_sdwa v30, v30, s43 dst_sel:DWORD dst_unused:UNUSED_PAD src0_sel:WORD_1 src1_sel:DWORD
	v_pk_fma_f16 v55, v0, v72, v55
	v_pk_fma_f16 v73, v0, v30, v78
	;; [unrolled: 1-line block ×8, first 2 shown]
	ds_read2_b64 v[0:3], v52 offset0:64 offset1:96
	v_pk_fma_f16 v81, v27, v72, v84
	v_mul_u32_u24_sdwa v84, v31, s43 dst_sel:DWORD dst_unused:UNUSED_PAD src0_sel:WORD_0 src1_sel:DWORD
	v_mul_u32_u24_sdwa v31, v31, s43 dst_sel:DWORD dst_unused:UNUSED_PAD src0_sel:WORD_1 src1_sel:DWORD
	v_pk_fma_f16 v79, v26, v72, v82
	v_pk_fma_f16 v80, v26, v30, v83
	;; [unrolled: 1-line block ×7, first 2 shown]
	ds_read2_b64 v[26:29], v52 offset0:128 offset1:160
	s_waitcnt lgkmcnt(4)
	v_pk_fma_f16 v55, v60, v84, v55
	v_pk_fma_f16 v73, v60, v31, v73
	;; [unrolled: 1-line block ×8, first 2 shown]
	ds_read2_b64 v[60:63], v52 offset0:192 offset1:224
	s_waitcnt lgkmcnt(4)
	v_pk_fma_f16 v79, v64, v84, v79
	v_pk_fma_f16 v80, v64, v31, v80
	;; [unrolled: 1-line block ×8, first 2 shown]
	ds_read2_b64 v[64:67], v53 offset1:32
	v_mul_u32_u24_sdwa v30, v32, s43 dst_sel:DWORD dst_unused:UNUSED_PAD src0_sel:WORD_0 src1_sel:DWORD
	v_mul_u32_u24_sdwa v85, v32, s43 dst_sel:DWORD dst_unused:UNUSED_PAD src0_sel:WORD_1 src1_sel:DWORD
	s_waitcnt lgkmcnt(4)
	v_pk_fma_f16 v55, v68, v30, v55
	v_pk_fma_f16 v74, v69, v30, v74
	;; [unrolled: 1-line block ×4, first 2 shown]
	v_mul_u32_u24_sdwa v86, v33, s43 dst_sel:DWORD dst_unused:UNUSED_PAD src0_sel:WORD_0 src1_sel:DWORD
	v_mul_u32_u24_sdwa v87, v33, s43 dst_sel:DWORD dst_unused:UNUSED_PAD src0_sel:WORD_1 src1_sel:DWORD
	s_waitcnt lgkmcnt(3)
	v_pk_fma_f16 v79, v0, v30, v79
	v_pk_fma_f16 v81, v1, v30, v81
	;; [unrolled: 1-line block ×4, first 2 shown]
	ds_read2_b64 v[30:33], v53 offset0:128 offset1:160
	v_pk_fma_f16 v73, v68, v85, v73
	v_pk_fma_f16 v20, v69, v85, v20
	;; [unrolled: 1-line block ×4, first 2 shown]
	ds_read2_b64 v[68:71], v53 offset0:64 offset1:96
	v_pk_fma_f16 v80, v0, v85, v80
	v_pk_fma_f16 v82, v1, v85, v82
	;; [unrolled: 1-line block ×4, first 2 shown]
	s_waitcnt lgkmcnt(4)
	v_pk_fma_f16 v55, v26, v86, v55
	v_pk_fma_f16 v73, v26, v87, v73
	;; [unrolled: 1-line block ×8, first 2 shown]
	s_waitcnt lgkmcnt(3)
	v_pk_fma_f16 v79, v60, v86, v79
	v_pk_fma_f16 v81, v61, v86, v81
	;; [unrolled: 1-line block ×4, first 2 shown]
	v_mul_u32_u24_sdwa v85, v56, s43 dst_sel:DWORD dst_unused:UNUSED_PAD src0_sel:WORD_0 src1_sel:DWORD
	v_mul_u32_u24_sdwa v86, v56, s43 dst_sel:DWORD dst_unused:UNUSED_PAD src0_sel:WORD_1 src1_sel:DWORD
	v_pk_fma_f16 v80, v60, v87, v80
	v_pk_fma_f16 v82, v61, v87, v82
	;; [unrolled: 1-line block ×4, first 2 shown]
	v_mul_u32_u24_sdwa v87, v57, s43 dst_sel:DWORD dst_unused:UNUSED_PAD src0_sel:WORD_0 src1_sel:DWORD
	s_waitcnt lgkmcnt(2)
	v_pk_fma_f16 v55, v64, v85, v55
	v_pk_fma_f16 v73, v64, v86, v73
	;; [unrolled: 1-line block ×8, first 2 shown]
	v_mul_u32_u24_sdwa v88, v57, s43 dst_sel:DWORD dst_unused:UNUSED_PAD src0_sel:WORD_1 src1_sel:DWORD
	ds_read2_b64 v[0:3], v53 offset0:192 offset1:224
	ds_read2_b64 v[26:29], v54 offset1:32
	ds_read2_b64 v[60:63], v54 offset0:64 offset1:96
	v_mul_u32_u24_sdwa v89, v58, s43 dst_sel:DWORD dst_unused:UNUSED_PAD src0_sel:WORD_0 src1_sel:DWORD
	v_mul_u32_u24_sdwa v90, v58, s43 dst_sel:DWORD dst_unused:UNUSED_PAD src0_sel:WORD_1 src1_sel:DWORD
	v_mul_u32_u24_sdwa v91, v59, s43 dst_sel:DWORD dst_unused:UNUSED_PAD src0_sel:WORD_0 src1_sel:DWORD
	v_mul_u32_u24_sdwa v92, v59, s43 dst_sel:DWORD dst_unused:UNUSED_PAD src0_sel:WORD_1 src1_sel:DWORD
	ds_read2_b64 v[56:59], v54 offset0:128 offset1:160
	ds_read2_b64 v[64:67], v54 offset0:192 offset1:224
	s_waitcnt lgkmcnt(0)
	s_barrier
	v_pk_fma_f16 v55, v30, v87, v55
	v_pk_fma_f16 v73, v30, v88, v73
	;; [unrolled: 1-line block ×8, first 2 shown]
	global_load_dwordx4 v[30:33], v[24:25], off
	v_pk_fma_f16 v79, v68, v85, v79
	v_pk_fma_f16 v81, v69, v85, v81
	;; [unrolled: 1-line block ×8, first 2 shown]
	global_load_dwordx4 v[68:71], v[24:25], off offset:512
	v_pk_fma_f16 v79, v0, v87, v79
	v_pk_fma_f16 v81, v1, v87, v81
	;; [unrolled: 1-line block ×40, first 2 shown]
	s_waitcnt vmcnt(1)
	ds_write_b128 v47, v[30:33]
	s_waitcnt vmcnt(0)
	ds_write_b128 v48, v[68:71]
	s_waitcnt lgkmcnt(0)
	s_barrier
	ds_read2_b64 v[0:3], v49 offset1:32
	ds_read2_b64 v[24:27], v49 offset0:64 offset1:96
	ds_read_b128 v[28:31], v46 offset:192
	ds_read_b128 v[56:59], v46 offset:208
	ds_read2_b64 v[60:63], v49 offset0:128 offset1:160
	ds_read2_b64 v[64:67], v49 offset0:192 offset1:224
	ds_read2_b64 v[68:71], v52 offset1:32
	s_waitcnt lgkmcnt(4)
	v_mul_u32_u24_sdwa v32, v28, s43 dst_sel:DWORD dst_unused:UNUSED_PAD src0_sel:WORD_0 src1_sel:DWORD
	v_mul_u32_u24_sdwa v28, v28, s43 dst_sel:DWORD dst_unused:UNUSED_PAD src0_sel:WORD_1 src1_sel:DWORD
	v_pk_fma_f16 v33, v0, v32, v72
	v_pk_fma_f16 v85, v0, v28, v73
	;; [unrolled: 1-line block ×8, first 2 shown]
	ds_read2_b64 v[0:3], v52 offset0:64 offset1:96
	v_pk_fma_f16 v55, v24, v32, v55
	v_pk_fma_f16 v79, v25, v32, v79
	;; [unrolled: 1-line block ×4, first 2 shown]
	ds_read2_b64 v[72:75], v52 offset0:128 offset1:160
	v_pk_fma_f16 v78, v24, v28, v78
	v_pk_fma_f16 v80, v25, v28, v80
	;; [unrolled: 1-line block ×4, first 2 shown]
	v_mul_u32_u24_sdwa v83, v29, s43 dst_sel:DWORD dst_unused:UNUSED_PAD src0_sel:WORD_0 src1_sel:DWORD
	v_mul_u32_u24_sdwa v29, v29, s43 dst_sel:DWORD dst_unused:UNUSED_PAD src0_sel:WORD_1 src1_sel:DWORD
	ds_read2_b64 v[24:27], v52 offset0:192 offset1:224
	s_waitcnt lgkmcnt(5)
	v_pk_fma_f16 v33, v60, v83, v33
	v_pk_fma_f16 v84, v60, v29, v85
	;; [unrolled: 1-line block ×8, first 2 shown]
	s_waitcnt lgkmcnt(4)
	v_pk_fma_f16 v55, v64, v83, v55
	v_pk_fma_f16 v79, v65, v83, v79
	;; [unrolled: 1-line block ×4, first 2 shown]
	ds_read2_b64 v[60:63], v53 offset1:32
	v_pk_fma_f16 v78, v64, v29, v78
	v_pk_fma_f16 v80, v65, v29, v80
	;; [unrolled: 1-line block ×4, first 2 shown]
	v_mul_u32_u24_sdwa v29, v30, s43 dst_sel:DWORD dst_unused:UNUSED_PAD src0_sel:WORD_0 src1_sel:DWORD
	v_mul_u32_u24_sdwa v30, v30, s43 dst_sel:DWORD dst_unused:UNUSED_PAD src0_sel:WORD_1 src1_sel:DWORD
	ds_read2_b64 v[64:67], v53 offset0:64 offset1:96
	s_waitcnt lgkmcnt(5)
	v_pk_fma_f16 v33, v68, v29, v33
	v_pk_fma_f16 v83, v68, v30, v84
	;; [unrolled: 1-line block ×8, first 2 shown]
	ds_read2_b64 v[68:71], v53 offset0:128 offset1:160
	s_waitcnt lgkmcnt(5)
	v_pk_fma_f16 v55, v0, v29, v55
	v_pk_fma_f16 v79, v1, v29, v79
	;; [unrolled: 1-line block ×8, first 2 shown]
	v_mul_u32_u24_sdwa v87, v31, s43 dst_sel:DWORD dst_unused:UNUSED_PAD src0_sel:WORD_0 src1_sel:DWORD
	v_mul_u32_u24_sdwa v88, v31, s43 dst_sel:DWORD dst_unused:UNUSED_PAD src0_sel:WORD_1 src1_sel:DWORD
	s_waitcnt lgkmcnt(4)
	v_pk_fma_f16 v33, v72, v87, v33
	v_pk_fma_f16 v83, v72, v88, v83
	;; [unrolled: 1-line block ×8, first 2 shown]
	s_waitcnt lgkmcnt(3)
	v_pk_fma_f16 v55, v24, v87, v55
	v_pk_fma_f16 v79, v25, v87, v79
	;; [unrolled: 1-line block ×8, first 2 shown]
	v_mul_u32_u24_sdwa v87, v56, s43 dst_sel:DWORD dst_unused:UNUSED_PAD src0_sel:WORD_0 src1_sel:DWORD
	v_mul_u32_u24_sdwa v56, v56, s43 dst_sel:DWORD dst_unused:UNUSED_PAD src0_sel:WORD_1 src1_sel:DWORD
	ds_read2_b64 v[0:3], v53 offset0:192 offset1:224
	ds_read2_b64 v[28:31], v54 offset1:32
	ds_read2_b64 v[72:75], v54 offset0:64 offset1:96
	s_waitcnt lgkmcnt(5)
	v_pk_fma_f16 v33, v60, v87, v33
	v_pk_fma_f16 v83, v60, v56, v83
	;; [unrolled: 1-line block ×8, first 2 shown]
	ds_read2_b64 v[24:27], v54 offset0:128 offset1:160
	s_waitcnt lgkmcnt(5)
	v_pk_fma_f16 v55, v64, v87, v55
	v_pk_fma_f16 v79, v65, v87, v79
	;; [unrolled: 1-line block ×4, first 2 shown]
	ds_read2_b64 v[60:63], v54 offset0:192 offset1:224
	s_waitcnt lgkmcnt(0)
	s_barrier
	v_pk_fma_f16 v78, v64, v56, v78
	v_pk_fma_f16 v80, v65, v56, v80
	;; [unrolled: 1-line block ×4, first 2 shown]
	v_mul_u32_u24_sdwa v86, v57, s43 dst_sel:DWORD dst_unused:UNUSED_PAD src0_sel:WORD_0 src1_sel:DWORD
	v_mul_u32_u24_sdwa v57, v57, s43 dst_sel:DWORD dst_unused:UNUSED_PAD src0_sel:WORD_1 src1_sel:DWORD
	global_load_dwordx4 v[64:67], v[22:23], off
	v_pk_fma_f16 v33, v68, v86, v33
	v_pk_fma_f16 v68, v68, v57, v83
	;; [unrolled: 1-line block ×6, first 2 shown]
	global_load_dwordx4 v[20:23], v[22:23], off offset:512
	v_pk_fma_f16 v76, v71, v86, v76
	v_pk_fma_f16 v71, v71, v57, v77
	v_mul_u32_u24_sdwa v77, v58, s43 dst_sel:DWORD dst_unused:UNUSED_PAD src0_sel:WORD_0 src1_sel:DWORD
	v_mul_u32_u24_sdwa v58, v58, s43 dst_sel:DWORD dst_unused:UNUSED_PAD src0_sel:WORD_1 src1_sel:DWORD
	v_pk_fma_f16 v55, v0, v86, v55
	v_pk_fma_f16 v0, v0, v57, v78
	;; [unrolled: 1-line block ×8, first 2 shown]
	v_mul_u32_u24_sdwa v85, v59, s43 dst_sel:DWORD dst_unused:UNUSED_PAD src0_sel:WORD_0 src1_sel:DWORD
	v_mul_u32_u24_sdwa v59, v59, s43 dst_sel:DWORD dst_unused:UNUSED_PAD src0_sel:WORD_1 src1_sel:DWORD
	v_pk_fma_f16 v33, v28, v77, v33
	v_pk_fma_f16 v28, v28, v58, v68
	;; [unrolled: 1-line block ×32, first 2 shown]
	s_waitcnt vmcnt(1)
	ds_write_b128 v47, v[64:67]
	s_waitcnt vmcnt(0)
	ds_write_b128 v48, v[20:23]
	s_waitcnt lgkmcnt(0)
	s_barrier
	ds_read2_b64 v[20:23], v49 offset1:32
	ds_read2_b64 v[24:27], v49 offset0:64 offset1:96
	ds_read_b128 v[28:31], v46 offset:224
	ds_read_b128 v[0:3], v46 offset:240
	ds_read2_b64 v[56:59], v49 offset0:128 offset1:160
	ds_read2_b64 v[60:63], v49 offset0:192 offset1:224
	ds_read2_b64 v[64:67], v52 offset1:32
	ds_read2_b64 v[68:71], v52 offset0:64 offset1:96
	s_waitcnt lgkmcnt(5)
	v_mul_u32_u24_sdwa v85, v28, s43 dst_sel:DWORD dst_unused:UNUSED_PAD src0_sel:WORD_0 src1_sel:DWORD
	v_mul_u32_u24_sdwa v28, v28, s43 dst_sel:DWORD dst_unused:UNUSED_PAD src0_sel:WORD_1 src1_sel:DWORD
	v_pk_fma_f16 v33, v20, v85, v33
	v_pk_fma_f16 v72, v20, v28, v72
	;; [unrolled: 1-line block ×8, first 2 shown]
	ds_read2_b64 v[20:23], v52 offset0:128 offset1:160
	v_pk_fma_f16 v55, v24, v85, v55
	v_pk_fma_f16 v80, v25, v85, v80
	;; [unrolled: 1-line block ×8, first 2 shown]
	ds_read2_b64 v[24:27], v52 offset0:192 offset1:224
	v_mul_u32_u24_sdwa v84, v29, s43 dst_sel:DWORD dst_unused:UNUSED_PAD src0_sel:WORD_0 src1_sel:DWORD
	v_mul_u32_u24_sdwa v29, v29, s43 dst_sel:DWORD dst_unused:UNUSED_PAD src0_sel:WORD_1 src1_sel:DWORD
	s_waitcnt lgkmcnt(5)
	v_pk_fma_f16 v33, v56, v84, v33
	v_pk_fma_f16 v72, v56, v29, v72
	;; [unrolled: 1-line block ×8, first 2 shown]
	ds_read2_b64 v[56:59], v53 offset1:32
	s_waitcnt lgkmcnt(5)
	v_pk_fma_f16 v55, v60, v84, v55
	v_pk_fma_f16 v80, v61, v84, v80
	;; [unrolled: 1-line block ×5, first 2 shown]
	v_mul_u32_u24_sdwa v28, v30, s43 dst_sel:DWORD dst_unused:UNUSED_PAD src0_sel:WORD_0 src1_sel:DWORD
	v_mul_u32_u24_sdwa v85, v30, s43 dst_sel:DWORD dst_unused:UNUSED_PAD src0_sel:WORD_1 src1_sel:DWORD
	v_pk_fma_f16 v79, v60, v29, v79
	v_pk_fma_f16 v81, v61, v29, v81
	;; [unrolled: 1-line block ×3, first 2 shown]
	s_waitcnt lgkmcnt(4)
	v_pk_fma_f16 v33, v64, v28, v33
	v_pk_fma_f16 v72, v64, v85, v72
	;; [unrolled: 1-line block ×8, first 2 shown]
	v_mul_u32_u24_sdwa v86, v31, s43 dst_sel:DWORD dst_unused:UNUSED_PAD src0_sel:WORD_0 src1_sel:DWORD
	v_mul_u32_u24_sdwa v87, v31, s43 dst_sel:DWORD dst_unused:UNUSED_PAD src0_sel:WORD_1 src1_sel:DWORD
	s_waitcnt lgkmcnt(3)
	v_pk_fma_f16 v55, v68, v28, v55
	v_pk_fma_f16 v80, v69, v28, v80
	;; [unrolled: 1-line block ×4, first 2 shown]
	ds_read2_b64 v[60:63], v53 offset0:64 offset1:96
	v_pk_fma_f16 v79, v68, v85, v79
	v_pk_fma_f16 v81, v69, v85, v81
	;; [unrolled: 1-line block ×4, first 2 shown]
	s_waitcnt lgkmcnt(3)
	v_pk_fma_f16 v33, v20, v86, v33
	v_pk_fma_f16 v72, v20, v87, v72
	;; [unrolled: 1-line block ×8, first 2 shown]
	s_waitcnt lgkmcnt(2)
	v_pk_fma_f16 v55, v24, v86, v55
	v_pk_fma_f16 v80, v25, v86, v80
	;; [unrolled: 1-line block ×4, first 2 shown]
	v_mul_u32_u24_sdwa v85, v0, s43 dst_sel:DWORD dst_unused:UNUSED_PAD src0_sel:WORD_0 src1_sel:DWORD
	v_mul_u32_u24_sdwa v86, v0, s43 dst_sel:DWORD dst_unused:UNUSED_PAD src0_sel:WORD_1 src1_sel:DWORD
	ds_read2_b64 v[64:67], v53 offset0:128 offset1:160
	ds_read2_b64 v[28:31], v53 offset0:192 offset1:224
	ds_read2_b64 v[68:71], v54 offset1:32
	ds_read2_b64 v[20:23], v54 offset0:64 offset1:96
	v_pk_fma_f16 v79, v24, v87, v79
	v_pk_fma_f16 v81, v25, v87, v81
	;; [unrolled: 1-line block ×4, first 2 shown]
	ds_read2_b64 v[24:27], v54 offset0:128 offset1:160
	v_mul_u32_u24_sdwa v87, v1, s43 dst_sel:DWORD dst_unused:UNUSED_PAD src0_sel:WORD_0 src1_sel:DWORD
	s_waitcnt lgkmcnt(6)
	v_pk_fma_f16 v33, v56, v85, v33
	v_pk_fma_f16 v56, v56, v86, v72
	v_pk_fma_f16 v72, v57, v85, v73
	v_pk_fma_f16 v57, v57, v86, v74
	v_pk_fma_f16 v73, v58, v85, v75
	v_pk_fma_f16 v58, v58, v86, v76
	v_pk_fma_f16 v74, v59, v85, v77
	v_pk_fma_f16 v59, v59, v86, v78
	v_mul_u32_u24_sdwa v75, v1, s43 dst_sel:DWORD dst_unused:UNUSED_PAD src0_sel:WORD_1 src1_sel:DWORD
	v_mul_u32_u24_sdwa v76, v2, s43 dst_sel:DWORD dst_unused:UNUSED_PAD src0_sel:WORD_0 src1_sel:DWORD
	v_mul_u32_u24_sdwa v77, v2, s43 dst_sel:DWORD dst_unused:UNUSED_PAD src0_sel:WORD_1 src1_sel:DWORD
	v_mul_u32_u24_sdwa v78, v3, s43 dst_sel:DWORD dst_unused:UNUSED_PAD src0_sel:WORD_0 src1_sel:DWORD
	v_mul_u32_u24_sdwa v88, v3, s43 dst_sel:DWORD dst_unused:UNUSED_PAD src0_sel:WORD_1 src1_sel:DWORD
	ds_read2_b64 v[0:3], v54 offset0:192 offset1:224
	s_waitcnt lgkmcnt(0)
	s_barrier
	s_load_dword s4, s[34:35], 0x4
	v_pk_fma_f16 v55, v60, v85, v55
	v_pk_fma_f16 v80, v61, v85, v80
	;; [unrolled: 1-line block ×8, first 2 shown]
	s_waitcnt lgkmcnt(0)
	s_lshl_b32 s4, s4, 6
	v_pk_fma_f16 v33, v64, v87, v33
	v_pk_fma_f16 v56, v64, v75, v56
	;; [unrolled: 1-line block ×16, first 2 shown]
	s_add_i32 s2, s4, s2
	v_pk_fma_f16 v33, v68, v76, v33
	v_pk_fma_f16 v56, v68, v77, v56
	;; [unrolled: 1-line block ×16, first 2 shown]
	s_cmp_ge_i32 s2, s28
	v_pk_fma_f16 v65, v24, v78, v33
	v_pk_fma_f16 v57, v24, v88, v56
	;; [unrolled: 1-line block ×16, first 2 shown]
	s_cbranch_scc0 .LBB17_9
.LBB17_10:
	v_cmp_lt_i32_e32 vcc, v42, v37
	s_cmp_lg_u64 s[44:45], 0
	s_cselect_b64 s[4:5], -1, 0
	v_cndmask_b32_e32 v0, v15, v42, vcc
	v_lshlrev_b32_e32 v1, 2, v0
	ds_bpermute_b32 v0, v1, v6
	ds_bpermute_b32 v1, v1, v7
	v_cmp_lt_i32_e32 vcc, v41, v37
	s_cmp_eq_u32 s3, 0
	s_cselect_b64 s[6:7], -1, 0
	v_cndmask_b32_e32 v2, v15, v41, vcc
	v_lshlrev_b32_e32 v3, 2, v2
	s_waitcnt lgkmcnt(0)
	v_pk_add_f32 v[0:1], v[6:7], v[0:1]
	ds_bpermute_b32 v2, v3, v0
	ds_bpermute_b32 v3, v3, v1
	v_cmp_lt_i32_e32 vcc, v40, v37
	s_and_b64 s[4:5], s[6:7], s[4:5]
	s_waitcnt lgkmcnt(0)
	v_pk_add_f32 v[0:1], v[0:1], v[2:3]
	v_cndmask_b32_e32 v6, v15, v40, vcc
	v_lshlrev_b32_e32 v6, 2, v6
	ds_bpermute_b32 v2, v6, v0
	ds_bpermute_b32 v3, v6, v1
	v_cmp_lt_i32_e32 vcc, v39, v37
	s_waitcnt lgkmcnt(0)
	v_pk_add_f32 v[0:1], v[0:1], v[2:3]
	v_cndmask_b32_e32 v6, v15, v39, vcc
	v_lshlrev_b32_e32 v6, 2, v6
	ds_bpermute_b32 v2, v6, v0
	ds_bpermute_b32 v3, v6, v1
	v_cmp_lt_i32_e32 vcc, v38, v37
	s_waitcnt lgkmcnt(0)
	v_pk_add_f32 v[0:1], v[0:1], v[2:3]
	v_cndmask_b32_e32 v6, v15, v38, vcc
	v_lshlrev_b32_e32 v6, 2, v6
	ds_bpermute_b32 v2, v6, v0
	ds_bpermute_b32 v3, v6, v1
	s_and_b64 vcc, exec, s[4:5]
	s_waitcnt lgkmcnt(0)
	v_pk_add_f32 v[0:1], v[0:1], v[2:3]
	s_cbranch_vccz .LBB17_12
; %bb.11:
	v_add_u32_e32 v2, s29, v34
	v_ashrrev_i32_e32 v3, 31, v2
	v_lshl_add_u64 v[2:3], v[2:3], 2, s[44:45]
	global_load_dwordx2 v[2:3], v[2:3], off
	v_max_f32_e32 v6, v18, v18
	v_max_f32_e32 v7, v19, v19
	s_mov_b32 s2, 0x3fb8aa3b
	s_mov_b32 s4, 0xc2ce8ed0
	;; [unrolled: 1-line block ×3, first 2 shown]
	v_mov_b32_e32 v9, 0x7f800000
	s_waitcnt vmcnt(0)
	v_max_f32_e32 v8, v2, v2
	v_max_f32_e32 v6, v6, v8
	;; [unrolled: 1-line block ×3, first 2 shown]
	v_sub_f32_e32 v8, v18, v6
	v_max_f32_e32 v7, v7, v10
	v_sub_f32_e32 v10, v2, v6
	v_mul_f32_e32 v2, 0x3fb8aa3b, v8
	v_sub_f32_e32 v11, v19, v7
	v_sub_f32_e32 v12, v3, v7
	v_mul_f32_e32 v3, 0x3fb8aa3b, v10
	v_fma_f32 v15, v8, s2, -v2
	v_rndne_f32_e32 v16, v2
	v_mul_f32_e32 v13, 0x3fb8aa3b, v11
	v_fma_f32 v17, v10, s2, -v3
	v_rndne_f32_e32 v18, v3
	v_fmac_f32_e32 v15, 0x32a5705f, v8
	v_sub_f32_e32 v2, v2, v16
	v_mul_f32_e32 v14, 0x3fb8aa3b, v12
	v_fma_f32 v19, v11, s2, -v13
	v_rndne_f32_e32 v20, v13
	v_fmac_f32_e32 v17, 0x32a5705f, v10
	v_sub_f32_e32 v3, v3, v18
	v_add_f32_e32 v2, v2, v15
	v_fma_f32 v21, v12, s2, -v14
	v_rndne_f32_e32 v22, v14
	v_cvt_i32_f32_e32 v16, v16
	v_fmac_f32_e32 v19, 0x32a5705f, v11
	v_sub_f32_e32 v13, v13, v20
	v_add_f32_e32 v3, v3, v17
	v_exp_f32_e32 v2, v2
	v_cvt_i32_f32_e32 v18, v18
	v_fmac_f32_e32 v21, 0x32a5705f, v12
	v_sub_f32_e32 v14, v14, v22
	v_add_f32_e32 v13, v13, v19
	v_exp_f32_e32 v3, v3
	v_cvt_i32_f32_e32 v20, v20
	v_add_f32_e32 v14, v14, v21
	v_exp_f32_e32 v13, v13
	v_cvt_i32_f32_e32 v22, v22
	v_exp_f32_e32 v14, v14
	v_ldexp_f32 v2, v2, v16
	v_cmp_ngt_f32_e32 vcc, s4, v8
	v_ldexp_f32 v3, v3, v18
	v_ldexp_f32 v13, v13, v20
	v_cndmask_b32_e32 v2, 0, v2, vcc
	v_cmp_ngt_f32_e32 vcc, s4, v10
	v_ldexp_f32 v14, v14, v22
	v_mov_b64_e32 v[18:19], v[6:7]
	v_cndmask_b32_e32 v3, 0, v3, vcc
	v_cmp_ngt_f32_e32 vcc, s4, v11
	s_nop 1
	v_cndmask_b32_e32 v13, 0, v13, vcc
	v_cmp_ngt_f32_e32 vcc, s4, v12
	s_nop 1
	v_cndmask_b32_e32 v14, 0, v14, vcc
	v_cmp_nlt_f32_e32 vcc, s5, v8
	s_nop 1
	v_cndmask_b32_e32 v2, v9, v2, vcc
	v_cmp_nlt_f32_e32 vcc, s5, v10
	v_cvt_f16_f32_e32 v10, v2
	s_nop 0
	v_cndmask_b32_e32 v8, v9, v3, vcc
	v_cmp_nlt_f32_e32 vcc, s5, v11
	s_nop 1
	v_cndmask_b32_e32 v3, v9, v13, vcc
	v_cvt_f16_f32_e32 v11, v3
	v_cmp_nlt_f32_e32 vcc, s5, v12
	s_nop 1
	v_cndmask_b32_e32 v9, v9, v14, vcc
	v_pk_fma_f32 v[0:1], v[0:1], v[2:3], v[8:9]
	v_mul_u32_u24_e32 v2, 0x10001, v10
	v_mul_u32_u24_e32 v3, 0x10001, v11
	v_pk_mul_f16 v65, v65, v2
	v_pk_mul_f16 v70, v70, v2
	;; [unrolled: 1-line block ×16, first 2 shown]
.LBB17_12:
	v_cmp_gt_i32_e32 vcc, s26, v5
	s_and_saveexec_b64 s[4:5], vcc
	s_cbranch_execz .LBB17_21
; %bb.13:
	s_load_dword s6, s[0:1], 0xd4
	v_mov_b32_e32 v6, 1.0
	s_waitcnt lgkmcnt(0)
	s_cmp_lg_u32 s6, 1
	s_cselect_b64 s[0:1], -1, 0
	s_cmp_eq_u32 s6, 1
	s_cselect_b64 s[4:5], -1, 0
	s_and_b64 vcc, exec, s[0:1]
	s_cbranch_vccnz .LBB17_15
; %bb.14:
	v_div_scale_f32 v2, s[8:9], v0, v0, 1.0
	v_rcp_f32_e32 v3, v2
	v_div_scale_f32 v6, vcc, 1.0, v0, 1.0
	v_fma_f32 v7, -v2, v3, 1.0
	v_fmac_f32_e32 v3, v7, v3
	v_mul_f32_e32 v7, v6, v3
	v_fma_f32 v8, -v2, v7, v6
	v_fmac_f32_e32 v7, v8, v3
	v_fma_f32 v2, -v2, v7, v6
	v_div_fmas_f32 v2, v2, v3, v7
	v_div_fixup_f32 v6, v2, v0, 1.0
.LBB17_15:
	s_mul_i32 s33, s33, s26
	v_add_u32_e32 v2, s33, v5
	v_mul_lo_u32 v2, v2, s27
	v_add3_u32 v2, s29, v34, v2
	v_cvt_f32_f16_sdwa v9, v65 dst_sel:DWORD dst_unused:UNUSED_PAD src0_sel:WORD_1
	v_cvt_f32_f16_e32 v8, v65
	v_cvt_f32_f16_sdwa v11, v70 dst_sel:DWORD dst_unused:UNUSED_PAD src0_sel:WORD_1
	v_cvt_f32_f16_e32 v10, v70
	v_mul_lo_u32 v2, s6, v2
	v_add_u32_e32 v2, s3, v2
	v_cmp_eq_u32_e32 vcc, 0, v4
	v_lshl_add_u32 v4, v2, 9, v35
	v_mov_b32_e32 v5, 0
	v_lshl_add_u64 v[12:13], v[4:5], 2, s[48:49]
	v_pk_mul_f32 v[8:9], v[6:7], v[8:9] op_sel_hi:[0,1]
	v_pk_mul_f32 v[10:11], v[6:7], v[10:11] op_sel_hi:[0,1]
	global_store_dwordx4 v[12:13], v[8:11], off
	v_cvt_f32_f16_sdwa v13, v66 dst_sel:DWORD dst_unused:UNUSED_PAD src0_sel:WORD_1
	v_cvt_f32_f16_e32 v12, v66
	v_cvt_f32_f16_sdwa v11, v68 dst_sel:DWORD dst_unused:UNUSED_PAD src0_sel:WORD_1
	v_cvt_f32_f16_e32 v10, v68
	v_add_u32_e32 v8, 0x80, v4
	v_mov_b32_e32 v9, v5
	v_lshl_add_u64 v[14:15], v[8:9], 2, s[48:49]
	v_pk_mul_f32 v[8:9], v[6:7], v[10:11] op_sel_hi:[0,1]
	v_pk_mul_f32 v[10:11], v[6:7], v[12:13] op_sel_hi:[0,1]
	global_store_dwordx4 v[14:15], v[8:11], off
	v_cvt_f32_f16_sdwa v13, v67 dst_sel:DWORD dst_unused:UNUSED_PAD src0_sel:WORD_1
	v_cvt_f32_f16_e32 v12, v67
	v_cvt_f32_f16_sdwa v11, v69 dst_sel:DWORD dst_unused:UNUSED_PAD src0_sel:WORD_1
	v_cvt_f32_f16_e32 v10, v69
	v_add_u32_e32 v8, 0x100, v4
	v_mov_b32_e32 v9, v5
	v_lshl_add_u64 v[14:15], v[8:9], 2, s[48:49]
	v_pk_mul_f32 v[8:9], v[6:7], v[10:11] op_sel_hi:[0,1]
	v_pk_mul_f32 v[10:11], v[6:7], v[12:13] op_sel_hi:[0,1]
	global_store_dwordx4 v[14:15], v[8:11], off
	v_add_u32_e32 v4, 0x180, v4
	s_and_b64 s[0:1], vcc, s[0:1]
	v_cvt_f32_f16_sdwa v9, v64 dst_sel:DWORD dst_unused:UNUSED_PAD src0_sel:WORD_1
	v_cvt_f32_f16_e32 v8, v64
	v_cvt_f32_f16_sdwa v11, v63 dst_sel:DWORD dst_unused:UNUSED_PAD src0_sel:WORD_1
	v_cvt_f32_f16_e32 v10, v63
	v_lshl_add_u64 v[12:13], v[4:5], 2, s[48:49]
	v_pk_mul_f32 v[4:5], v[6:7], v[8:9] op_sel_hi:[0,1]
	v_pk_mul_f32 v[6:7], v[6:7], v[10:11] op_sel_hi:[0,1]
	global_store_dwordx4 v[12:13], v[4:7], off
	s_and_saveexec_b64 s[2:3], s[0:1]
	s_cbranch_execz .LBB17_17
; %bb.16:
	v_ashrrev_i32_e32 v3, 31, v2
	v_lshl_add_u64 v[4:5], v[2:3], 3, s[50:51]
	v_mov_b32_e32 v6, v18
	v_mov_b32_e32 v7, v0
	global_store_dwordx2 v[4:5], v[6:7], off
.LBB17_17:
	s_or_b64 exec, exec, s[2:3]
	s_andn2_b64 vcc, exec, s[4:5]
	v_mov_b32_e32 v0, 1.0
	s_cbranch_vccnz .LBB17_19
; %bb.18:
	v_div_scale_f32 v0, s[2:3], v1, v1, 1.0
	v_rcp_f32_e32 v3, v0
	v_div_scale_f32 v4, vcc, 1.0, v1, 1.0
	v_fma_f32 v5, -v0, v3, 1.0
	v_fmac_f32_e32 v3, v5, v3
	v_mul_f32_e32 v5, v4, v3
	v_fma_f32 v6, -v0, v5, v4
	v_fmac_f32_e32 v5, v6, v3
	v_fma_f32 v0, -v0, v5, v4
	v_div_fmas_f32 v0, v0, v3, v5
	v_div_fixup_f32 v0, v0, v1, 1.0
.LBB17_19:
	v_cvt_f32_f16_sdwa v5, v57 dst_sel:DWORD dst_unused:UNUSED_PAD src0_sel:WORD_1
	v_cvt_f32_f16_e32 v4, v57
	v_cvt_f32_f16_sdwa v7, v62 dst_sel:DWORD dst_unused:UNUSED_PAD src0_sel:WORD_1
	v_cvt_f32_f16_e32 v6, v62
	v_add_u32_e32 v2, s6, v2
	v_lshl_add_u32 v8, v2, 9, v35
	v_mov_b32_e32 v9, 0
	v_lshl_add_u64 v[10:11], v[8:9], 2, s[48:49]
	v_pk_mul_f32 v[4:5], v[0:1], v[4:5] op_sel_hi:[0,1]
	v_pk_mul_f32 v[6:7], v[0:1], v[6:7] op_sel_hi:[0,1]
	global_store_dwordx4 v[10:11], v[4:7], off
	v_cvt_f32_f16_sdwa v11, v58 dst_sel:DWORD dst_unused:UNUSED_PAD src0_sel:WORD_1
	v_cvt_f32_f16_e32 v10, v58
	v_cvt_f32_f16_sdwa v7, v60 dst_sel:DWORD dst_unused:UNUSED_PAD src0_sel:WORD_1
	v_cvt_f32_f16_e32 v6, v60
	v_add_u32_e32 v4, 0x80, v8
	v_mov_b32_e32 v5, v9
	v_lshl_add_u64 v[12:13], v[4:5], 2, s[48:49]
	v_pk_mul_f32 v[4:5], v[0:1], v[6:7] op_sel_hi:[0,1]
	v_pk_mul_f32 v[6:7], v[0:1], v[10:11] op_sel_hi:[0,1]
	global_store_dwordx4 v[12:13], v[4:7], off
	v_cvt_f32_f16_sdwa v11, v59 dst_sel:DWORD dst_unused:UNUSED_PAD src0_sel:WORD_1
	v_cvt_f32_f16_e32 v10, v59
	v_cvt_f32_f16_sdwa v7, v61 dst_sel:DWORD dst_unused:UNUSED_PAD src0_sel:WORD_1
	v_cvt_f32_f16_e32 v6, v61
	v_add_u32_e32 v4, 0x100, v8
	v_mov_b32_e32 v5, v9
	v_lshl_add_u64 v[12:13], v[4:5], 2, s[48:49]
	v_pk_mul_f32 v[4:5], v[0:1], v[6:7] op_sel_hi:[0,1]
	v_pk_mul_f32 v[6:7], v[0:1], v[10:11] op_sel_hi:[0,1]
	global_store_dwordx4 v[12:13], v[4:7], off
	v_add_u32_e32 v8, 0x180, v8
	v_lshl_add_u64 v[8:9], v[8:9], 2, s[48:49]
	v_cvt_f32_f16_sdwa v5, v56 dst_sel:DWORD dst_unused:UNUSED_PAD src0_sel:WORD_1
	v_cvt_f32_f16_e32 v4, v56
	v_cvt_f32_f16_sdwa v7, v55 dst_sel:DWORD dst_unused:UNUSED_PAD src0_sel:WORD_1
	v_cvt_f32_f16_e32 v6, v55
	v_pk_mul_f32 v[4:5], v[0:1], v[4:5] op_sel_hi:[0,1]
	v_pk_mul_f32 v[6:7], v[0:1], v[6:7] op_sel_hi:[0,1]
	global_store_dwordx4 v[8:9], v[4:7], off
	s_and_b64 exec, exec, s[0:1]
	s_cbranch_execz .LBB17_21
; %bb.20:
	v_ashrrev_i32_e32 v3, 31, v2
	v_lshl_add_u64 v[2:3], v[2:3], 3, s[50:51]
	v_mov_b32_e32 v0, v19
	global_store_dwordx2 v[2:3], v[0:1], off
.LBB17_21:
	s_endpgm
	.section	.rodata,"a",@progbits
	.p2align	6, 0x0
	.amdhsa_kernel _ZL15flash_attn_tileILi512ELi512ELi4ELi4ELb0EEvPKcS1_S1_S1_S1_PKiPfP15HIP_vector_typeIfLj2EEffffjfiS5_IjLj3EEiiiiiiiiiiiliiliiiiil
		.amdhsa_group_segment_fixed_size 27648
		.amdhsa_private_segment_fixed_size 0
		.amdhsa_kernarg_size 464
		.amdhsa_user_sgpr_count 2
		.amdhsa_user_sgpr_dispatch_ptr 0
		.amdhsa_user_sgpr_queue_ptr 0
		.amdhsa_user_sgpr_kernarg_segment_ptr 1
		.amdhsa_user_sgpr_dispatch_id 0
		.amdhsa_user_sgpr_kernarg_preload_length 0
		.amdhsa_user_sgpr_kernarg_preload_offset 0
		.amdhsa_user_sgpr_private_segment_size 0
		.amdhsa_uses_dynamic_stack 0
		.amdhsa_enable_private_segment 0
		.amdhsa_system_sgpr_workgroup_id_x 1
		.amdhsa_system_sgpr_workgroup_id_y 1
		.amdhsa_system_sgpr_workgroup_id_z 1
		.amdhsa_system_sgpr_workgroup_info 0
		.amdhsa_system_vgpr_workitem_id 1
		.amdhsa_next_free_vgpr 93
		.amdhsa_next_free_sgpr 96
		.amdhsa_accum_offset 96
		.amdhsa_reserve_vcc 1
		.amdhsa_float_round_mode_32 0
		.amdhsa_float_round_mode_16_64 0
		.amdhsa_float_denorm_mode_32 3
		.amdhsa_float_denorm_mode_16_64 3
		.amdhsa_dx10_clamp 1
		.amdhsa_ieee_mode 1
		.amdhsa_fp16_overflow 0
		.amdhsa_tg_split 0
		.amdhsa_exception_fp_ieee_invalid_op 0
		.amdhsa_exception_fp_denorm_src 0
		.amdhsa_exception_fp_ieee_div_zero 0
		.amdhsa_exception_fp_ieee_overflow 0
		.amdhsa_exception_fp_ieee_underflow 0
		.amdhsa_exception_fp_ieee_inexact 0
		.amdhsa_exception_int_div_zero 0
	.end_amdhsa_kernel
	.section	.text._ZL15flash_attn_tileILi512ELi512ELi4ELi4ELb0EEvPKcS1_S1_S1_S1_PKiPfP15HIP_vector_typeIfLj2EEffffjfiS5_IjLj3EEiiiiiiiiiiiliiliiiiil,"axG",@progbits,_ZL15flash_attn_tileILi512ELi512ELi4ELi4ELb0EEvPKcS1_S1_S1_S1_PKiPfP15HIP_vector_typeIfLj2EEffffjfiS5_IjLj3EEiiiiiiiiiiiliiliiiiil,comdat
.Lfunc_end17:
	.size	_ZL15flash_attn_tileILi512ELi512ELi4ELi4ELb0EEvPKcS1_S1_S1_S1_PKiPfP15HIP_vector_typeIfLj2EEffffjfiS5_IjLj3EEiiiiiiiiiiiliiliiiiil, .Lfunc_end17-_ZL15flash_attn_tileILi512ELi512ELi4ELi4ELb0EEvPKcS1_S1_S1_S1_PKiPfP15HIP_vector_typeIfLj2EEffffjfiS5_IjLj3EEiiiiiiiiiiiliiliiiiil
                                        ; -- End function
	.set _ZL15flash_attn_tileILi512ELi512ELi4ELi4ELb0EEvPKcS1_S1_S1_S1_PKiPfP15HIP_vector_typeIfLj2EEffffjfiS5_IjLj3EEiiiiiiiiiiiliiliiiiil.num_vgpr, 93
	.set _ZL15flash_attn_tileILi512ELi512ELi4ELi4ELb0EEvPKcS1_S1_S1_S1_PKiPfP15HIP_vector_typeIfLj2EEffffjfiS5_IjLj3EEiiiiiiiiiiiliiliiiiil.num_agpr, 0
	.set _ZL15flash_attn_tileILi512ELi512ELi4ELi4ELb0EEvPKcS1_S1_S1_S1_PKiPfP15HIP_vector_typeIfLj2EEffffjfiS5_IjLj3EEiiiiiiiiiiiliiliiiiil.numbered_sgpr, 52
	.set _ZL15flash_attn_tileILi512ELi512ELi4ELi4ELb0EEvPKcS1_S1_S1_S1_PKiPfP15HIP_vector_typeIfLj2EEffffjfiS5_IjLj3EEiiiiiiiiiiiliiliiiiil.num_named_barrier, 0
	.set _ZL15flash_attn_tileILi512ELi512ELi4ELi4ELb0EEvPKcS1_S1_S1_S1_PKiPfP15HIP_vector_typeIfLj2EEffffjfiS5_IjLj3EEiiiiiiiiiiiliiliiiiil.private_seg_size, 0
	.set _ZL15flash_attn_tileILi512ELi512ELi4ELi4ELb0EEvPKcS1_S1_S1_S1_PKiPfP15HIP_vector_typeIfLj2EEffffjfiS5_IjLj3EEiiiiiiiiiiiliiliiiiil.uses_vcc, 1
	.set _ZL15flash_attn_tileILi512ELi512ELi4ELi4ELb0EEvPKcS1_S1_S1_S1_PKiPfP15HIP_vector_typeIfLj2EEffffjfiS5_IjLj3EEiiiiiiiiiiiliiliiiiil.uses_flat_scratch, 0
	.set _ZL15flash_attn_tileILi512ELi512ELi4ELi4ELb0EEvPKcS1_S1_S1_S1_PKiPfP15HIP_vector_typeIfLj2EEffffjfiS5_IjLj3EEiiiiiiiiiiiliiliiiiil.has_dyn_sized_stack, 0
	.set _ZL15flash_attn_tileILi512ELi512ELi4ELi4ELb0EEvPKcS1_S1_S1_S1_PKiPfP15HIP_vector_typeIfLj2EEffffjfiS5_IjLj3EEiiiiiiiiiiiliiliiiiil.has_recursion, 0
	.set _ZL15flash_attn_tileILi512ELi512ELi4ELi4ELb0EEvPKcS1_S1_S1_S1_PKiPfP15HIP_vector_typeIfLj2EEffffjfiS5_IjLj3EEiiiiiiiiiiiliiliiiiil.has_indirect_call, 0
	.section	.AMDGPU.csdata,"",@progbits
; Kernel info:
; codeLenInByte = 38920
; TotalNumSgprs: 58
; NumVgprs: 93
; NumAgprs: 0
; TotalNumVgprs: 93
; ScratchSize: 0
; MemoryBound: 0
; FloatMode: 240
; IeeeMode: 1
; LDSByteSize: 27648 bytes/workgroup (compile time only)
; SGPRBlocks: 12
; VGPRBlocks: 11
; NumSGPRsForWavesPerEU: 102
; NumVGPRsForWavesPerEU: 93
; AccumOffset: 96
; Occupancy: 5
; WaveLimiterHint : 1
; COMPUTE_PGM_RSRC2:SCRATCH_EN: 0
; COMPUTE_PGM_RSRC2:USER_SGPR: 2
; COMPUTE_PGM_RSRC2:TRAP_HANDLER: 0
; COMPUTE_PGM_RSRC2:TGID_X_EN: 1
; COMPUTE_PGM_RSRC2:TGID_Y_EN: 1
; COMPUTE_PGM_RSRC2:TGID_Z_EN: 1
; COMPUTE_PGM_RSRC2:TIDIG_COMP_CNT: 1
; COMPUTE_PGM_RSRC3_GFX90A:ACCUM_OFFSET: 23
; COMPUTE_PGM_RSRC3_GFX90A:TG_SPLIT: 0
	.section	.text._ZL33flash_attn_stream_k_fixup_uniformILi512ELi4ELi4EEvPfPK15HIP_vector_typeIfLj2EEiiiiiiS1_IjLj3EES5_S5_,"axG",@progbits,_ZL33flash_attn_stream_k_fixup_uniformILi512ELi4ELi4EEvPfPK15HIP_vector_typeIfLj2EEiiiiiiS1_IjLj3EES5_S5_,comdat
	.globl	_ZL33flash_attn_stream_k_fixup_uniformILi512ELi4ELi4EEvPfPK15HIP_vector_typeIfLj2EEiiiiiiS1_IjLj3EES5_S5_ ; -- Begin function _ZL33flash_attn_stream_k_fixup_uniformILi512ELi4ELi4EEvPfPK15HIP_vector_typeIfLj2EEiiiiiiS1_IjLj3EES5_S5_
	.p2align	8
	.type	_ZL33flash_attn_stream_k_fixup_uniformILi512ELi4ELi4EEvPfPK15HIP_vector_typeIfLj2EEiiiiiiS1_IjLj3EES5_S5_,@function
_ZL33flash_attn_stream_k_fixup_uniformILi512ELi4ELi4EEvPfPK15HIP_vector_typeIfLj2EEiiiiiiS1_IjLj3EES5_S5_: ; @_ZL33flash_attn_stream_k_fixup_uniformILi512ELi4ELi4EEvPfPK15HIP_vector_typeIfLj2EEiiiiiiS1_IjLj3EES5_S5_
; %bb.0:
	s_load_dwordx8 s[8:15], s[0:1], 0x1c
	s_load_dwordx2 s[6:7], s[0:1], 0x10
	s_load_dwordx4 s[20:23], s[0:1], 0x3c
	s_waitcnt lgkmcnt(0)
	s_mul_hi_u32 s5, s11, s2
	s_add_i32 s5, s2, s5
	s_lshr_b32 s5, s5, s12
	s_mul_i32 s11, s5, s13
	s_sub_i32 s11, s2, s11
	s_mul_hi_u32 s12, s11, s14
	s_add_i32 s12, s11, s12
	s_lshr_b32 s16, s12, s15
	s_mul_i32 s12, s16, s20
	s_sub_i32 s11, s11, s12
	;; [unrolled: 5-line block ×3, first 2 shown]
	s_lshl_b32 s11, s12, 2
	s_lshl_b32 s12, s17, 2
	s_add_i32 s12, s12, s3
	s_cmp_lt_i32 s12, s6
	s_cselect_b64 s[12:13], -1, 0
	s_add_i32 s14, s11, s4
	s_cmp_lt_i32 s14, s9
	s_cselect_b64 s[14:15], -1, 0
	s_and_b64 s[12:13], s[12:13], s[14:15]
	s_andn2_b64 vcc, exec, s[12:13]
	s_cbranch_vccnz .LBB18_6
; %bb.1:
	s_load_dwordx4 s[12:15], s[0:1], 0x0
	s_mul_i32 s0, s5, s6
	s_add_i32 s0, s0, s3
	s_mul_i32 s0, s0, s7
	s_mul_i32 s16, s16, s9
	s_add_i32 s0, s0, s4
	s_add_i32 s0, s0, s16
	s_mul_i32 s1, s7, s17
	s_add_i32 s0, s0, s11
	s_lshl_b32 s1, s1, 11
	s_lshl_b32 s0, s0, 9
	s_add_i32 s1, s1, s0
	v_or_b32_e32 v4, s1, v0
	s_waitcnt lgkmcnt(0)
	v_mov_b32_e32 v2, s12
	v_mov_b32_e32 v3, s13
	v_ashrrev_i32_e32 v5, 31, v4
	v_lshl_add_u64 v[2:3], v[4:5], 2, v[2:3]
	global_load_dword v5, v[2:3], off
	s_mul_i32 s5, s10, s2
	s_lshl_b32 s11, s3, 2
	s_add_i32 s9, s5, s10
	s_add_i32 s0, s11, s4
	s_lshl_b32 s1, s9, 4
	s_add_i32 s0, s0, s1
	s_add_i32 s0, s0, -16
	s_ashr_i32 s1, s0, 31
	s_lshl_b64 s[0:1], s[0:1], 3
	s_add_u32 s0, s14, s0
	s_addc_u32 s1, s15, s1
	s_load_dword s12, s[0:1], 0x4
	s_add_i32 s6, s9, -2
	s_cmp_lt_i32 s6, s5
	s_cbranch_scc1 .LBB18_4
; %bb.2:
	s_lshl_b32 s6, s8, 6
	s_ashr_i32 s7, s6, 31
	s_lshl_b64 s[6:7], s[6:7], 2
	s_add_u32 s6, s14, s6
	s_addc_u32 s7, s15, s7
	s_add_i32 s2, s2, 1
	s_load_dword s0, s[0:1], 0x0
	s_mul_i32 s1, s10, s2
	s_lshl_b32 s3, s3, 11
	s_lshl_b32 s10, s4, 9
	;; [unrolled: 1-line block ×3, first 2 shown]
	s_add_i32 s3, s10, s3
	s_lshl_b32 s1, s1, 4
	s_add_i32 s3, s3, s2
	s_add_i32 s1, s4, s1
	s_lshl_b32 s2, s8, 4
	s_add_i32 s1, s1, s2
	v_or_b32_e32 v0, s3, v0
	s_add_i32 s1, s1, s11
	s_add_i32 s9, s9, -1
	v_add_u32_e32 v0, 0xffffc000, v0
	s_sub_i32 s2, s1, 32
	s_waitcnt lgkmcnt(0)
	v_mov_b32_e32 v7, s0
	v_mov_b32_e32 v4, s12
	s_mov_b32 s4, 0x3fb8aa3b
	s_mov_b32 s8, 0xc2ce8ed0
	;; [unrolled: 1-line block ×3, first 2 shown]
	v_mov_b32_e32 v6, 0x7f800000
	s_mov_b32 s11, 0xc1a00000
.LBB18_3:                               ; =>This Inner Loop Header: Depth=1
	v_ashrrev_i32_e32 v1, 31, v0
	v_lshl_add_u64 v[8:9], v[0:1], 2, s[6:7]
	global_load_dword v9, v[8:9], off
	s_ashr_i32 s3, s2, 31
	s_lshl_b64 s[0:1], s[2:3], 3
	s_add_u32 s0, s14, s0
	s_addc_u32 s1, s15, s1
	s_load_dwordx2 s[0:1], s[0:1], 0x0
	v_max_f32_e32 v1, v7, v7
	s_add_i32 s9, s9, -1
	s_add_i32 s2, s2, -16
	v_add_u32_e32 v0, 0xffffe000, v0
	s_waitcnt lgkmcnt(0)
	v_max_f32_e64 v10, s0, s0
	v_max_f32_e32 v1, v1, v10
	v_sub_f32_e32 v11, s0, v1
	v_sub_f32_e32 v10, v7, v1
	v_mul_f32_e32 v12, 0x3fb8aa3b, v11
	v_mov_b32_e32 v7, v1
	v_mul_f32_e32 v1, 0x3fb8aa3b, v10
	v_fma_f32 v15, v11, s4, -v12
	v_rndne_f32_e32 v16, v12
	v_fma_f32 v13, v10, s4, -v1
	v_rndne_f32_e32 v14, v1
	v_fmac_f32_e32 v15, 0x32a5705f, v11
	v_sub_f32_e32 v12, v12, v16
	v_fmac_f32_e32 v13, 0x32a5705f, v10
	v_sub_f32_e32 v1, v1, v14
	v_add_f32_e32 v12, v12, v15
	v_cvt_i32_f32_e32 v16, v16
	v_add_f32_e32 v1, v1, v13
	v_exp_f32_e32 v12, v12
	v_cvt_i32_f32_e32 v14, v14
	v_exp_f32_e32 v1, v1
	v_cmp_ngt_f32_e32 vcc, s8, v11
	v_ldexp_f32 v12, v12, v16
	v_mov_b32_e32 v8, s1
	v_ldexp_f32 v1, v1, v14
	v_cmp_ngt_f32_e64 s[0:1], s8, v10
	v_cndmask_b32_e32 v12, 0, v12, vcc
	v_cmp_nlt_f32_e32 vcc, s10, v11
	v_cndmask_b32_e64 v1, 0, v1, s[0:1]
	v_cmp_nlt_f32_e64 s[0:1], s10, v10
	v_cndmask_b32_e32 v12, v6, v12, vcc
	v_cmp_le_f32_e32 vcc, s11, v11
	v_cndmask_b32_e64 v1, v6, v1, s[0:1]
	v_cmp_le_f32_e64 s[0:1], s11, v10
	v_cndmask_b32_e32 v12, 0, v12, vcc
	s_cmp_le_i32 s9, s5
	v_cndmask_b32_e64 v10, 0, v1, s[0:1]
	s_waitcnt vmcnt(0)
	v_pk_mul_f32 v[8:9], v[8:9], v[12:13] op_sel_hi:[1,0]
	s_nop 0
	v_pk_fma_f32 v[4:5], v[4:5], v[10:11], v[8:9] op_sel_hi:[1,0,1]
	s_cbranch_scc0 .LBB18_3
	s_branch .LBB18_5
.LBB18_4:
	s_waitcnt lgkmcnt(0)
	v_mov_b32_e32 v4, s12
.LBB18_5:
	s_waitcnt vmcnt(0)
	v_div_scale_f32 v0, s[0:1], v4, v4, v5
	v_rcp_f32_e32 v1, v0
	v_div_scale_f32 v6, vcc, v5, v4, v5
	v_fma_f32 v7, -v0, v1, 1.0
	v_fmac_f32_e32 v1, v7, v1
	v_mul_f32_e32 v7, v6, v1
	v_fma_f32 v8, -v0, v7, v6
	v_fmac_f32_e32 v7, v8, v1
	v_fma_f32 v0, -v0, v7, v6
	v_div_fmas_f32 v0, v0, v1, v7
	v_div_fixup_f32 v0, v0, v4, v5
	global_store_dword v[2:3], v0, off
.LBB18_6:
	s_endpgm
	.section	.rodata,"a",@progbits
	.p2align	6, 0x0
	.amdhsa_kernel _ZL33flash_attn_stream_k_fixup_uniformILi512ELi4ELi4EEvPfPK15HIP_vector_typeIfLj2EEiiiiiiS1_IjLj3EES5_S5_
		.amdhsa_group_segment_fixed_size 0
		.amdhsa_private_segment_fixed_size 0
		.amdhsa_kernarg_size 76
		.amdhsa_user_sgpr_count 2
		.amdhsa_user_sgpr_dispatch_ptr 0
		.amdhsa_user_sgpr_queue_ptr 0
		.amdhsa_user_sgpr_kernarg_segment_ptr 1
		.amdhsa_user_sgpr_dispatch_id 0
		.amdhsa_user_sgpr_kernarg_preload_length 0
		.amdhsa_user_sgpr_kernarg_preload_offset 0
		.amdhsa_user_sgpr_private_segment_size 0
		.amdhsa_uses_dynamic_stack 0
		.amdhsa_enable_private_segment 0
		.amdhsa_system_sgpr_workgroup_id_x 1
		.amdhsa_system_sgpr_workgroup_id_y 1
		.amdhsa_system_sgpr_workgroup_id_z 1
		.amdhsa_system_sgpr_workgroup_info 0
		.amdhsa_system_vgpr_workitem_id 0
		.amdhsa_next_free_vgpr 17
		.amdhsa_next_free_sgpr 24
		.amdhsa_accum_offset 20
		.amdhsa_reserve_vcc 1
		.amdhsa_float_round_mode_32 0
		.amdhsa_float_round_mode_16_64 0
		.amdhsa_float_denorm_mode_32 3
		.amdhsa_float_denorm_mode_16_64 3
		.amdhsa_dx10_clamp 1
		.amdhsa_ieee_mode 1
		.amdhsa_fp16_overflow 0
		.amdhsa_tg_split 0
		.amdhsa_exception_fp_ieee_invalid_op 0
		.amdhsa_exception_fp_denorm_src 0
		.amdhsa_exception_fp_ieee_div_zero 0
		.amdhsa_exception_fp_ieee_overflow 0
		.amdhsa_exception_fp_ieee_underflow 0
		.amdhsa_exception_fp_ieee_inexact 0
		.amdhsa_exception_int_div_zero 0
	.end_amdhsa_kernel
	.section	.text._ZL33flash_attn_stream_k_fixup_uniformILi512ELi4ELi4EEvPfPK15HIP_vector_typeIfLj2EEiiiiiiS1_IjLj3EES5_S5_,"axG",@progbits,_ZL33flash_attn_stream_k_fixup_uniformILi512ELi4ELi4EEvPfPK15HIP_vector_typeIfLj2EEiiiiiiS1_IjLj3EES5_S5_,comdat
.Lfunc_end18:
	.size	_ZL33flash_attn_stream_k_fixup_uniformILi512ELi4ELi4EEvPfPK15HIP_vector_typeIfLj2EEiiiiiiS1_IjLj3EES5_S5_, .Lfunc_end18-_ZL33flash_attn_stream_k_fixup_uniformILi512ELi4ELi4EEvPfPK15HIP_vector_typeIfLj2EEiiiiiiS1_IjLj3EES5_S5_
                                        ; -- End function
	.set _ZL33flash_attn_stream_k_fixup_uniformILi512ELi4ELi4EEvPfPK15HIP_vector_typeIfLj2EEiiiiiiS1_IjLj3EES5_S5_.num_vgpr, 17
	.set _ZL33flash_attn_stream_k_fixup_uniformILi512ELi4ELi4EEvPfPK15HIP_vector_typeIfLj2EEiiiiiiS1_IjLj3EES5_S5_.num_agpr, 0
	.set _ZL33flash_attn_stream_k_fixup_uniformILi512ELi4ELi4EEvPfPK15HIP_vector_typeIfLj2EEiiiiiiS1_IjLj3EES5_S5_.numbered_sgpr, 24
	.set _ZL33flash_attn_stream_k_fixup_uniformILi512ELi4ELi4EEvPfPK15HIP_vector_typeIfLj2EEiiiiiiS1_IjLj3EES5_S5_.num_named_barrier, 0
	.set _ZL33flash_attn_stream_k_fixup_uniformILi512ELi4ELi4EEvPfPK15HIP_vector_typeIfLj2EEiiiiiiS1_IjLj3EES5_S5_.private_seg_size, 0
	.set _ZL33flash_attn_stream_k_fixup_uniformILi512ELi4ELi4EEvPfPK15HIP_vector_typeIfLj2EEiiiiiiS1_IjLj3EES5_S5_.uses_vcc, 1
	.set _ZL33flash_attn_stream_k_fixup_uniformILi512ELi4ELi4EEvPfPK15HIP_vector_typeIfLj2EEiiiiiiS1_IjLj3EES5_S5_.uses_flat_scratch, 0
	.set _ZL33flash_attn_stream_k_fixup_uniformILi512ELi4ELi4EEvPfPK15HIP_vector_typeIfLj2EEiiiiiiS1_IjLj3EES5_S5_.has_dyn_sized_stack, 0
	.set _ZL33flash_attn_stream_k_fixup_uniformILi512ELi4ELi4EEvPfPK15HIP_vector_typeIfLj2EEiiiiiiS1_IjLj3EES5_S5_.has_recursion, 0
	.set _ZL33flash_attn_stream_k_fixup_uniformILi512ELi4ELi4EEvPfPK15HIP_vector_typeIfLj2EEiiiiiiS1_IjLj3EES5_S5_.has_indirect_call, 0
	.section	.AMDGPU.csdata,"",@progbits
; Kernel info:
; codeLenInByte = 836
; TotalNumSgprs: 30
; NumVgprs: 17
; NumAgprs: 0
; TotalNumVgprs: 17
; ScratchSize: 0
; MemoryBound: 0
; FloatMode: 240
; IeeeMode: 1
; LDSByteSize: 0 bytes/workgroup (compile time only)
; SGPRBlocks: 3
; VGPRBlocks: 2
; NumSGPRsForWavesPerEU: 30
; NumVGPRsForWavesPerEU: 17
; AccumOffset: 20
; Occupancy: 8
; WaveLimiterHint : 0
; COMPUTE_PGM_RSRC2:SCRATCH_EN: 0
; COMPUTE_PGM_RSRC2:USER_SGPR: 2
; COMPUTE_PGM_RSRC2:TRAP_HANDLER: 0
; COMPUTE_PGM_RSRC2:TGID_X_EN: 1
; COMPUTE_PGM_RSRC2:TGID_Y_EN: 1
; COMPUTE_PGM_RSRC2:TGID_Z_EN: 1
; COMPUTE_PGM_RSRC2:TIDIG_COMP_CNT: 0
; COMPUTE_PGM_RSRC3_GFX90A:ACCUM_OFFSET: 4
; COMPUTE_PGM_RSRC3_GFX90A:TG_SPLIT: 0
	.section	.text._ZL33flash_attn_stream_k_fixup_generalILi512ELi4ELi4EEvPfPK15HIP_vector_typeIfLj2EEiiiiS1_IjLj3EES5_S5_S5_,"axG",@progbits,_ZL33flash_attn_stream_k_fixup_generalILi512ELi4ELi4EEvPfPK15HIP_vector_typeIfLj2EEiiiiS1_IjLj3EES5_S5_S5_,comdat
	.globl	_ZL33flash_attn_stream_k_fixup_generalILi512ELi4ELi4EEvPfPK15HIP_vector_typeIfLj2EEiiiiS1_IjLj3EES5_S5_S5_ ; -- Begin function _ZL33flash_attn_stream_k_fixup_generalILi512ELi4ELi4EEvPfPK15HIP_vector_typeIfLj2EEiiiiS1_IjLj3EES5_S5_S5_
	.p2align	8
	.type	_ZL33flash_attn_stream_k_fixup_generalILi512ELi4ELi4EEvPfPK15HIP_vector_typeIfLj2EEiiiiS1_IjLj3EES5_S5_S5_,@function
_ZL33flash_attn_stream_k_fixup_generalILi512ELi4ELi4EEvPfPK15HIP_vector_typeIfLj2EEiiiiS1_IjLj3EES5_S5_S5_: ; @_ZL33flash_attn_stream_k_fixup_generalILi512ELi4ELi4EEvPfPK15HIP_vector_typeIfLj2EEiiiiS1_IjLj3EES5_S5_S5_
; %bb.0:
	s_load_dwordx4 s[8:11], s[0:1], 0x10
	s_load_dword s22, s[0:1], 0x50
	s_mov_b32 s12, 0
	s_waitcnt lgkmcnt(0)
	s_mul_hi_i32 s13, s11, s2
	s_cmp_lg_u64 s[12:13], 0
	s_mul_i32 s5, s11, s2
	s_cbranch_scc0 .LBB19_20
; %bb.1:
	s_add_u32 s6, s22, 0
	s_addc_u32 s7, 0, 0
	s_xor_b64 s[6:7], s[6:7], 0
	v_cvt_f32_u32_e32 v1, s6
	v_cvt_f32_u32_e32 v2, s7
	s_sub_u32 s12, 0, s6
	s_subb_u32 s18, 0, s7
	v_fmamk_f32 v1, v2, 0x4f800000, v1
	v_rcp_f32_e32 v1, v1
	s_nop 0
	v_mul_f32_e32 v1, 0x5f7ffffc, v1
	v_mul_f32_e32 v2, 0x2f800000, v1
	v_trunc_f32_e32 v2, v2
	v_fmamk_f32 v1, v2, 0xcf800000, v1
	v_cvt_u32_f32_e32 v2, v2
	v_cvt_u32_f32_e32 v1, v1
	v_readfirstlane_b32 s19, v2
	v_readfirstlane_b32 s14, v1
	s_mul_i32 s15, s12, s19
	s_mul_hi_u32 s21, s12, s14
	s_mul_i32 s20, s18, s14
	s_add_i32 s15, s21, s15
	s_add_i32 s15, s15, s20
	s_mul_i32 s23, s12, s14
	s_mul_i32 s21, s14, s15
	s_mul_hi_u32 s24, s14, s23
	s_mul_hi_u32 s20, s14, s15
	s_add_u32 s21, s24, s21
	s_addc_u32 s20, 0, s20
	s_mul_hi_u32 s25, s19, s23
	s_mul_i32 s23, s19, s23
	s_add_u32 s21, s21, s23
	s_mul_hi_u32 s24, s19, s15
	s_addc_u32 s20, s20, s25
	s_addc_u32 s21, s24, 0
	s_mul_i32 s15, s19, s15
	s_add_u32 s15, s20, s15
	s_addc_u32 s20, 0, s21
	s_add_u32 s21, s14, s15
	s_cselect_b64 s[14:15], -1, 0
	s_cmp_lg_u64 s[14:15], 0
	s_addc_u32 s19, s19, s20
	s_mul_i32 s14, s12, s19
	s_mul_hi_u32 s15, s12, s21
	s_add_i32 s14, s15, s14
	s_mul_i32 s18, s18, s21
	s_add_i32 s14, s14, s18
	s_mul_i32 s12, s12, s21
	s_mul_hi_u32 s18, s19, s12
	s_mul_i32 s20, s19, s12
	s_mul_i32 s24, s21, s14
	s_mul_hi_u32 s12, s21, s12
	s_mul_hi_u32 s23, s21, s14
	s_add_u32 s12, s12, s24
	s_addc_u32 s23, 0, s23
	s_add_u32 s12, s12, s20
	s_mul_hi_u32 s15, s19, s14
	s_addc_u32 s12, s23, s18
	s_addc_u32 s15, s15, 0
	s_mul_i32 s14, s19, s14
	s_add_u32 s12, s12, s14
	s_addc_u32 s18, 0, s15
	s_add_u32 s20, s21, s12
	s_cselect_b64 s[14:15], -1, 0
	s_cmp_lg_u64 s[14:15], 0
	s_addc_u32 s18, s19, s18
	s_ashr_i32 s14, s13, 31
	s_add_u32 s12, s5, s14
	s_mov_b32 s15, s14
	s_addc_u32 s13, s13, s14
	s_xor_b64 s[12:13], s[12:13], s[14:15]
	s_mul_i32 s21, s12, s18
	s_mul_hi_u32 s23, s12, s20
	s_mul_hi_u32 s19, s12, s18
	s_add_u32 s21, s23, s21
	s_addc_u32 s19, 0, s19
	s_mul_hi_u32 s24, s13, s20
	s_mul_i32 s20, s13, s20
	s_add_u32 s20, s21, s20
	s_mul_hi_u32 s23, s13, s18
	s_addc_u32 s19, s19, s24
	s_addc_u32 s20, s23, 0
	s_mul_i32 s18, s13, s18
	s_add_u32 s23, s19, s18
	s_addc_u32 s24, 0, s20
	s_mul_i32 s18, s6, s24
	s_mul_hi_u32 s19, s6, s23
	s_add_i32 s18, s19, s18
	s_mul_i32 s19, s7, s23
	s_add_i32 s25, s18, s19
	s_sub_i32 s20, s13, s25
	s_mul_i32 s18, s6, s23
	s_sub_u32 s12, s12, s18
	s_cselect_b64 s[18:19], -1, 0
	s_cmp_lg_u64 s[18:19], 0
	s_subb_u32 s26, s20, s7
	s_sub_u32 s27, s12, s6
	s_cselect_b64 s[20:21], -1, 0
	s_cmp_lg_u64 s[20:21], 0
	s_subb_u32 s20, s26, 0
	s_cmp_ge_u32 s20, s7
	s_cselect_b32 s21, -1, 0
	s_cmp_ge_u32 s27, s6
	s_cselect_b32 s26, -1, 0
	s_cmp_eq_u32 s20, s7
	s_cselect_b32 s20, s26, s21
	s_add_u32 s21, s23, 1
	s_addc_u32 s26, s24, 0
	s_add_u32 s27, s23, 2
	s_addc_u32 s28, s24, 0
	s_cmp_lg_u32 s20, 0
	s_cselect_b32 s20, s27, s21
	s_cselect_b32 s21, s28, s26
	s_cmp_lg_u64 s[18:19], 0
	s_subb_u32 s13, s13, s25
	s_cmp_ge_u32 s13, s7
	s_cselect_b32 s18, -1, 0
	s_cmp_ge_u32 s12, s6
	s_cselect_b32 s6, -1, 0
	s_cmp_eq_u32 s13, s7
	s_cselect_b32 s6, s6, s18
	s_cmp_lg_u32 s6, 0
	s_cselect_b32 s7, s21, s24
	s_cselect_b32 s6, s20, s23
	s_xor_b64 s[12:13], s[14:15], 0
	s_xor_b64 s[6:7], s[6:7], s[12:13]
	s_sub_u32 s6, s6, s12
	s_load_dwordx4 s[12:15], s[0:1], 0x44
	s_cbranch_execnz .LBB19_3
.LBB19_2:
	v_cvt_f32_u32_e32 v1, s22
	s_sub_i32 s6, 0, s22
	v_rcp_iflag_f32_e32 v1, v1
	s_nop 0
	v_mul_f32_e32 v1, 0x4f7ffffe, v1
	v_cvt_u32_f32_e32 v1, v1
	s_nop 0
	v_readfirstlane_b32 s7, v1
	s_mul_i32 s6, s6, s7
	s_mul_hi_u32 s6, s7, s6
	s_add_i32 s7, s7, s6
	s_mul_hi_u32 s6, s5, s7
	s_waitcnt lgkmcnt(0)
	s_mul_i32 s15, s6, s22
	s_sub_i32 s5, s5, s15
	s_add_i32 s7, s6, 1
	s_sub_i32 s15, s5, s22
	s_cmp_ge_u32 s5, s22
	s_cselect_b32 s6, s7, s6
	s_cselect_b32 s5, s15, s5
	s_add_i32 s7, s6, 1
	s_cmp_ge_u32 s5, s22
	s_cselect_b32 s6, s7, s6
.LBB19_3:
	s_add_i32 s5, s2, 1
	s_mul_hi_i32 s21, s11, s5
	s_mov_b32 s20, 0
	s_cmp_lg_u64 s[20:21], 0
	s_mul_i32 s5, s11, s5
	s_cbranch_scc0 .LBB19_21
; %bb.4:
	s_add_u32 s16, s22, 0
	s_addc_u32 s17, 0, 0
	s_xor_b64 s[18:19], s[16:17], 0
	v_cvt_f32_u32_e32 v1, s18
	v_cvt_f32_u32_e32 v2, s19
	s_sub_u32 s7, 0, s18
	s_waitcnt lgkmcnt(0)
	s_subb_u32 s15, 0, s19
	v_fmamk_f32 v1, v2, 0x4f800000, v1
	v_rcp_f32_e32 v1, v1
	s_nop 0
	v_mul_f32_e32 v1, 0x5f7ffffc, v1
	v_mul_f32_e32 v2, 0x2f800000, v1
	v_trunc_f32_e32 v2, v2
	v_fmamk_f32 v1, v2, 0xcf800000, v1
	v_cvt_u32_f32_e32 v2, v2
	v_cvt_u32_f32_e32 v1, v1
	v_readfirstlane_b32 s20, v2
	v_readfirstlane_b32 s23, v1
	s_mul_i32 s24, s7, s20
	s_mul_hi_u32 s26, s7, s23
	s_mul_i32 s25, s15, s23
	s_add_i32 s24, s26, s24
	s_add_i32 s24, s24, s25
	s_mul_i32 s27, s7, s23
	s_mul_i32 s26, s23, s24
	s_mul_hi_u32 s28, s23, s27
	s_mul_hi_u32 s25, s23, s24
	s_add_u32 s26, s28, s26
	s_addc_u32 s25, 0, s25
	s_mul_hi_u32 s29, s20, s27
	s_mul_i32 s27, s20, s27
	s_add_u32 s26, s26, s27
	s_mul_hi_u32 s28, s20, s24
	s_addc_u32 s25, s25, s29
	s_addc_u32 s26, s28, 0
	s_mul_i32 s24, s20, s24
	s_add_u32 s24, s25, s24
	s_addc_u32 s26, 0, s26
	s_add_u32 s23, s23, s24
	s_cselect_b64 s[24:25], -1, 0
	s_cmp_lg_u64 s[24:25], 0
	s_addc_u32 s20, s20, s26
	s_mul_i32 s24, s7, s20
	s_mul_hi_u32 s25, s7, s23
	s_add_i32 s24, s25, s24
	s_mul_i32 s15, s15, s23
	s_add_i32 s24, s24, s15
	s_mul_i32 s7, s7, s23
	s_mul_hi_u32 s25, s20, s7
	s_mul_i32 s26, s20, s7
	s_mul_i32 s28, s23, s24
	s_mul_hi_u32 s7, s23, s7
	s_mul_hi_u32 s27, s23, s24
	s_add_u32 s7, s7, s28
	s_addc_u32 s27, 0, s27
	s_add_u32 s7, s7, s26
	s_mul_hi_u32 s15, s20, s24
	s_addc_u32 s7, s27, s25
	s_addc_u32 s15, s15, 0
	s_mul_i32 s24, s20, s24
	s_add_u32 s7, s7, s24
	s_addc_u32 s15, 0, s15
	s_add_u32 s7, s23, s7
	s_cselect_b64 s[24:25], -1, 0
	s_cmp_lg_u64 s[24:25], 0
	s_addc_u32 s15, s20, s15
	s_ashr_i32 s24, s21, 31
	s_add_u32 s20, s5, s24
	s_mov_b32 s25, s24
	s_addc_u32 s21, s21, s24
	s_xor_b64 s[20:21], s[20:21], s[24:25]
	s_mul_i32 s26, s20, s15
	s_mul_hi_u32 s27, s20, s7
	s_mul_hi_u32 s23, s20, s15
	s_add_u32 s26, s27, s26
	s_addc_u32 s23, 0, s23
	s_mul_hi_u32 s28, s21, s7
	s_mul_i32 s7, s21, s7
	s_add_u32 s7, s26, s7
	s_mul_hi_u32 s27, s21, s15
	s_addc_u32 s7, s23, s28
	s_addc_u32 s23, s27, 0
	s_mul_i32 s15, s21, s15
	s_add_u32 s7, s7, s15
	s_addc_u32 s15, 0, s23
	s_mul_i32 s23, s18, s15
	s_mul_hi_u32 s26, s18, s7
	s_add_i32 s23, s26, s23
	s_mul_i32 s26, s19, s7
	s_add_i32 s23, s23, s26
	s_sub_i32 s28, s21, s23
	s_mul_i32 s26, s18, s7
	s_sub_u32 s20, s20, s26
	s_cselect_b64 s[26:27], -1, 0
	s_cmp_lg_u64 s[26:27], 0
	s_subb_u32 s30, s28, s19
	s_sub_u32 s31, s20, s18
	s_cselect_b64 s[28:29], -1, 0
	s_cmp_lg_u64 s[28:29], 0
	s_subb_u32 s28, s30, 0
	s_cmp_ge_u32 s28, s19
	s_cselect_b32 s29, -1, 0
	s_cmp_ge_u32 s31, s18
	s_cselect_b32 s30, -1, 0
	s_cmp_eq_u32 s28, s19
	s_cselect_b32 s28, s30, s29
	s_add_u32 s29, s7, 1
	s_addc_u32 s30, s15, 0
	s_add_u32 s31, s7, 2
	s_addc_u32 s33, s15, 0
	s_cmp_lg_u32 s28, 0
	s_cselect_b32 s28, s31, s29
	s_cselect_b32 s29, s33, s30
	s_cmp_lg_u64 s[26:27], 0
	s_subb_u32 s21, s21, s23
	s_cmp_ge_u32 s21, s19
	s_cselect_b32 s23, -1, 0
	s_cmp_ge_u32 s20, s18
	s_cselect_b32 s18, -1, 0
	s_cmp_eq_u32 s21, s19
	s_cselect_b32 s18, s18, s23
	s_cmp_lg_u32 s18, 0
	s_cselect_b32 s19, s29, s15
	s_cselect_b32 s18, s28, s7
	s_xor_b64 s[20:21], s[24:25], 0
	s_xor_b64 s[18:19], s[18:19], s[20:21]
	s_sub_u32 s18, s18, s20
	s_cbranch_execnz .LBB19_6
.LBB19_5:
	v_cvt_f32_u32_e32 v1, s22
	s_sub_i32 s7, 0, s22
	v_rcp_iflag_f32_e32 v1, v1
	s_nop 0
	v_mul_f32_e32 v1, 0x4f7ffffe, v1
	v_cvt_u32_f32_e32 v1, v1
	s_waitcnt lgkmcnt(0)
	v_readfirstlane_b32 s15, v1
	s_mul_i32 s7, s7, s15
	s_mul_hi_u32 s7, s15, s7
	s_add_i32 s15, s15, s7
	s_mul_hi_u32 s7, s5, s15
	s_mul_i32 s16, s7, s22
	s_sub_i32 s5, s5, s16
	s_add_i32 s15, s7, 1
	s_sub_i32 s16, s5, s22
	s_cmp_ge_u32 s5, s22
	s_cselect_b32 s7, s15, s7
	s_cselect_b32 s5, s16, s5
	s_add_i32 s15, s7, 1
	s_cmp_ge_u32 s5, s22
	s_cselect_b32 s18, s15, s7
.LBB19_6:
	s_cmp_eq_u32 s6, s18
	s_waitcnt lgkmcnt(0)
	s_mul_hi_u32 s5, s6, s12
	s_cselect_b64 s[16:17], -1, 0
	s_add_i32 s5, s5, s6
	s_lshr_b32 s7, s5, s13
	s_mul_i32 s5, s7, s14
	s_cmp_eq_u32 s5, s6
	s_mul_hi_u32 s5, s18, s12
	s_cselect_b64 s[20:21], -1, 0
	s_add_i32 s5, s5, s18
	s_lshr_b32 s5, s5, s13
	s_cmp_eq_u32 s7, s5
	s_mul_i32 s5, s5, s14
	s_cselect_b64 s[24:25], -1, 0
	s_cmp_lg_u32 s5, s18
	s_cselect_b64 s[18:19], -1, 0
	s_and_b64 s[18:19], s[24:25], s[18:19]
	s_or_b64 s[16:17], s[16:17], s[20:21]
	s_or_b64 s[16:17], s[16:17], s[18:19]
	s_and_b64 vcc, exec, s[16:17]
	s_cbranch_vccnz .LBB19_23
; %bb.7:
	s_load_dwordx8 s[24:31], s[0:1], 0x20
	s_load_dword s15, s[0:1], 0x40
	s_waitcnt lgkmcnt(0)
	s_mul_hi_u32 s5, s6, s24
	s_add_i32 s5, s5, s6
	s_lshr_b32 s5, s5, s25
	s_mul_i32 s16, s5, s26
	s_sub_i32 s16, s6, s16
	s_mul_hi_u32 s17, s16, s27
	s_add_i32 s17, s16, s17
	s_lshr_b32 s20, s17, s28
	s_mul_i32 s17, s20, s29
	s_sub_i32 s16, s16, s17
	;; [unrolled: 5-line block ×3, first 2 shown]
	s_mul_hi_u32 s16, s15, s12
	s_add_i32 s15, s15, s16
	s_lshr_b32 s23, s15, s13
	s_lshl_b32 s15, s23, 2
	s_lshl_b32 s21, s17, 2
	s_add_i32 s15, s15, s3
	s_cmp_lt_i32 s15, s8
	s_cselect_b64 s[16:17], -1, 0
	s_add_i32 s15, s21, s4
	s_cmp_lt_i32 s15, s10
	s_cselect_b64 s[18:19], -1, 0
	s_and_b64 s[16:17], s[16:17], s[18:19]
	s_andn2_b64 vcc, exec, s[16:17]
	s_cbranch_vccnz .LBB19_23
; %bb.8:
	s_load_dwordx4 s[16:19], s[0:1], 0x0
	s_mov_b32 s0, 0
	s_lshl_b32 s15, s3, 2
	s_lshl_b32 s24, s22, 6
	s_mov_b32 s25, s0
	s_add_i32 s15, s15, s4
	s_waitcnt lgkmcnt(0)
	v_mov_b32_e32 v2, s16
	v_mov_b32_e32 v3, s17
	s_lshl_b64 s[16:17], s[24:25], 2
	s_add_u32 s16, s18, s16
	s_mul_i32 s1, s5, s8
	s_addc_u32 s17, s19, s17
	s_add_i32 s1, s1, s3
	s_mul_i32 s1, s1, s9
	s_mul_i32 s20, s20, s10
	s_add_i32 s1, s1, s4
	s_add_i32 s1, s1, s20
	s_mul_i32 s5, s9, s23
	s_add_i32 s1, s1, s21
	s_lshl_b32 s5, s5, 11
	s_lshl_b32 s1, s1, 9
	s_add_i32 s5, s5, s1
	v_or_b32_e32 v4, s5, v0
	v_ashrrev_i32_e32 v5, 31, v4
	v_lshl_add_u64 v[2:3], v[4:5], 2, v[2:3]
	global_load_dword v1, v[2:3], off
	v_cvt_f32_u32_e32 v4, s22
	s_lshl_b32 s1, s2, 4
	s_add_i32 s4, s15, s1
	s_ashr_i32 s5, s4, 31
	s_lshl_b64 s[4:5], s[4:5], 3
	v_rcp_iflag_f32_e32 v4, v4
	s_add_u32 s4, s18, s4
	s_addc_u32 s5, s19, s5
	s_load_dwordx2 s[4:5], s[4:5], 0x0
	v_mul_f32_e32 v4, 0x4f7ffffe, v4
	v_cvt_u32_f32_e32 v7, v4
	s_add_i32 s24, s2, -1
	v_lshl_or_b32 v6, s15, 9, v0
	s_waitcnt lgkmcnt(0)
	v_mov_b32_e32 v0, s5
	v_mov_b32_e32 v9, s4
	s_mov_b32 s10, 0x3fb8aa3b
	s_mov_b32 s20, 0xc2ce8ed0
	s_mov_b32 s21, 0x42b17218
	s_mov_b32 s23, 0xc1a00000
	v_mov_b32_e32 v8, 0x7f800000
	s_mul_hi_i32 s1, s24, s11
	s_cmp_lg_u64 s[0:1], 0
	s_mul_i32 s8, s24, s11
	s_cbranch_scc0 .LBB19_19
.LBB19_9:
	s_add_u32 s2, s22, 0
	s_addc_u32 s3, 0, 0
	s_xor_b64 s[2:3], s[2:3], 0
	v_cvt_f32_u32_e32 v4, s2
	v_cvt_f32_u32_e32 v5, s3
	s_sub_u32 s9, 0, s2
	s_subb_u32 s25, 0, s3
	v_fmac_f32_e32 v4, 0x4f800000, v5
	v_rcp_f32_e32 v4, v4
	s_nop 0
	v_mul_f32_e32 v4, 0x5f7ffffc, v4
	v_mul_f32_e32 v5, 0x2f800000, v4
	v_trunc_f32_e32 v5, v5
	v_fmac_f32_e32 v4, 0xcf800000, v5
	v_cvt_u32_f32_e32 v5, v5
	v_cvt_u32_f32_e32 v4, v4
	v_readfirstlane_b32 s26, v5
	v_readfirstlane_b32 s4, v4
	s_mul_i32 s5, s9, s26
	s_mul_hi_u32 s28, s9, s4
	s_mul_i32 s27, s25, s4
	s_add_i32 s5, s28, s5
	s_mul_i32 s29, s9, s4
	s_add_i32 s5, s5, s27
	s_mul_i32 s28, s4, s5
	s_mul_hi_u32 s30, s4, s29
	s_mul_hi_u32 s27, s4, s5
	s_add_u32 s28, s30, s28
	s_addc_u32 s27, 0, s27
	s_mul_hi_u32 s31, s26, s29
	s_mul_i32 s29, s26, s29
	s_add_u32 s28, s28, s29
	s_mul_hi_u32 s30, s26, s5
	s_addc_u32 s27, s27, s31
	s_addc_u32 s28, s30, 0
	s_mul_i32 s5, s26, s5
	s_add_u32 s5, s27, s5
	s_addc_u32 s27, 0, s28
	s_add_u32 s28, s4, s5
	s_cselect_b64 s[4:5], -1, 0
	s_cmp_lg_u64 s[4:5], 0
	s_addc_u32 s26, s26, s27
	s_mul_i32 s4, s9, s26
	s_mul_hi_u32 s5, s9, s28
	s_add_i32 s4, s5, s4
	s_mul_i32 s25, s25, s28
	s_add_i32 s4, s4, s25
	s_mul_i32 s9, s9, s28
	s_mul_hi_u32 s25, s26, s9
	s_mul_i32 s27, s26, s9
	s_mul_i32 s30, s28, s4
	s_mul_hi_u32 s9, s28, s9
	s_mul_hi_u32 s29, s28, s4
	s_add_u32 s9, s9, s30
	s_addc_u32 s29, 0, s29
	s_add_u32 s9, s9, s27
	s_mul_hi_u32 s5, s26, s4
	s_addc_u32 s9, s29, s25
	s_addc_u32 s5, s5, 0
	s_mul_i32 s4, s26, s4
	s_add_u32 s4, s9, s4
	s_addc_u32 s9, 0, s5
	s_add_u32 s25, s28, s4
	s_cselect_b64 s[4:5], -1, 0
	s_cmp_lg_u64 s[4:5], 0
	s_addc_u32 s9, s26, s9
	s_ashr_i32 s4, s1, 31
	s_add_u32 s26, s8, s4
	s_mov_b32 s5, s4
	s_addc_u32 s27, s1, s4
	s_xor_b64 s[26:27], s[26:27], s[4:5]
	s_mul_i32 s28, s26, s9
	s_mul_hi_u32 s29, s26, s25
	s_mul_hi_u32 s1, s26, s9
	s_add_u32 s28, s29, s28
	s_addc_u32 s1, 0, s1
	s_mul_hi_u32 s30, s27, s25
	s_mul_i32 s25, s27, s25
	s_add_u32 s25, s28, s25
	s_mul_hi_u32 s29, s27, s9
	s_addc_u32 s1, s1, s30
	s_addc_u32 s25, s29, 0
	s_mul_i32 s9, s27, s9
	s_add_u32 s1, s1, s9
	s_addc_u32 s9, 0, s25
	s_mul_i32 s25, s2, s9
	s_mul_hi_u32 s28, s2, s1
	s_add_i32 s25, s28, s25
	s_mul_i32 s28, s3, s1
	s_add_i32 s25, s25, s28
	s_sub_i32 s30, s27, s25
	s_mul_i32 s28, s2, s1
	s_sub_u32 s26, s26, s28
	s_cselect_b64 s[28:29], -1, 0
	s_cmp_lg_u64 s[28:29], 0
	s_subb_u32 s33, s30, s3
	s_sub_u32 s34, s26, s2
	s_cselect_b64 s[30:31], -1, 0
	s_cmp_lg_u64 s[30:31], 0
	s_subb_u32 s30, s33, 0
	s_cmp_ge_u32 s30, s3
	s_cselect_b32 s31, -1, 0
	s_cmp_ge_u32 s34, s2
	s_cselect_b32 s33, -1, 0
	s_cmp_eq_u32 s30, s3
	s_cselect_b32 s30, s33, s31
	s_add_u32 s31, s1, 1
	s_addc_u32 s33, s9, 0
	s_add_u32 s34, s1, 2
	s_addc_u32 s35, s9, 0
	s_cmp_lg_u32 s30, 0
	s_cselect_b32 s30, s34, s31
	s_cselect_b32 s31, s35, s33
	s_cmp_lg_u64 s[28:29], 0
	s_subb_u32 s25, s27, s25
	s_cmp_ge_u32 s25, s3
	s_cselect_b32 s27, -1, 0
	s_cmp_ge_u32 s26, s2
	s_cselect_b32 s2, -1, 0
	s_cmp_eq_u32 s25, s3
	s_cselect_b32 s2, s2, s27
	s_cmp_lg_u32 s2, 0
	s_cselect_b32 s3, s31, s9
	s_cselect_b32 s2, s30, s1
	s_xor_b64 s[4:5], s[4:5], 0
	s_xor_b64 s[2:3], s[2:3], s[4:5]
	s_sub_u32 s4, s2, s4
	s_cbranch_execnz .LBB19_11
.LBB19_10:
	s_sub_i32 s1, 0, s22
	v_readfirstlane_b32 s2, v7
	s_mul_i32 s1, s1, s2
	s_mul_hi_u32 s1, s2, s1
	s_add_i32 s2, s2, s1
	s_mul_hi_u32 s1, s8, s2
	s_mul_i32 s3, s1, s22
	s_sub_i32 s3, s8, s3
	s_add_i32 s2, s1, 1
	s_sub_i32 s4, s3, s22
	s_cmp_ge_u32 s3, s22
	s_cselect_b32 s1, s2, s1
	s_cselect_b32 s3, s4, s3
	s_add_i32 s2, s1, 1
	s_cmp_ge_u32 s3, s22
	s_cselect_b32 s4, s2, s1
.LBB19_11:
	s_cmp_lg_u32 s6, s4
	s_cbranch_scc0 .LBB19_15
; %bb.12:
	s_add_i32 s1, s24, s22
	s_lshl_b32 s1, s1, 4
	s_add_i32 s2, s1, s15
	s_mov_b32 s3, s0
	s_lshl_b64 s[2:3], s[2:3], 3
	s_add_u32 s8, s18, s2
	s_mul_hi_u32 s1, s4, s12
	s_addc_u32 s9, s19, s3
	s_add_i32 s1, s1, s4
	s_lshr_b32 s1, s1, s13
	s_mul_i32 s2, s1, s14
	s_cmp_eq_u32 s2, s4
	s_cselect_b64 s[2:3], -1, 0
	s_cmp_lt_u32 s1, s7
	s_cselect_b64 s[26:27], -1, 0
	s_or_b64 s[26:27], s[26:27], s[2:3]
	s_mov_b64 s[2:3], -1
	s_and_b64 vcc, exec, s[26:27]
	s_mov_b32 s1, s24
	s_mov_b32 s25, s6
	s_cbranch_vccnz .LBB19_14
; %bb.13:
	s_add_i32 s1, s24, -1
	s_mov_b64 s[2:3], 0
	s_mov_b32 s25, s4
.LBB19_14:
	v_lshl_add_u32 v4, s24, 13, v6
	v_ashrrev_i32_e32 v5, 31, v4
	v_lshl_add_u64 v[4:5], v[4:5], 2, s[16:17]
	global_load_dword v5, v[4:5], off
	s_load_dwordx2 s[4:5], s[8:9], 0x0
	v_max_f32_e32 v4, v9, v9
	s_waitcnt lgkmcnt(0)
	v_max_f32_e64 v10, s4, s4
	v_max_f32_e32 v10, v4, v10
	v_sub_f32_e32 v11, v9, v10
	v_sub_f32_e32 v13, s4, v10
	v_mul_f32_e32 v4, 0x3fb8aa3b, v11
	v_mul_f32_e32 v12, 0x3fb8aa3b, v13
	v_fma_f32 v14, v11, s10, -v4
	v_rndne_f32_e32 v15, v4
	v_fma_f32 v16, v13, s10, -v12
	v_rndne_f32_e32 v17, v12
	v_fmac_f32_e32 v14, 0x32a5705f, v11
	v_sub_f32_e32 v4, v4, v15
	v_fmac_f32_e32 v16, 0x32a5705f, v13
	v_sub_f32_e32 v12, v12, v17
	v_add_f32_e32 v4, v4, v14
	v_cvt_i32_f32_e32 v15, v15
	v_add_f32_e32 v12, v12, v16
	v_exp_f32_e32 v14, v4
	v_cvt_i32_f32_e32 v17, v17
	v_exp_f32_e32 v12, v12
	v_cmp_ngt_f32_e32 vcc, s20, v11
	v_ldexp_f32 v14, v14, v15
	v_mov_b32_e32 v4, s5
	v_ldexp_f32 v12, v12, v17
	v_cndmask_b32_e32 v14, 0, v14, vcc
	v_cmp_ngt_f32_e32 vcc, s20, v13
	s_nop 1
	v_cndmask_b32_e32 v12, 0, v12, vcc
	v_cmp_nlt_f32_e32 vcc, s21, v11
	s_nop 1
	v_cndmask_b32_e32 v14, v8, v14, vcc
	v_cmp_nlt_f32_e32 vcc, s21, v13
	s_nop 1
	v_cndmask_b32_e32 v15, v8, v12, vcc
	v_cmp_le_f32_e32 vcc, s23, v11
	s_nop 1
	v_cndmask_b32_e32 v12, 0, v14, vcc
	v_cmp_le_f32_e32 vcc, s23, v13
	s_nop 1
	v_cndmask_b32_e32 v14, 0, v15, vcc
	s_waitcnt vmcnt(0)
	v_pk_mul_f32 v[4:5], v[4:5], v[14:15] op_sel_hi:[1,0]
	s_nop 0
	v_pk_fma_f32 v[4:5], v[0:1], v[12:13], v[4:5] op_sel_hi:[1,0,1]
	s_cbranch_execz .LBB19_16
	s_branch .LBB19_17
.LBB19_15:
                                        ; implicit-def: $vgpr4_vgpr5
                                        ; implicit-def: $sgpr2_sgpr3
                                        ; implicit-def: $vgpr10
                                        ; implicit-def: $sgpr1
                                        ; implicit-def: $sgpr25
.LBB19_16:
	s_add_i32 s1, s24, -1
	s_mov_b64 s[2:3], 0
	s_mov_b32 s25, s6
	v_mov_b32_e32 v10, v9
	s_waitcnt vmcnt(0)
	v_mov_b64_e32 v[4:5], v[0:1]
.LBB19_17:
	s_andn2_b64 vcc, exec, s[2:3]
	s_cbranch_vccz .LBB19_22
; %bb.18:
	s_mov_b32 s6, s25
	s_mov_b32 s24, s1
	v_mov_b32_e32 v9, v10
	s_waitcnt vmcnt(0)
	v_mov_b64_e32 v[0:1], v[4:5]
	s_mul_hi_i32 s1, s24, s11
	s_cmp_lg_u64 s[0:1], 0
	s_mul_i32 s8, s24, s11
	s_cbranch_scc1 .LBB19_9
.LBB19_19:
                                        ; implicit-def: $sgpr4_sgpr5
	s_branch .LBB19_10
.LBB19_20:
                                        ; implicit-def: $sgpr6_sgpr7
	s_load_dwordx4 s[12:15], s[0:1], 0x44
	s_branch .LBB19_2
.LBB19_21:
                                        ; implicit-def: $sgpr18_sgpr19
	s_branch .LBB19_5
.LBB19_22:
	v_div_scale_f32 v0, s[0:1], v4, v4, v5
	s_waitcnt vmcnt(0)
	v_rcp_f32_e32 v1, v0
	v_div_scale_f32 v6, vcc, v5, v4, v5
	v_fma_f32 v7, -v0, v1, 1.0
	v_fmac_f32_e32 v1, v7, v1
	v_mul_f32_e32 v7, v6, v1
	v_fma_f32 v8, -v0, v7, v6
	v_fmac_f32_e32 v7, v8, v1
	v_fma_f32 v0, -v0, v7, v6
	v_div_fmas_f32 v0, v0, v1, v7
	v_div_fixup_f32 v0, v0, v4, v5
	global_store_dword v[2:3], v0, off
.LBB19_23:
	s_endpgm
	.section	.rodata,"a",@progbits
	.p2align	6, 0x0
	.amdhsa_kernel _ZL33flash_attn_stream_k_fixup_generalILi512ELi4ELi4EEvPfPK15HIP_vector_typeIfLj2EEiiiiS1_IjLj3EES5_S5_S5_
		.amdhsa_group_segment_fixed_size 0
		.amdhsa_private_segment_fixed_size 0
		.amdhsa_kernarg_size 336
		.amdhsa_user_sgpr_count 2
		.amdhsa_user_sgpr_dispatch_ptr 0
		.amdhsa_user_sgpr_queue_ptr 0
		.amdhsa_user_sgpr_kernarg_segment_ptr 1
		.amdhsa_user_sgpr_dispatch_id 0
		.amdhsa_user_sgpr_kernarg_preload_length 0
		.amdhsa_user_sgpr_kernarg_preload_offset 0
		.amdhsa_user_sgpr_private_segment_size 0
		.amdhsa_uses_dynamic_stack 0
		.amdhsa_enable_private_segment 0
		.amdhsa_system_sgpr_workgroup_id_x 1
		.amdhsa_system_sgpr_workgroup_id_y 1
		.amdhsa_system_sgpr_workgroup_id_z 1
		.amdhsa_system_sgpr_workgroup_info 0
		.amdhsa_system_vgpr_workitem_id 0
		.amdhsa_next_free_vgpr 18
		.amdhsa_next_free_sgpr 36
		.amdhsa_accum_offset 20
		.amdhsa_reserve_vcc 1
		.amdhsa_float_round_mode_32 0
		.amdhsa_float_round_mode_16_64 0
		.amdhsa_float_denorm_mode_32 3
		.amdhsa_float_denorm_mode_16_64 3
		.amdhsa_dx10_clamp 1
		.amdhsa_ieee_mode 1
		.amdhsa_fp16_overflow 0
		.amdhsa_tg_split 0
		.amdhsa_exception_fp_ieee_invalid_op 0
		.amdhsa_exception_fp_denorm_src 0
		.amdhsa_exception_fp_ieee_div_zero 0
		.amdhsa_exception_fp_ieee_overflow 0
		.amdhsa_exception_fp_ieee_underflow 0
		.amdhsa_exception_fp_ieee_inexact 0
		.amdhsa_exception_int_div_zero 0
	.end_amdhsa_kernel
	.section	.text._ZL33flash_attn_stream_k_fixup_generalILi512ELi4ELi4EEvPfPK15HIP_vector_typeIfLj2EEiiiiS1_IjLj3EES5_S5_S5_,"axG",@progbits,_ZL33flash_attn_stream_k_fixup_generalILi512ELi4ELi4EEvPfPK15HIP_vector_typeIfLj2EEiiiiS1_IjLj3EES5_S5_S5_,comdat
.Lfunc_end19:
	.size	_ZL33flash_attn_stream_k_fixup_generalILi512ELi4ELi4EEvPfPK15HIP_vector_typeIfLj2EEiiiiS1_IjLj3EES5_S5_S5_, .Lfunc_end19-_ZL33flash_attn_stream_k_fixup_generalILi512ELi4ELi4EEvPfPK15HIP_vector_typeIfLj2EEiiiiS1_IjLj3EES5_S5_S5_
                                        ; -- End function
	.set _ZL33flash_attn_stream_k_fixup_generalILi512ELi4ELi4EEvPfPK15HIP_vector_typeIfLj2EEiiiiS1_IjLj3EES5_S5_S5_.num_vgpr, 18
	.set _ZL33flash_attn_stream_k_fixup_generalILi512ELi4ELi4EEvPfPK15HIP_vector_typeIfLj2EEiiiiS1_IjLj3EES5_S5_S5_.num_agpr, 0
	.set _ZL33flash_attn_stream_k_fixup_generalILi512ELi4ELi4EEvPfPK15HIP_vector_typeIfLj2EEiiiiS1_IjLj3EES5_S5_S5_.numbered_sgpr, 36
	.set _ZL33flash_attn_stream_k_fixup_generalILi512ELi4ELi4EEvPfPK15HIP_vector_typeIfLj2EEiiiiS1_IjLj3EES5_S5_S5_.num_named_barrier, 0
	.set _ZL33flash_attn_stream_k_fixup_generalILi512ELi4ELi4EEvPfPK15HIP_vector_typeIfLj2EEiiiiS1_IjLj3EES5_S5_S5_.private_seg_size, 0
	.set _ZL33flash_attn_stream_k_fixup_generalILi512ELi4ELi4EEvPfPK15HIP_vector_typeIfLj2EEiiiiS1_IjLj3EES5_S5_S5_.uses_vcc, 1
	.set _ZL33flash_attn_stream_k_fixup_generalILi512ELi4ELi4EEvPfPK15HIP_vector_typeIfLj2EEiiiiS1_IjLj3EES5_S5_S5_.uses_flat_scratch, 0
	.set _ZL33flash_attn_stream_k_fixup_generalILi512ELi4ELi4EEvPfPK15HIP_vector_typeIfLj2EEiiiiS1_IjLj3EES5_S5_S5_.has_dyn_sized_stack, 0
	.set _ZL33flash_attn_stream_k_fixup_generalILi512ELi4ELi4EEvPfPK15HIP_vector_typeIfLj2EEiiiiS1_IjLj3EES5_S5_S5_.has_recursion, 0
	.set _ZL33flash_attn_stream_k_fixup_generalILi512ELi4ELi4EEvPfPK15HIP_vector_typeIfLj2EEiiiiS1_IjLj3EES5_S5_S5_.has_indirect_call, 0
	.section	.AMDGPU.csdata,"",@progbits
; Kernel info:
; codeLenInByte = 2940
; TotalNumSgprs: 42
; NumVgprs: 18
; NumAgprs: 0
; TotalNumVgprs: 18
; ScratchSize: 0
; MemoryBound: 0
; FloatMode: 240
; IeeeMode: 1
; LDSByteSize: 0 bytes/workgroup (compile time only)
; SGPRBlocks: 5
; VGPRBlocks: 2
; NumSGPRsForWavesPerEU: 42
; NumVGPRsForWavesPerEU: 18
; AccumOffset: 20
; Occupancy: 8
; WaveLimiterHint : 0
; COMPUTE_PGM_RSRC2:SCRATCH_EN: 0
; COMPUTE_PGM_RSRC2:USER_SGPR: 2
; COMPUTE_PGM_RSRC2:TRAP_HANDLER: 0
; COMPUTE_PGM_RSRC2:TGID_X_EN: 1
; COMPUTE_PGM_RSRC2:TGID_Y_EN: 1
; COMPUTE_PGM_RSRC2:TGID_Z_EN: 1
; COMPUTE_PGM_RSRC2:TIDIG_COMP_CNT: 0
; COMPUTE_PGM_RSRC3_GFX90A:ACCUM_OFFSET: 4
; COMPUTE_PGM_RSRC3_GFX90A:TG_SPLIT: 0
	.section	.text._ZL15flash_attn_tileILi512ELi512ELi2ELi4ELb0EEvPKcS1_S1_S1_S1_PKiPfP15HIP_vector_typeIfLj2EEffffjfiS5_IjLj3EEiiiiiiiiiiiliiliiiiil,"axG",@progbits,_ZL15flash_attn_tileILi512ELi512ELi2ELi4ELb0EEvPKcS1_S1_S1_S1_PKiPfP15HIP_vector_typeIfLj2EEffffjfiS5_IjLj3EEiiiiiiiiiiiliiliiiiil,comdat
	.globl	_ZL15flash_attn_tileILi512ELi512ELi2ELi4ELb0EEvPKcS1_S1_S1_S1_PKiPfP15HIP_vector_typeIfLj2EEffffjfiS5_IjLj3EEiiiiiiiiiiiliiliiiiil ; -- Begin function _ZL15flash_attn_tileILi512ELi512ELi2ELi4ELb0EEvPKcS1_S1_S1_S1_PKiPfP15HIP_vector_typeIfLj2EEffffjfiS5_IjLj3EEiiiiiiiiiiiliiliiiiil
	.p2align	8
	.type	_ZL15flash_attn_tileILi512ELi512ELi2ELi4ELb0EEvPKcS1_S1_S1_S1_PKiPfP15HIP_vector_typeIfLj2EEffffjfiS5_IjLj3EEiiiiiiiiiiiliiliiiiil,@function
_ZL15flash_attn_tileILi512ELi512ELi2ELi4ELb0EEvPKcS1_S1_S1_S1_PKiPfP15HIP_vector_typeIfLj2EEffffjfiS5_IjLj3EEiiiiiiiiiiiliiliiiiil: ; @_ZL15flash_attn_tileILi512ELi512ELi2ELi4ELb0EEvPKcS1_S1_S1_S1_PKiPfP15HIP_vector_typeIfLj2EEffffjfiS5_IjLj3EEiiiiiiiiiiiliiliiiiil
; %bb.0:
	s_load_dwordx4 s[20:23], s[0:1], 0x5c
	s_load_dwordx2 s[28:29], s[0:1], 0x80
	s_load_dwordx2 s[34:35], s[0:1], 0xb8
	s_mov_b64 s[30:31], 0
	s_waitcnt lgkmcnt(0)
	s_ashr_i32 s5, s23, 31
	s_lshr_b32 s5, s5, 30
	s_add_i32 s5, s23, s5
	s_ashr_i32 s5, s5, 2
	v_cvt_f32_u32_e32 v1, s5
	s_sub_i32 s6, 0, s5
	v_rcp_iflag_f32_e32 v1, v1
	s_nop 0
	v_mul_f32_e32 v1, 0x4f7ffffe, v1
	v_cvt_u32_f32_e32 v1, v1
	s_nop 0
	v_readfirstlane_b32 s7, v1
	s_mul_i32 s6, s6, s7
	s_mul_hi_u32 s6, s7, s6
	s_add_i32 s7, s7, s6
	s_mul_hi_u32 s6, s4, s7
	s_mul_i32 s7, s6, s5
	s_sub_i32 s7, s4, s7
	s_add_i32 s8, s6, 1
	s_sub_i32 s9, s7, s5
	s_cmp_ge_u32 s7, s5
	s_cselect_b32 s6, s8, s6
	s_cselect_b32 s7, s9, s7
	s_add_i32 s8, s6, 1
	s_cmp_ge_u32 s7, s5
	s_cselect_b32 s33, s8, s6
	s_abs_i32 s5, s29
	v_cvt_f32_u32_e32 v1, s5
	s_lshl_b32 s4, s4, 2
	s_mul_i32 s8, s33, s23
	s_xor_b32 s6, s23, s29
	v_rcp_iflag_f32_e32 v1, v1
	s_sub_i32 s9, 0, s5
	s_sub_i32 s29, s4, s8
	s_abs_i32 s7, s23
	v_mul_f32_e32 v1, 0x4f7ffffe, v1
	v_cvt_u32_f32_e32 v1, v1
	s_ashr_i32 s6, s6, 31
	v_readfirstlane_b32 s4, v1
	s_mul_i32 s9, s9, s4
	s_mul_hi_u32 s8, s4, s9
	s_add_i32 s4, s4, s8
	s_mul_hi_u32 s4, s7, s4
	s_mul_i32 s8, s4, s5
	s_sub_i32 s7, s7, s8
	s_add_i32 s9, s4, 1
	s_sub_i32 s8, s7, s5
	s_cmp_ge_u32 s7, s5
	s_cselect_b32 s4, s9, s4
	s_cselect_b32 s7, s8, s7
	s_add_i32 s8, s4, 1
	s_cmp_ge_u32 s7, s5
	s_cselect_b32 s4, s8, s4
	s_xor_b32 s4, s4, s6
	s_sub_i32 s37, s4, s6
	s_abs_i32 s36, s37
	v_cvt_f32_u32_e32 v1, s36
	s_load_dwordx16 s[4:19], s[0:1], 0x0
	v_rcp_iflag_f32_e32 v1, v1
	s_waitcnt lgkmcnt(0)
	s_cmp_eq_u64 s[10:11], 0
	v_mul_f32_e32 v1, 0x4f7ffffe, v1
	v_cvt_u32_f32_e32 v1, v1
	s_nop 0
	v_readfirstlane_b32 s38, v1
	s_cbranch_scc1 .LBB20_2
; %bb.1:
	s_abs_i32 s26, s34
	v_cvt_f32_u32_e32 v1, s26
	s_sub_i32 s31, 0, s26
	s_abs_i32 s30, s33
	s_ashr_i32 s27, s33, 31
	v_rcp_iflag_f32_e32 v1, v1
	s_load_dwordx2 s[24:25], s[0:1], 0xc8
	v_mul_f32_e32 v1, 0x4f7ffffe, v1
	v_cvt_u32_f32_e32 v1, v1
	s_nop 0
	v_readfirstlane_b32 s34, v1
	s_mul_i32 s31, s31, s34
	s_mul_hi_u32 s31, s34, s31
	s_add_i32 s34, s34, s31
	s_mul_hi_u32 s31, s30, s34
	s_mul_i32 s31, s31, s26
	s_sub_i32 s30, s30, s31
	s_sub_i32 s31, s30, s26
	s_cmp_ge_u32 s30, s26
	s_cselect_b32 s30, s31, s30
	s_sub_i32 s31, s30, s26
	s_cmp_ge_u32 s30, s26
	s_cselect_b32 s26, s31, s30
	s_xor_b32 s26, s26, s27
	s_sub_i32 s26, s26, s27
	s_ashr_i32 s27, s26, 31
	s_waitcnt lgkmcnt(0)
	s_mul_hi_u32 s30, s24, s26
	s_mul_i32 s27, s24, s27
	s_mul_i32 s25, s25, s26
	s_add_i32 s27, s30, s27
	s_add_i32 s27, s27, s25
	s_mul_i32 s24, s24, s26
	s_add_u32 s30, s10, s24
	s_addc_u32 s31, s11, s27
.LBB20_2:
	s_load_dwordx4 s[24:27], s[0:1], 0x70
	v_lshrrev_b32_e32 v1, 10, v0
	v_bfe_u32 v1, v1, 2, 8
	v_lshl_add_u32 v26, s2, 1, v1
	v_bfe_u32 v9, v0, 10, 2
	s_waitcnt lgkmcnt(0)
	s_mul_i32 s10, s33, s26
	s_ashr_i32 s26, s10, 31
	s_mul_i32 s11, s29, s25
	s_add_u32 s4, s4, s10
	s_addc_u32 s5, s5, s26
	s_ashr_i32 s10, s11, 31
	s_add_u32 s4, s4, s11
	s_addc_u32 s5, s5, s10
	s_ashr_i32 s11, s25, 31
	s_mov_b32 s10, s25
	s_lshr_b64 s[26:27], s[10:11], 2
	v_mul_hi_u32 v1, s20, v26
	s_lshr_b32 s25, s11, 2
	v_mad_u64_u32 v[2:3], s[10:11], s26, v9, 0
	v_add_u32_e32 v1, v26, v1
	v_mov_b32_e32 v4, v3
	v_lshrrev_b32_e32 v1, s21, v1
	v_mad_u64_u32 v[4:5], s[10:11], s25, v9, v[4:5]
	v_mul_lo_u32 v1, v1, s22
	s_ashr_i32 s25, s24, 31
	v_sub_u32_e32 v1, v26, v1
	s_lshr_b64 s[10:11], s[24:25], 2
	v_mov_b32_e32 v3, v4
	v_mad_u64_u32 v[4:5], s[10:11], s10, v1, 0
	v_mov_b32_e32 v6, v5
	s_lshr_b32 s10, s25, 2
	v_mad_u64_u32 v[6:7], s[10:11], s10, v1, v[6:7]
	v_mov_b32_e32 v5, v6
	v_and_b32_e32 v8, 0x3ff, v0
	v_lshl_add_u64 v[2:3], v[2:3], 2, s[4:5]
	v_mov_b32_e32 v7, 0
	v_lshl_add_u64 v[2:3], v[4:5], 2, v[2:3]
	v_lshlrev_b32_e32 v6, 4, v8
	v_lshl_add_u64 v[2:3], v[2:3], 0, v[6:7]
	global_load_dwordx4 v[4:7], v[2:3], off
	global_load_dwordx4 v[10:13], v[2:3], off offset:512
	global_load_dwordx4 v[14:17], v[2:3], off offset:1024
	global_load_dwordx4 v[18:21], v[2:3], off offset:1536
	s_load_dword s4, s[0:1], 0x40
	v_bfe_u32 v0, v0, 10, 10
	v_lshlrev_b32_e32 v2, 10, v0
	v_lshlrev_b32_e32 v28, 3, v8
	v_add_u32_e32 v29, 0x2400, v2
	v_add_u32_e32 v3, v29, v28
	s_cmp_eq_u64 s[14:15], 0
	s_waitcnt vmcnt(3) lgkmcnt(0)
	v_fma_mixlo_f16 v4, s4, v4, 0
	v_fma_mixlo_f16 v5, s4, v5, 0
	;; [unrolled: 1-line block ×4, first 2 shown]
	s_waitcnt vmcnt(2)
	v_fma_mixlo_f16 v10, s4, v10, 0
	v_fma_mixlo_f16 v11, s4, v11, 0
	;; [unrolled: 1-line block ×4, first 2 shown]
	s_waitcnt vmcnt(1)
	v_fma_mixlo_f16 v14, s4, v14, 0
	v_fma_mixlo_f16 v15, s4, v15, 0
	s_waitcnt vmcnt(0)
	v_fma_mixlo_f16 v18, s4, v18, 0
	v_fma_mixlo_f16 v19, s4, v19, 0
	v_lshlrev_b32_e32 v5, 16, v5
	v_and_b32_e32 v4, 0xffff, v4
	v_lshlrev_b32_e32 v7, 16, v7
	v_and_b32_e32 v6, 0xffff, v6
	;; [unrolled: 2-line block ×3, first 2 shown]
	v_fma_mixlo_f16 v16, s4, v16, 0
	v_fma_mixlo_f16 v17, s4, v17, 0
	;; [unrolled: 1-line block ×4, first 2 shown]
	v_lshlrev_b32_e32 v13, 16, v13
	v_and_b32_e32 v12, 0xffff, v12
	v_lshlrev_b32_e32 v15, 16, v15
	v_and_b32_e32 v14, 0xffff, v14
	;; [unrolled: 2-line block ×3, first 2 shown]
	v_or_b32_e32 v4, v5, v4
	v_or3_b32 v5, v7, v6, 0
	v_or_b32_e32 v6, v11, v10
	v_lshlrev_b32_e32 v17, 16, v17
	v_and_b32_e32 v16, 0xffff, v16
	v_lshlrev_b32_e32 v21, 16, v21
	v_and_b32_e32 v20, 0xffff, v20
	v_or3_b32 v7, v13, v12, 0
	v_or_b32_e32 v10, v15, v14
	v_or_b32_e32 v12, v19, v18
	v_or3_b32 v4, 0, 0, v4
	v_or3_b32 v6, 0, 0, v6
	;; [unrolled: 1-line block ×6, first 2 shown]
	ds_write2_b64 v3, v[4:5], v[6:7] offset1:32
	ds_write2_b64 v3, v[10:11], v[12:13] offset0:64 offset1:96
	s_waitcnt lgkmcnt(0)
	s_barrier
	s_cbranch_scc1 .LBB20_4
; %bb.3:
	s_load_dword s4, s[0:1], 0xd0
	s_mov_b32 s5, 0
	s_waitcnt lgkmcnt(0)
	s_mul_i32 s4, s4, s33
	s_add_i32 s4, s4, s2
	s_lshl_b64 s[4:5], s[4:5], 2
	s_add_u32 s4, s14, s4
	s_addc_u32 s5, s15, s5
	s_load_dword s28, s[4:5], 0x0
.LBB20_4:
	s_lshl_b32 s2, s3, 6
	v_lshlrev_b32_e32 v27, 2, v8
	s_waitcnt lgkmcnt(0)
	s_cmp_lt_i32 s2, s28
	v_mbcnt_lo_u32_b32 v3, -1, 0
	s_cbranch_scc1 .LBB20_7
; %bb.5:
	v_mbcnt_hi_u32_b32 v17, -1, v3
	v_and_b32_e32 v4, 0x60, v17
	v_add_u32_e32 v30, 32, v4
	v_xor_b32_e32 v35, 16, v17
	v_xor_b32_e32 v34, 8, v17
	;; [unrolled: 1-line block ×5, first 2 shown]
	s_cbranch_execz .LBB20_8
; %bb.6:
	v_mov_b32_e32 v53, 0
	v_mov_b32_e32 v58, 0
	;; [unrolled: 1-line block ×10, first 2 shown]
	s_branch .LBB20_10
.LBB20_7:
                                        ; implicit-def: $vgpr17
                                        ; implicit-def: $vgpr30
                                        ; implicit-def: $vgpr35
                                        ; implicit-def: $vgpr34
                                        ; implicit-def: $vgpr33
                                        ; implicit-def: $vgpr32
                                        ; implicit-def: $vgpr31
.LBB20_8:
	s_sub_i32 s4, 0, s36
	s_mul_i32 s4, s4, s38
	s_mul_hi_u32 s4, s38, s4
	s_add_i32 s38, s38, s4
	s_load_dwordx2 s[4:5], s[0:1], 0x8c
	s_load_dwordx4 s[24:27], s[0:1], 0x98
	s_abs_i32 s14, s29
	s_mul_hi_u32 s15, s14, s38
	s_ashr_i32 s21, s37, 31
	s_ashr_i32 s20, s29, 31
	s_waitcnt lgkmcnt(0)
	s_ashr_i32 s34, s26, 2
	s_ashr_i32 s26, s35, 1
	;; [unrolled: 1-line block ×4, first 2 shown]
	s_mul_hi_u32 s37, s24, s33
	s_mul_i32 s38, s24, s4
	s_add_i32 s37, s37, s38
	s_mul_i32 s25, s25, s33
	s_add_i32 s37, s37, s25
	s_mul_i32 s24, s24, s33
	s_add_u32 s6, s6, s24
	s_addc_u32 s7, s7, s37
	s_xor_b32 s20, s20, s21
	s_mul_i32 s21, s15, s36
	s_sub_i32 s14, s14, s21
	s_add_i32 s21, s15, 1
	s_sub_i32 s24, s14, s36
	s_cmp_ge_u32 s14, s36
	s_cselect_b32 s15, s21, s15
	s_cselect_b32 s14, s24, s14
	s_add_i32 s21, s15, 1
	s_cmp_ge_u32 s14, s36
	s_load_dwordx2 s[10:11], s[0:1], 0xa8
	s_cselect_b32 s14, s21, s15
	s_xor_b32 s14, s14, s20
	s_sub_i32 s14, s14, s20
	s_mul_i32 s5, s14, s5
	s_ashr_i32 s15, s5, 31
	s_add_u32 s36, s6, s5
	s_waitcnt lgkmcnt(0)
	s_mul_hi_u32 s5, s10, s33
	s_mul_i32 s4, s10, s4
	s_addc_u32 s37, s7, s15
	s_add_i32 s4, s5, s4
	s_mul_i32 s5, s11, s33
	s_add_i32 s4, s4, s5
	s_mul_i32 s5, s10, s33
	s_add_u32 s5, s8, s5
	s_mul_i32 s14, s14, s27
	s_addc_u32 s6, s9, s4
	s_ashr_i32 s7, s14, 31
	v_lshrrev_b32_e32 v4, 3, v8
	s_add_u32 s4, s5, s14
	v_lshl_add_u32 v5, v0, 2, v4
	v_and_b32_e32 v4, 28, v27
	s_addc_u32 s5, s6, s7
	v_lshlrev_b32_e32 v6, 2, v4
	s_movk_i32 s6, 0x90
	v_mad_u32_u24 v36, v5, s6, v6
	v_mad_u64_u32 v[16:17], s[6:7], v1, s26, v[8:9]
	v_mov_b32_e32 v1, 0x4400
	v_lshl_add_u32 v39, v0, 7, v1
	v_mul_lo_u32 v0, s34, v0
	v_ashrrev_i32_e32 v1, 31, v0
	v_mov_b32_e32 v11, 0
	v_mul_lo_u32 v12, s35, v5
	v_lshlrev_b32_e32 v10, 2, v27
	v_lshl_add_u64 v[0:1], v[0:1], 2, s[4:5]
	v_mbcnt_hi_u32_b32 v17, -1, v3
	v_lshl_add_u32 v14, s35, 5, v12
	v_add_u32_e32 v41, v2, v10
	s_add_u32 s8, s0, 0xd0
	v_lshl_add_u64 v[18:19], v[0:1], 0, v[10:11]
	v_and_b32_e32 v1, 0x60, v17
	v_ashrrev_i32_e32 v13, 31, v12
	v_add_u32_e32 v37, 0x1200, v36
	v_ashrrev_i32_e32 v15, 31, v14
	v_mul_u32_u24_e32 v38, 0x90, v8
	v_lshl_add_u32 v40, v8, 1, v39
	v_add_u32_e32 v42, 0x200, v41
	s_addc_u32 s9, s1, 0
	v_mov_b32_e32 v0, 0xfeffffff
	v_lshlrev_b32_e32 v10, 2, v4
	v_add_u32_e32 v30, 32, v1
	v_xor_b32_e32 v35, 16, v17
	v_xor_b32_e32 v34, 8, v17
	v_xor_b32_e32 v33, 4, v17
	v_xor_b32_e32 v32, 2, v17
	v_xor_b32_e32 v31, 1, v17
	s_mov_b32 s38, 0x3fb8aa3b
	s_mov_b32 s39, 0xc2ce8ed0
	;; [unrolled: 1-line block ×3, first 2 shown]
	v_mov_b32_e32 v43, 0x7f800000
	s_mov_b32 s41, 0x10001
	v_add_u32_e32 v44, 0x800, v28
	v_add_u32_e32 v45, 0x1000, v28
	;; [unrolled: 1-line block ×3, first 2 shown]
	v_mov_b32_e32 v47, v11
	v_mov_b32_e32 v48, v11
	;; [unrolled: 1-line block ×9, first 2 shown]
.LBB20_9:                               ; =>This Inner Loop Header: Depth=1
	s_mul_hi_i32 s5, s2, s35
	s_mul_i32 s4, s2, s35
	s_lshl_b64 s[4:5], s[4:5], 2
	s_add_u32 s4, s36, s4
	s_addc_u32 s5, s37, s5
	v_mov_b32_e32 v55, v0
	v_lshl_add_u64 v[0:1], v[12:13], 2, s[4:5]
	v_lshl_add_u64 v[2:3], v[14:15], 2, s[4:5]
	;; [unrolled: 1-line block ×4, first 2 shown]
	global_load_dwordx4 v[4:7], v[0:1], off
	global_load_dwordx4 v[60:63], v[2:3], off
	v_mov_b32_e32 v56, 0
	v_mov_b32_e32 v57, 0
	v_add_u32_e32 v22, s2, v16
	v_ashrrev_i32_e32 v23, 31, v22
	v_lshl_add_u64 v[22:23], v[22:23], 1, s[30:31]
	v_cmp_lt_i32_e32 vcc, v35, v30
	v_mov_b32_e32 v59, v58
	s_mul_hi_i32 s5, s2, s34
	v_cndmask_b32_e32 v20, v17, v35, vcc
	v_cmp_lt_i32_e32 vcc, v34, v30
	s_mul_i32 s4, s2, s34
	s_or_b32 s6, s2, 24
	v_cndmask_b32_e32 v21, v17, v34, vcc
	v_cmp_lt_i32_e32 vcc, v33, v30
	s_or_b32 s7, s2, 32
	s_mul_hi_i32 s27, s6, s34
	v_cndmask_b32_e32 v24, v17, v33, vcc
	v_cmp_lt_i32_e32 vcc, v32, v30
	s_mul_i32 s26, s6, s34
	s_mul_hi_i32 s25, s7, s34
	v_cndmask_b32_e32 v25, v17, v32, vcc
	v_cmp_lt_i32_e32 vcc, v31, v30
	s_mul_i32 s24, s7, s34
	s_or_b32 s10, s2, 40
	s_mul_hi_i32 s11, s10, s34
	s_mul_i32 s10, s10, s34
	s_or_b32 s14, s2, 48
	s_mul_hi_i32 s21, s14, s34
	;; [unrolled: 3-line block ×3, first 2 shown]
	s_mul_i32 s14, s46, s34
	s_waitcnt vmcnt(1)
	ds_write_b128 v36, v[4:7]
	s_waitcnt vmcnt(0)
	ds_write_b128 v37, v[60:63]
	s_waitcnt lgkmcnt(0)
	s_barrier
	ds_read_b128 v[4:7], v38
	ds_read_b128 v[60:63], v29
	ds_read_b128 v[64:67], v38 offset:4608
	s_waitcnt lgkmcnt(1)
	;;#ASMSTART
	v_dot2_f32_f16 v56, v4, v60, v56
	;;#ASMEND
	s_nop 0
	;;#ASMSTART
	v_dot2_f32_f16 v56, v5, v61, v56
	;;#ASMEND
	s_nop 0
	;;#ASMSTART
	v_dot2_f32_f16 v56, v6, v62, v56
	;;#ASMEND
	s_nop 0
	;;#ASMSTART
	v_dot2_f32_f16 v56, v7, v63, v56
	;;#ASMEND
	s_waitcnt lgkmcnt(0)
	;;#ASMSTART
	v_dot2_f32_f16 v57, v64, v60, v57
	;;#ASMEND
	s_nop 0
	;;#ASMSTART
	v_dot2_f32_f16 v57, v65, v61, v57
	;;#ASMEND
	s_nop 0
	;;#ASMSTART
	v_dot2_f32_f16 v57, v66, v62, v57
	;;#ASMEND
	s_nop 0
	;;#ASMSTART
	v_dot2_f32_f16 v57, v67, v63, v57
	;;#ASMEND
	ds_read_b128 v[4:7], v38 offset:16
	ds_read_b128 v[60:63], v29 offset:16
	ds_read_b128 v[64:67], v38 offset:4624
	s_waitcnt lgkmcnt(1)
	;;#ASMSTART
	v_dot2_f32_f16 v56, v4, v60, v56
	;;#ASMEND
	s_nop 0
	;;#ASMSTART
	v_dot2_f32_f16 v56, v5, v61, v56
	;;#ASMEND
	s_nop 0
	;;#ASMSTART
	v_dot2_f32_f16 v56, v6, v62, v56
	;;#ASMEND
	s_nop 0
	;;#ASMSTART
	v_dot2_f32_f16 v56, v7, v63, v56
	;;#ASMEND
	s_waitcnt lgkmcnt(0)
	;;#ASMSTART
	v_dot2_f32_f16 v57, v64, v60, v57
	;;#ASMEND
	s_nop 0
	;;#ASMSTART
	v_dot2_f32_f16 v57, v65, v61, v57
	;;#ASMEND
	s_nop 0
	;;#ASMSTART
	v_dot2_f32_f16 v57, v66, v62, v57
	;;#ASMEND
	s_nop 0
	;;#ASMSTART
	v_dot2_f32_f16 v57, v67, v63, v57
	;;#ASMEND
	ds_read_b128 v[4:7], v38 offset:32
	ds_read_b128 v[60:63], v29 offset:32
	ds_read_b128 v[64:67], v38 offset:4640
	s_waitcnt lgkmcnt(1)
	;;#ASMSTART
	v_dot2_f32_f16 v56, v4, v60, v56
	;;#ASMEND
	s_nop 0
	;;#ASMSTART
	v_dot2_f32_f16 v56, v5, v61, v56
	;;#ASMEND
	s_nop 0
	;;#ASMSTART
	v_dot2_f32_f16 v56, v6, v62, v56
	;;#ASMEND
	s_nop 0
	;;#ASMSTART
	v_dot2_f32_f16 v56, v7, v63, v56
	;;#ASMEND
	s_waitcnt lgkmcnt(0)
	;;#ASMSTART
	v_dot2_f32_f16 v57, v64, v60, v57
	;;#ASMEND
	s_nop 0
	;;#ASMSTART
	v_dot2_f32_f16 v57, v65, v61, v57
	;;#ASMEND
	s_nop 0
	;;#ASMSTART
	v_dot2_f32_f16 v57, v66, v62, v57
	;;#ASMEND
	s_nop 0
	;;#ASMSTART
	v_dot2_f32_f16 v57, v67, v63, v57
	;;#ASMEND
	ds_read_b128 v[4:7], v38 offset:48
	ds_read_b128 v[60:63], v29 offset:48
	ds_read_b128 v[64:67], v38 offset:4656
	s_waitcnt lgkmcnt(1)
	;;#ASMSTART
	v_dot2_f32_f16 v56, v4, v60, v56
	;;#ASMEND
	s_nop 0
	;;#ASMSTART
	v_dot2_f32_f16 v56, v5, v61, v56
	;;#ASMEND
	s_nop 0
	;;#ASMSTART
	v_dot2_f32_f16 v56, v6, v62, v56
	;;#ASMEND
	s_nop 0
	;;#ASMSTART
	v_dot2_f32_f16 v56, v7, v63, v56
	;;#ASMEND
	s_waitcnt lgkmcnt(0)
	;;#ASMSTART
	v_dot2_f32_f16 v57, v64, v60, v57
	;;#ASMEND
	s_nop 0
	;;#ASMSTART
	v_dot2_f32_f16 v57, v65, v61, v57
	;;#ASMEND
	s_nop 0
	;;#ASMSTART
	v_dot2_f32_f16 v57, v66, v62, v57
	;;#ASMEND
	s_nop 0
	;;#ASMSTART
	v_dot2_f32_f16 v57, v67, v63, v57
	;;#ASMEND
	ds_read_b128 v[4:7], v38 offset:64
	ds_read_b128 v[60:63], v29 offset:64
	ds_read_b128 v[64:67], v38 offset:4672
	s_waitcnt lgkmcnt(1)
	;;#ASMSTART
	v_dot2_f32_f16 v56, v4, v60, v56
	;;#ASMEND
	s_nop 0
	;;#ASMSTART
	v_dot2_f32_f16 v56, v5, v61, v56
	;;#ASMEND
	s_nop 0
	;;#ASMSTART
	v_dot2_f32_f16 v56, v6, v62, v56
	;;#ASMEND
	s_nop 0
	;;#ASMSTART
	v_dot2_f32_f16 v56, v7, v63, v56
	;;#ASMEND
	s_waitcnt lgkmcnt(0)
	;;#ASMSTART
	v_dot2_f32_f16 v57, v64, v60, v57
	;;#ASMEND
	s_nop 0
	;;#ASMSTART
	v_dot2_f32_f16 v57, v65, v61, v57
	;;#ASMEND
	s_nop 0
	;;#ASMSTART
	v_dot2_f32_f16 v57, v66, v62, v57
	;;#ASMEND
	s_nop 0
	;;#ASMSTART
	v_dot2_f32_f16 v57, v67, v63, v57
	;;#ASMEND
	ds_read_b128 v[4:7], v38 offset:80
	ds_read_b128 v[60:63], v29 offset:80
	ds_read_b128 v[64:67], v38 offset:4688
	s_waitcnt lgkmcnt(1)
	;;#ASMSTART
	v_dot2_f32_f16 v56, v4, v60, v56
	;;#ASMEND
	s_nop 0
	;;#ASMSTART
	v_dot2_f32_f16 v56, v5, v61, v56
	;;#ASMEND
	s_nop 0
	;;#ASMSTART
	v_dot2_f32_f16 v56, v6, v62, v56
	;;#ASMEND
	s_nop 0
	;;#ASMSTART
	v_dot2_f32_f16 v56, v7, v63, v56
	;;#ASMEND
	s_waitcnt lgkmcnt(0)
	;;#ASMSTART
	v_dot2_f32_f16 v57, v64, v60, v57
	;;#ASMEND
	s_nop 0
	;;#ASMSTART
	v_dot2_f32_f16 v57, v65, v61, v57
	;;#ASMEND
	s_nop 0
	;;#ASMSTART
	v_dot2_f32_f16 v57, v66, v62, v57
	;;#ASMEND
	s_nop 0
	;;#ASMSTART
	v_dot2_f32_f16 v57, v67, v63, v57
	;;#ASMEND
	ds_read_b128 v[4:7], v38 offset:96
	ds_read_b128 v[60:63], v29 offset:96
	ds_read_b128 v[64:67], v38 offset:4704
	s_waitcnt lgkmcnt(1)
	;;#ASMSTART
	v_dot2_f32_f16 v56, v4, v60, v56
	;;#ASMEND
	s_nop 0
	;;#ASMSTART
	v_dot2_f32_f16 v56, v5, v61, v56
	;;#ASMEND
	s_nop 0
	;;#ASMSTART
	v_dot2_f32_f16 v56, v6, v62, v56
	;;#ASMEND
	s_nop 0
	;;#ASMSTART
	v_dot2_f32_f16 v56, v7, v63, v56
	;;#ASMEND
	s_waitcnt lgkmcnt(0)
	;;#ASMSTART
	v_dot2_f32_f16 v57, v64, v60, v57
	;;#ASMEND
	s_nop 0
	;;#ASMSTART
	v_dot2_f32_f16 v57, v65, v61, v57
	;;#ASMEND
	s_nop 0
	;;#ASMSTART
	v_dot2_f32_f16 v57, v66, v62, v57
	;;#ASMEND
	s_nop 0
	;;#ASMSTART
	v_dot2_f32_f16 v57, v67, v63, v57
	;;#ASMEND
	ds_read_b128 v[4:7], v38 offset:112
	ds_read_b128 v[60:63], v29 offset:112
	ds_read_b128 v[64:67], v38 offset:4720
	s_waitcnt lgkmcnt(1)
	;;#ASMSTART
	v_dot2_f32_f16 v56, v4, v60, v56
	;;#ASMEND
	s_nop 0
	;;#ASMSTART
	v_dot2_f32_f16 v56, v5, v61, v56
	;;#ASMEND
	s_nop 0
	;; [unrolled: 4-line block ×3, first 2 shown]
	;;#ASMSTART
	v_dot2_f32_f16 v56, v7, v63, v56
	;;#ASMEND
	s_waitcnt lgkmcnt(0)
	;;#ASMSTART
	v_dot2_f32_f16 v57, v64, v60, v57
	;;#ASMEND
	s_nop 0
	;;#ASMSTART
	v_dot2_f32_f16 v57, v65, v61, v57
	;;#ASMEND
	s_nop 0
	;; [unrolled: 4-line block ×3, first 2 shown]
	;;#ASMSTART
	v_dot2_f32_f16 v57, v67, v63, v57
	;;#ASMEND
	s_barrier
	global_load_dwordx4 v[4:7], v[0:1], off offset:128
	global_load_dwordx4 v[60:63], v[2:3], off offset:128
	s_waitcnt vmcnt(1)
	ds_write_b128 v36, v[4:7]
	s_waitcnt vmcnt(0)
	ds_write_b128 v37, v[60:63]
	s_waitcnt lgkmcnt(0)
	s_barrier
	ds_read_b128 v[4:7], v38
	ds_read_b128 v[60:63], v29 offset:128
	ds_read_b128 v[64:67], v38 offset:4608
	s_waitcnt lgkmcnt(1)
	;;#ASMSTART
	v_dot2_f32_f16 v56, v4, v60, v56
	;;#ASMEND
	s_nop 0
	;;#ASMSTART
	v_dot2_f32_f16 v56, v5, v61, v56
	;;#ASMEND
	s_nop 0
	;;#ASMSTART
	v_dot2_f32_f16 v56, v6, v62, v56
	;;#ASMEND
	s_nop 0
	;;#ASMSTART
	v_dot2_f32_f16 v56, v7, v63, v56
	;;#ASMEND
	s_waitcnt lgkmcnt(0)
	;;#ASMSTART
	v_dot2_f32_f16 v57, v64, v60, v57
	;;#ASMEND
	s_nop 0
	;;#ASMSTART
	v_dot2_f32_f16 v57, v65, v61, v57
	;;#ASMEND
	s_nop 0
	;;#ASMSTART
	v_dot2_f32_f16 v57, v66, v62, v57
	;;#ASMEND
	s_nop 0
	;;#ASMSTART
	v_dot2_f32_f16 v57, v67, v63, v57
	;;#ASMEND
	ds_read_b128 v[4:7], v38 offset:16
	ds_read_b128 v[60:63], v29 offset:144
	ds_read_b128 v[64:67], v38 offset:4624
	s_waitcnt lgkmcnt(1)
	;;#ASMSTART
	v_dot2_f32_f16 v56, v4, v60, v56
	;;#ASMEND
	s_nop 0
	;;#ASMSTART
	v_dot2_f32_f16 v56, v5, v61, v56
	;;#ASMEND
	s_nop 0
	;;#ASMSTART
	v_dot2_f32_f16 v56, v6, v62, v56
	;;#ASMEND
	s_nop 0
	;;#ASMSTART
	v_dot2_f32_f16 v56, v7, v63, v56
	;;#ASMEND
	s_waitcnt lgkmcnt(0)
	;;#ASMSTART
	v_dot2_f32_f16 v57, v64, v60, v57
	;;#ASMEND
	s_nop 0
	;;#ASMSTART
	v_dot2_f32_f16 v57, v65, v61, v57
	;;#ASMEND
	s_nop 0
	;;#ASMSTART
	v_dot2_f32_f16 v57, v66, v62, v57
	;;#ASMEND
	s_nop 0
	;;#ASMSTART
	v_dot2_f32_f16 v57, v67, v63, v57
	;;#ASMEND
	ds_read_b128 v[4:7], v38 offset:32
	;; [unrolled: 35-line block ×7, first 2 shown]
	ds_read_b128 v[60:63], v29 offset:240
	ds_read_b128 v[64:67], v38 offset:4720
	s_waitcnt lgkmcnt(1)
	;;#ASMSTART
	v_dot2_f32_f16 v56, v4, v60, v56
	;;#ASMEND
	s_nop 0
	;;#ASMSTART
	v_dot2_f32_f16 v56, v5, v61, v56
	;;#ASMEND
	s_nop 0
	;; [unrolled: 4-line block ×3, first 2 shown]
	;;#ASMSTART
	v_dot2_f32_f16 v56, v7, v63, v56
	;;#ASMEND
	s_waitcnt lgkmcnt(0)
	;;#ASMSTART
	v_dot2_f32_f16 v57, v64, v60, v57
	;;#ASMEND
	s_nop 0
	;;#ASMSTART
	v_dot2_f32_f16 v57, v65, v61, v57
	;;#ASMEND
	s_nop 0
	;; [unrolled: 4-line block ×3, first 2 shown]
	;;#ASMSTART
	v_dot2_f32_f16 v57, v67, v63, v57
	;;#ASMEND
	s_barrier
	global_load_dwordx4 v[4:7], v[0:1], off offset:256
	global_load_dwordx4 v[60:63], v[2:3], off offset:256
	s_waitcnt vmcnt(1)
	ds_write_b128 v36, v[4:7]
	s_waitcnt vmcnt(0)
	ds_write_b128 v37, v[60:63]
	s_waitcnt lgkmcnt(0)
	s_barrier
	ds_read_b128 v[4:7], v38
	ds_read_b128 v[60:63], v29 offset:256
	ds_read_b128 v[64:67], v38 offset:4608
	s_waitcnt lgkmcnt(1)
	;;#ASMSTART
	v_dot2_f32_f16 v56, v4, v60, v56
	;;#ASMEND
	s_nop 0
	;;#ASMSTART
	v_dot2_f32_f16 v56, v5, v61, v56
	;;#ASMEND
	s_nop 0
	;;#ASMSTART
	v_dot2_f32_f16 v56, v6, v62, v56
	;;#ASMEND
	s_nop 0
	;;#ASMSTART
	v_dot2_f32_f16 v56, v7, v63, v56
	;;#ASMEND
	s_waitcnt lgkmcnt(0)
	;;#ASMSTART
	v_dot2_f32_f16 v57, v64, v60, v57
	;;#ASMEND
	s_nop 0
	;;#ASMSTART
	v_dot2_f32_f16 v57, v65, v61, v57
	;;#ASMEND
	s_nop 0
	;;#ASMSTART
	v_dot2_f32_f16 v57, v66, v62, v57
	;;#ASMEND
	s_nop 0
	;;#ASMSTART
	v_dot2_f32_f16 v57, v67, v63, v57
	;;#ASMEND
	ds_read_b128 v[4:7], v38 offset:16
	ds_read_b128 v[60:63], v29 offset:272
	ds_read_b128 v[64:67], v38 offset:4624
	s_waitcnt lgkmcnt(1)
	;;#ASMSTART
	v_dot2_f32_f16 v56, v4, v60, v56
	;;#ASMEND
	s_nop 0
	;;#ASMSTART
	v_dot2_f32_f16 v56, v5, v61, v56
	;;#ASMEND
	s_nop 0
	;;#ASMSTART
	v_dot2_f32_f16 v56, v6, v62, v56
	;;#ASMEND
	s_nop 0
	;;#ASMSTART
	v_dot2_f32_f16 v56, v7, v63, v56
	;;#ASMEND
	s_waitcnt lgkmcnt(0)
	;;#ASMSTART
	v_dot2_f32_f16 v57, v64, v60, v57
	;;#ASMEND
	s_nop 0
	;;#ASMSTART
	v_dot2_f32_f16 v57, v65, v61, v57
	;;#ASMEND
	s_nop 0
	;;#ASMSTART
	v_dot2_f32_f16 v57, v66, v62, v57
	;;#ASMEND
	s_nop 0
	;;#ASMSTART
	v_dot2_f32_f16 v57, v67, v63, v57
	;;#ASMEND
	ds_read_b128 v[4:7], v38 offset:32
	;; [unrolled: 35-line block ×7, first 2 shown]
	ds_read_b128 v[60:63], v29 offset:368
	ds_read_b128 v[64:67], v38 offset:4720
	s_waitcnt lgkmcnt(1)
	;;#ASMSTART
	v_dot2_f32_f16 v56, v4, v60, v56
	;;#ASMEND
	s_nop 0
	;;#ASMSTART
	v_dot2_f32_f16 v56, v5, v61, v56
	;;#ASMEND
	s_nop 0
	;;#ASMSTART
	v_dot2_f32_f16 v56, v6, v62, v56
	;;#ASMEND
	s_nop 0
	;;#ASMSTART
	v_dot2_f32_f16 v56, v7, v63, v56
	;;#ASMEND
	s_waitcnt lgkmcnt(0)
	;;#ASMSTART
	v_dot2_f32_f16 v57, v64, v60, v57
	;;#ASMEND
	s_nop 0
	;;#ASMSTART
	v_dot2_f32_f16 v57, v65, v61, v57
	;;#ASMEND
	s_nop 0
	;; [unrolled: 4-line block ×3, first 2 shown]
	;;#ASMSTART
	v_dot2_f32_f16 v57, v67, v63, v57
	;;#ASMEND
	s_barrier
	global_load_dwordx4 v[4:7], v[0:1], off offset:384
	global_load_dwordx4 v[60:63], v[2:3], off offset:384
	s_waitcnt vmcnt(1)
	ds_write_b128 v36, v[4:7]
	s_waitcnt vmcnt(0)
	ds_write_b128 v37, v[60:63]
	s_waitcnt lgkmcnt(0)
	s_barrier
	ds_read_b128 v[4:7], v38
	ds_read_b128 v[60:63], v29 offset:384
	ds_read_b128 v[64:67], v38 offset:4608
	s_waitcnt lgkmcnt(1)
	;;#ASMSTART
	v_dot2_f32_f16 v56, v4, v60, v56
	;;#ASMEND
	s_nop 0
	;;#ASMSTART
	v_dot2_f32_f16 v56, v5, v61, v56
	;;#ASMEND
	s_nop 0
	;;#ASMSTART
	v_dot2_f32_f16 v56, v6, v62, v56
	;;#ASMEND
	s_nop 0
	;;#ASMSTART
	v_dot2_f32_f16 v56, v7, v63, v56
	;;#ASMEND
	s_waitcnt lgkmcnt(0)
	;;#ASMSTART
	v_dot2_f32_f16 v57, v64, v60, v57
	;;#ASMEND
	s_nop 0
	;;#ASMSTART
	v_dot2_f32_f16 v57, v65, v61, v57
	;;#ASMEND
	s_nop 0
	;;#ASMSTART
	v_dot2_f32_f16 v57, v66, v62, v57
	;;#ASMEND
	s_nop 0
	;;#ASMSTART
	v_dot2_f32_f16 v57, v67, v63, v57
	;;#ASMEND
	ds_read_b128 v[4:7], v38 offset:16
	ds_read_b128 v[60:63], v29 offset:400
	ds_read_b128 v[64:67], v38 offset:4624
	s_waitcnt lgkmcnt(1)
	;;#ASMSTART
	v_dot2_f32_f16 v56, v4, v60, v56
	;;#ASMEND
	s_nop 0
	;;#ASMSTART
	v_dot2_f32_f16 v56, v5, v61, v56
	;;#ASMEND
	s_nop 0
	;;#ASMSTART
	v_dot2_f32_f16 v56, v6, v62, v56
	;;#ASMEND
	s_nop 0
	;;#ASMSTART
	v_dot2_f32_f16 v56, v7, v63, v56
	;;#ASMEND
	s_waitcnt lgkmcnt(0)
	;;#ASMSTART
	v_dot2_f32_f16 v57, v64, v60, v57
	;;#ASMEND
	s_nop 0
	;;#ASMSTART
	v_dot2_f32_f16 v57, v65, v61, v57
	;;#ASMEND
	s_nop 0
	;;#ASMSTART
	v_dot2_f32_f16 v57, v66, v62, v57
	;;#ASMEND
	s_nop 0
	;;#ASMSTART
	v_dot2_f32_f16 v57, v67, v63, v57
	;;#ASMEND
	ds_read_b128 v[4:7], v38 offset:32
	;; [unrolled: 35-line block ×7, first 2 shown]
	ds_read_b128 v[60:63], v29 offset:496
	ds_read_b128 v[64:67], v38 offset:4720
	s_waitcnt lgkmcnt(1)
	;;#ASMSTART
	v_dot2_f32_f16 v56, v4, v60, v56
	;;#ASMEND
	s_nop 0
	;;#ASMSTART
	v_dot2_f32_f16 v56, v5, v61, v56
	;;#ASMEND
	s_nop 0
	;; [unrolled: 4-line block ×3, first 2 shown]
	;;#ASMSTART
	v_dot2_f32_f16 v56, v7, v63, v56
	;;#ASMEND
	s_waitcnt lgkmcnt(0)
	;;#ASMSTART
	v_dot2_f32_f16 v57, v64, v60, v57
	;;#ASMEND
	s_nop 0
	;;#ASMSTART
	v_dot2_f32_f16 v57, v65, v61, v57
	;;#ASMEND
	s_nop 0
	;; [unrolled: 4-line block ×3, first 2 shown]
	;;#ASMSTART
	v_dot2_f32_f16 v57, v67, v63, v57
	;;#ASMEND
	s_barrier
	global_load_dwordx4 v[4:7], v[0:1], off offset:512
	global_load_dwordx4 v[60:63], v[2:3], off offset:512
	s_waitcnt vmcnt(1)
	ds_write_b128 v36, v[4:7]
	s_waitcnt vmcnt(0)
	ds_write_b128 v37, v[60:63]
	s_waitcnt lgkmcnt(0)
	s_barrier
	ds_read_b128 v[4:7], v38
	ds_read_b128 v[60:63], v29 offset:512
	ds_read_b128 v[64:67], v38 offset:4608
	s_waitcnt lgkmcnt(1)
	;;#ASMSTART
	v_dot2_f32_f16 v56, v4, v60, v56
	;;#ASMEND
	s_nop 0
	;;#ASMSTART
	v_dot2_f32_f16 v56, v5, v61, v56
	;;#ASMEND
	s_nop 0
	;;#ASMSTART
	v_dot2_f32_f16 v56, v6, v62, v56
	;;#ASMEND
	s_nop 0
	;;#ASMSTART
	v_dot2_f32_f16 v56, v7, v63, v56
	;;#ASMEND
	s_waitcnt lgkmcnt(0)
	;;#ASMSTART
	v_dot2_f32_f16 v57, v64, v60, v57
	;;#ASMEND
	s_nop 0
	;;#ASMSTART
	v_dot2_f32_f16 v57, v65, v61, v57
	;;#ASMEND
	s_nop 0
	;;#ASMSTART
	v_dot2_f32_f16 v57, v66, v62, v57
	;;#ASMEND
	s_nop 0
	;;#ASMSTART
	v_dot2_f32_f16 v57, v67, v63, v57
	;;#ASMEND
	ds_read_b128 v[4:7], v38 offset:16
	ds_read_b128 v[60:63], v29 offset:528
	ds_read_b128 v[64:67], v38 offset:4624
	s_waitcnt lgkmcnt(1)
	;;#ASMSTART
	v_dot2_f32_f16 v56, v4, v60, v56
	;;#ASMEND
	s_nop 0
	;;#ASMSTART
	v_dot2_f32_f16 v56, v5, v61, v56
	;;#ASMEND
	s_nop 0
	;;#ASMSTART
	v_dot2_f32_f16 v56, v6, v62, v56
	;;#ASMEND
	s_nop 0
	;;#ASMSTART
	v_dot2_f32_f16 v56, v7, v63, v56
	;;#ASMEND
	s_waitcnt lgkmcnt(0)
	;;#ASMSTART
	v_dot2_f32_f16 v57, v64, v60, v57
	;;#ASMEND
	s_nop 0
	;;#ASMSTART
	v_dot2_f32_f16 v57, v65, v61, v57
	;;#ASMEND
	s_nop 0
	;;#ASMSTART
	v_dot2_f32_f16 v57, v66, v62, v57
	;;#ASMEND
	s_nop 0
	;;#ASMSTART
	v_dot2_f32_f16 v57, v67, v63, v57
	;;#ASMEND
	ds_read_b128 v[4:7], v38 offset:32
	;; [unrolled: 35-line block ×7, first 2 shown]
	ds_read_b128 v[60:63], v29 offset:624
	ds_read_b128 v[64:67], v38 offset:4720
	s_waitcnt lgkmcnt(1)
	;;#ASMSTART
	v_dot2_f32_f16 v56, v4, v60, v56
	;;#ASMEND
	s_nop 0
	;;#ASMSTART
	v_dot2_f32_f16 v56, v5, v61, v56
	;;#ASMEND
	s_nop 0
	;; [unrolled: 4-line block ×3, first 2 shown]
	;;#ASMSTART
	v_dot2_f32_f16 v56, v7, v63, v56
	;;#ASMEND
	s_waitcnt lgkmcnt(0)
	;;#ASMSTART
	v_dot2_f32_f16 v57, v64, v60, v57
	;;#ASMEND
	s_nop 0
	;;#ASMSTART
	v_dot2_f32_f16 v57, v65, v61, v57
	;;#ASMEND
	s_nop 0
	;; [unrolled: 4-line block ×3, first 2 shown]
	;;#ASMSTART
	v_dot2_f32_f16 v57, v67, v63, v57
	;;#ASMEND
	s_barrier
	global_load_dwordx4 v[4:7], v[0:1], off offset:640
	global_load_dwordx4 v[60:63], v[2:3], off offset:640
	s_waitcnt vmcnt(1)
	ds_write_b128 v36, v[4:7]
	s_waitcnt vmcnt(0)
	ds_write_b128 v37, v[60:63]
	s_waitcnt lgkmcnt(0)
	s_barrier
	ds_read_b128 v[4:7], v38
	ds_read_b128 v[60:63], v29 offset:640
	ds_read_b128 v[64:67], v38 offset:4608
	s_waitcnt lgkmcnt(1)
	;;#ASMSTART
	v_dot2_f32_f16 v56, v4, v60, v56
	;;#ASMEND
	s_nop 0
	;;#ASMSTART
	v_dot2_f32_f16 v56, v5, v61, v56
	;;#ASMEND
	s_nop 0
	;;#ASMSTART
	v_dot2_f32_f16 v56, v6, v62, v56
	;;#ASMEND
	s_nop 0
	;;#ASMSTART
	v_dot2_f32_f16 v56, v7, v63, v56
	;;#ASMEND
	s_waitcnt lgkmcnt(0)
	;;#ASMSTART
	v_dot2_f32_f16 v57, v64, v60, v57
	;;#ASMEND
	s_nop 0
	;;#ASMSTART
	v_dot2_f32_f16 v57, v65, v61, v57
	;;#ASMEND
	s_nop 0
	;;#ASMSTART
	v_dot2_f32_f16 v57, v66, v62, v57
	;;#ASMEND
	s_nop 0
	;;#ASMSTART
	v_dot2_f32_f16 v57, v67, v63, v57
	;;#ASMEND
	ds_read_b128 v[4:7], v38 offset:16
	ds_read_b128 v[60:63], v29 offset:656
	ds_read_b128 v[64:67], v38 offset:4624
	s_waitcnt lgkmcnt(1)
	;;#ASMSTART
	v_dot2_f32_f16 v56, v4, v60, v56
	;;#ASMEND
	s_nop 0
	;;#ASMSTART
	v_dot2_f32_f16 v56, v5, v61, v56
	;;#ASMEND
	s_nop 0
	;;#ASMSTART
	v_dot2_f32_f16 v56, v6, v62, v56
	;;#ASMEND
	s_nop 0
	;;#ASMSTART
	v_dot2_f32_f16 v56, v7, v63, v56
	;;#ASMEND
	s_waitcnt lgkmcnt(0)
	;;#ASMSTART
	v_dot2_f32_f16 v57, v64, v60, v57
	;;#ASMEND
	s_nop 0
	;;#ASMSTART
	v_dot2_f32_f16 v57, v65, v61, v57
	;;#ASMEND
	s_nop 0
	;;#ASMSTART
	v_dot2_f32_f16 v57, v66, v62, v57
	;;#ASMEND
	s_nop 0
	;;#ASMSTART
	v_dot2_f32_f16 v57, v67, v63, v57
	;;#ASMEND
	ds_read_b128 v[4:7], v38 offset:32
	;; [unrolled: 35-line block ×7, first 2 shown]
	ds_read_b128 v[60:63], v29 offset:752
	ds_read_b128 v[64:67], v38 offset:4720
	s_waitcnt lgkmcnt(1)
	;;#ASMSTART
	v_dot2_f32_f16 v56, v4, v60, v56
	;;#ASMEND
	s_nop 0
	;;#ASMSTART
	v_dot2_f32_f16 v56, v5, v61, v56
	;;#ASMEND
	s_nop 0
	;; [unrolled: 4-line block ×3, first 2 shown]
	;;#ASMSTART
	v_dot2_f32_f16 v56, v7, v63, v56
	;;#ASMEND
	s_waitcnt lgkmcnt(0)
	;;#ASMSTART
	v_dot2_f32_f16 v57, v64, v60, v57
	;;#ASMEND
	s_nop 0
	;;#ASMSTART
	v_dot2_f32_f16 v57, v65, v61, v57
	;;#ASMEND
	s_nop 0
	;; [unrolled: 4-line block ×3, first 2 shown]
	;;#ASMSTART
	v_dot2_f32_f16 v57, v67, v63, v57
	;;#ASMEND
	s_barrier
	global_load_dwordx4 v[4:7], v[0:1], off offset:768
	global_load_dwordx4 v[60:63], v[2:3], off offset:768
	s_waitcnt vmcnt(1)
	ds_write_b128 v36, v[4:7]
	s_waitcnt vmcnt(0)
	ds_write_b128 v37, v[60:63]
	s_waitcnt lgkmcnt(0)
	s_barrier
	ds_read_b128 v[4:7], v38
	ds_read_b128 v[60:63], v29 offset:768
	ds_read_b128 v[64:67], v38 offset:4608
	s_waitcnt lgkmcnt(1)
	;;#ASMSTART
	v_dot2_f32_f16 v56, v4, v60, v56
	;;#ASMEND
	s_nop 0
	;;#ASMSTART
	v_dot2_f32_f16 v56, v5, v61, v56
	;;#ASMEND
	s_nop 0
	;;#ASMSTART
	v_dot2_f32_f16 v56, v6, v62, v56
	;;#ASMEND
	s_nop 0
	;;#ASMSTART
	v_dot2_f32_f16 v56, v7, v63, v56
	;;#ASMEND
	s_waitcnt lgkmcnt(0)
	;;#ASMSTART
	v_dot2_f32_f16 v57, v64, v60, v57
	;;#ASMEND
	s_nop 0
	;;#ASMSTART
	v_dot2_f32_f16 v57, v65, v61, v57
	;;#ASMEND
	s_nop 0
	;;#ASMSTART
	v_dot2_f32_f16 v57, v66, v62, v57
	;;#ASMEND
	s_nop 0
	;;#ASMSTART
	v_dot2_f32_f16 v57, v67, v63, v57
	;;#ASMEND
	ds_read_b128 v[4:7], v38 offset:16
	ds_read_b128 v[60:63], v29 offset:784
	ds_read_b128 v[64:67], v38 offset:4624
	s_waitcnt lgkmcnt(1)
	;;#ASMSTART
	v_dot2_f32_f16 v56, v4, v60, v56
	;;#ASMEND
	s_nop 0
	;;#ASMSTART
	v_dot2_f32_f16 v56, v5, v61, v56
	;;#ASMEND
	s_nop 0
	;;#ASMSTART
	v_dot2_f32_f16 v56, v6, v62, v56
	;;#ASMEND
	s_nop 0
	;;#ASMSTART
	v_dot2_f32_f16 v56, v7, v63, v56
	;;#ASMEND
	s_waitcnt lgkmcnt(0)
	;;#ASMSTART
	v_dot2_f32_f16 v57, v64, v60, v57
	;;#ASMEND
	s_nop 0
	;;#ASMSTART
	v_dot2_f32_f16 v57, v65, v61, v57
	;;#ASMEND
	s_nop 0
	;;#ASMSTART
	v_dot2_f32_f16 v57, v66, v62, v57
	;;#ASMEND
	s_nop 0
	;;#ASMSTART
	v_dot2_f32_f16 v57, v67, v63, v57
	;;#ASMEND
	ds_read_b128 v[4:7], v38 offset:32
	;; [unrolled: 35-line block ×7, first 2 shown]
	ds_read_b128 v[60:63], v29 offset:880
	ds_read_b128 v[64:67], v38 offset:4720
	s_waitcnt lgkmcnt(1)
	;;#ASMSTART
	v_dot2_f32_f16 v56, v4, v60, v56
	;;#ASMEND
	s_nop 0
	;;#ASMSTART
	v_dot2_f32_f16 v56, v5, v61, v56
	;;#ASMEND
	s_nop 0
	;;#ASMSTART
	v_dot2_f32_f16 v56, v6, v62, v56
	;;#ASMEND
	s_nop 0
	;;#ASMSTART
	v_dot2_f32_f16 v56, v7, v63, v56
	;;#ASMEND
	s_waitcnt lgkmcnt(0)
	;;#ASMSTART
	v_dot2_f32_f16 v57, v64, v60, v57
	;;#ASMEND
	v_cndmask_b32_e32 v64, v17, v31, vcc
	;;#ASMSTART
	v_dot2_f32_f16 v57, v65, v61, v57
	;;#ASMEND
	v_lshlrev_b32_e32 v58, 2, v64
	;;#ASMSTART
	v_dot2_f32_f16 v57, v66, v62, v57
	;;#ASMEND
	s_nop 0
	;;#ASMSTART
	v_dot2_f32_f16 v57, v67, v63, v57
	;;#ASMEND
	s_barrier
	global_load_dwordx4 v[4:7], v[0:1], off offset:896
	global_load_dwordx4 v[60:63], v[2:3], off offset:896
	s_waitcnt vmcnt(1)
	ds_write_b128 v36, v[4:7]
	s_waitcnt vmcnt(0)
	ds_write_b128 v37, v[60:63]
	s_waitcnt lgkmcnt(0)
	s_barrier
	ds_read_b128 v[0:3], v38
	ds_read_b128 v[4:7], v29 offset:896
	ds_read_b128 v[60:63], v38 offset:4608
	s_waitcnt lgkmcnt(1)
	;;#ASMSTART
	v_dot2_f32_f16 v56, v0, v4, v56
	;;#ASMEND
	s_nop 0
	;;#ASMSTART
	v_dot2_f32_f16 v56, v1, v5, v56
	;;#ASMEND
	s_nop 0
	;;#ASMSTART
	v_dot2_f32_f16 v56, v2, v6, v56
	;;#ASMEND
	s_nop 0
	;;#ASMSTART
	v_dot2_f32_f16 v56, v3, v7, v56
	;;#ASMEND
	s_waitcnt lgkmcnt(0)
	;;#ASMSTART
	v_dot2_f32_f16 v57, v60, v4, v57
	;;#ASMEND
	s_nop 0
	;;#ASMSTART
	v_dot2_f32_f16 v57, v61, v5, v57
	;;#ASMEND
	s_nop 0
	;;#ASMSTART
	v_dot2_f32_f16 v57, v62, v6, v57
	;;#ASMEND
	s_nop 0
	;;#ASMSTART
	v_dot2_f32_f16 v57, v63, v7, v57
	;;#ASMEND
	ds_read_b128 v[0:3], v38 offset:16
	ds_read_b128 v[4:7], v29 offset:912
	ds_read_b128 v[60:63], v38 offset:4624
	s_waitcnt lgkmcnt(1)
	;;#ASMSTART
	v_dot2_f32_f16 v56, v0, v4, v56
	;;#ASMEND
	s_nop 0
	;;#ASMSTART
	v_dot2_f32_f16 v56, v1, v5, v56
	;;#ASMEND
	s_nop 0
	;;#ASMSTART
	v_dot2_f32_f16 v56, v2, v6, v56
	;;#ASMEND
	s_nop 0
	;;#ASMSTART
	v_dot2_f32_f16 v56, v3, v7, v56
	;;#ASMEND
	s_waitcnt lgkmcnt(0)
	;;#ASMSTART
	v_dot2_f32_f16 v57, v60, v4, v57
	;;#ASMEND
	s_nop 0
	;;#ASMSTART
	v_dot2_f32_f16 v57, v61, v5, v57
	;;#ASMEND
	s_nop 0
	;;#ASMSTART
	v_dot2_f32_f16 v57, v62, v6, v57
	;;#ASMEND
	s_nop 0
	;;#ASMSTART
	v_dot2_f32_f16 v57, v63, v7, v57
	;;#ASMEND
	ds_read_b128 v[0:3], v38 offset:32
	;; [unrolled: 35-line block ×7, first 2 shown]
	ds_read_b128 v[0:3], v29 offset:1008
	ds_read_b128 v[4:7], v38 offset:4720
	s_waitcnt lgkmcnt(1)
	;;#ASMSTART
	v_dot2_f32_f16 v56, v60, v0, v56
	;;#ASMEND
	s_nop 0
	;;#ASMSTART
	v_dot2_f32_f16 v56, v61, v1, v56
	;;#ASMEND
	v_lshlrev_b32_e32 v61, 2, v24
	;;#ASMSTART
	v_dot2_f32_f16 v56, v62, v2, v56
	;;#ASMEND
	v_lshlrev_b32_e32 v62, 2, v21
	;;#ASMSTART
	v_dot2_f32_f16 v56, v63, v3, v56
	;;#ASMEND
	s_waitcnt lgkmcnt(0)
	;;#ASMSTART
	v_dot2_f32_f16 v57, v4, v0, v57
	;;#ASMEND
	v_lshlrev_b32_e32 v63, 2, v20
	;;#ASMSTART
	v_dot2_f32_f16 v57, v5, v1, v57
	;;#ASMEND
	v_lshlrev_b32_e32 v60, 2, v25
	;;#ASMSTART
	v_dot2_f32_f16 v57, v6, v2, v57
	;;#ASMEND
	v_lshl_add_u64 v[20:21], s[4:5], 2, v[18:19]
	;;#ASMSTART
	v_dot2_f32_f16 v57, v7, v3, v57
	;;#ASMEND
	global_load_ushort v0, v[22:23], off
	global_load_ushort v1, v[22:23], off offset:64
	s_barrier
	s_or_b32 s4, s2, 8
	s_or_b32 s5, s2, 16
	s_mul_hi_i32 s43, s4, s34
	s_mul_i32 s42, s4, s34
	s_mul_hi_i32 s45, s5, s34
	s_mul_i32 s44, s5, s34
	v_lshl_add_u64 v[6:7], s[42:43], 2, v[18:19]
	v_lshl_add_u64 v[24:25], s[44:45], 2, v[18:19]
	s_waitcnt vmcnt(1)
	v_cvt_f32_f16_e32 v0, v0
	s_waitcnt vmcnt(0)
	v_cvt_f32_f16_e32 v1, v1
	v_add_f32_e32 v2, v56, v0
	v_add_f32_e32 v1, v57, v1
	;; [unrolled: 1-line block ×4, first 2 shown]
	v_max3_f32 v0, v55, v0, v3
	ds_bpermute_b32 v3, v63, v0
	s_waitcnt lgkmcnt(0)
	v_max_f32_e32 v3, v3, v3
	v_max_f32_e32 v0, v0, v3
	ds_bpermute_b32 v3, v62, v0
	s_waitcnt lgkmcnt(0)
	v_max_f32_e32 v3, v3, v3
	v_max_f32_e32 v0, v0, v3
	;; [unrolled: 4-line block ×5, first 2 shown]
	v_sub_f32_e32 v56, v2, v0
	v_sub_f32_e32 v1, v1, v0
	v_mul_f32_e32 v2, 0x3fb8aa3b, v56
	v_mul_f32_e32 v3, 0x3fb8aa3b, v1
	v_fma_f32 v5, v56, s38, -v2
	v_rndne_f32_e32 v22, v2
	v_fma_f32 v23, v1, s38, -v3
	v_rndne_f32_e32 v57, v3
	v_fmac_f32_e32 v5, 0x32a5705f, v56
	v_sub_f32_e32 v2, v2, v22
	v_fmac_f32_e32 v23, 0x32a5705f, v1
	v_sub_f32_e32 v3, v3, v57
	v_sub_f32_e32 v55, v55, v0
	v_add_f32_e32 v61, v2, v5
	v_add_f32_e32 v23, v3, v23
	v_mul_f32_e32 v4, 0x3fb8aa3b, v55
	v_cvt_i32_f32_e32 v22, v22
	v_cvt_i32_f32_e32 v57, v57
	v_exp_f32_e32 v61, v61
	v_exp_f32_e32 v23, v23
	v_fma_f32 v58, v55, s38, -v4
	v_rndne_f32_e32 v60, v4
	v_fmac_f32_e32 v58, 0x32a5705f, v55
	v_sub_f32_e32 v4, v4, v60
	v_add_f32_e32 v58, v4, v58
	global_load_dwordx4 v[2:5], v[20:21], off
	v_ldexp_f32 v61, v61, v22
	v_ldexp_f32 v57, v23, v57
	global_load_dwordx4 v[20:23], v[20:21], off offset:512
	v_cvt_i32_f32_e32 v60, v60
	v_exp_f32_e32 v58, v58
	v_cmp_ngt_f32_e64 s[6:7], s39, v56
	v_cmp_ngt_f32_e32 vcc, s39, v1
	v_cmp_ngt_f32_e64 s[4:5], s39, v55
	v_ldexp_f32 v58, v58, v60
	v_cndmask_b32_e64 v60, 0, v61, s[6:7]
	v_cmp_nlt_f32_e64 s[6:7], s40, v56
	v_cndmask_b32_e32 v57, 0, v57, vcc
	v_cmp_nlt_f32_e32 vcc, s40, v1
	v_cndmask_b32_e64 v1, 0, v58, s[4:5]
	v_cmp_nlt_f32_e64 s[4:5], s40, v55
	v_cndmask_b32_e64 v55, v43, v60, s[6:7]
	v_cndmask_b32_e32 v56, v43, v57, vcc
	v_cvt_f16_f32_e32 v57, v55
	v_cvt_f16_f32_e32 v58, v56
	v_cndmask_b32_e64 v1, v43, v1, s[4:5]
	v_cvt_f16_f32_e32 v60, v1
	ds_write_b16 v40, v57
	ds_write_b16 v40, v58 offset:64
	s_waitcnt vmcnt(1)
	ds_write_b128 v41, v[2:5]
	s_waitcnt vmcnt(0)
	ds_write_b128 v42, v[20:23]
	s_waitcnt lgkmcnt(0)
	s_barrier
	ds_read_b128 v[2:5], v39
	ds_read2_b64 v[20:23], v28 offset1:32
	v_mul_u32_u24_e32 v57, 0x10001, v60
	v_pk_mul_f16 v54, v54, v57
	v_pk_mul_f16 v51, v51, v57
	s_waitcnt lgkmcnt(1)
	v_mul_u32_u24_sdwa v58, v2, s41 dst_sel:DWORD dst_unused:UNUSED_PAD src0_sel:WORD_0 src1_sel:DWORD
	s_waitcnt lgkmcnt(0)
	v_pk_mul_f16 v60, v20, v58
	v_pk_mul_f16 v61, v21, v58
	v_pk_fma_f16 v54, v22, v58, v54
	v_pk_fma_f16 v62, v23, v58, v51
	ds_read2_b64 v[20:23], v28 offset0:64 offset1:96
	v_pk_mul_f16 v50, v50, v57
	v_pk_mul_f16 v49, v49, v57
	;; [unrolled: 1-line block ×4, first 2 shown]
	s_waitcnt lgkmcnt(0)
	v_pk_fma_f16 v20, v20, v58, v50
	v_pk_fma_f16 v21, v21, v58, v49
	;; [unrolled: 1-line block ×3, first 2 shown]
	ds_read2_b64 v[48:51], v28 offset0:192 offset1:224
	v_pk_fma_f16 v47, v23, v58, v47
	v_mul_u32_u24_sdwa v2, v2, s41 dst_sel:DWORD dst_unused:UNUSED_PAD src0_sel:WORD_1 src1_sel:DWORD
	v_pk_fma_f16 v53, v53, v57, v60
	v_pk_fma_f16 v52, v52, v57, v61
	s_waitcnt lgkmcnt(0)
	v_pk_fma_f16 v20, v48, v2, v20
	v_pk_fma_f16 v21, v49, v2, v21
	;; [unrolled: 1-line block ×4, first 2 shown]
	ds_read2_b64 v[48:51], v28 offset0:128 offset1:160
	v_mul_u32_u24_sdwa v61, v5, s41 dst_sel:DWORD dst_unused:UNUSED_PAD src0_sel:WORD_1 src1_sel:DWORD
	v_lshl_add_u64 v[22:23], s[26:27], 2, v[18:19]
	s_waitcnt lgkmcnt(0)
	v_pk_fma_f16 v54, v50, v2, v54
	v_pk_fma_f16 v58, v51, v2, v62
	;; [unrolled: 1-line block ×4, first 2 shown]
	ds_read2_b64 v[48:51], v44 offset0:64 offset1:96
	v_mul_u32_u24_sdwa v52, v3, s41 dst_sel:DWORD dst_unused:UNUSED_PAD src0_sel:WORD_0 src1_sel:DWORD
	v_mul_u32_u24_sdwa v3, v3, s41 dst_sel:DWORD dst_unused:UNUSED_PAD src0_sel:WORD_1 src1_sel:DWORD
	s_waitcnt lgkmcnt(0)
	v_pk_fma_f16 v20, v48, v52, v20
	v_pk_fma_f16 v21, v49, v52, v21
	;; [unrolled: 1-line block ×4, first 2 shown]
	ds_read2_b64 v[48:51], v44 offset1:32
	s_waitcnt lgkmcnt(0)
	v_pk_fma_f16 v54, v50, v52, v54
	v_pk_fma_f16 v58, v51, v52, v58
	v_pk_fma_f16 v53, v48, v52, v53
	v_pk_fma_f16 v2, v49, v52, v2
	ds_read2_b64 v[48:51], v44 offset0:192 offset1:224
	s_waitcnt lgkmcnt(0)
	v_pk_fma_f16 v20, v48, v3, v20
	v_pk_fma_f16 v21, v49, v3, v21
	v_pk_fma_f16 v52, v50, v3, v57
	v_pk_fma_f16 v47, v51, v3, v47
	ds_read2_b64 v[48:51], v44 offset0:128 offset1:160
	;; [unrolled: 6-line block ×3, first 2 shown]
	v_mul_u32_u24_sdwa v3, v4, s41 dst_sel:DWORD dst_unused:UNUSED_PAD src0_sel:WORD_0 src1_sel:DWORD
	s_waitcnt lgkmcnt(0)
	v_pk_fma_f16 v20, v48, v3, v20
	v_pk_fma_f16 v21, v49, v3, v21
	;; [unrolled: 1-line block ×4, first 2 shown]
	ds_read2_b64 v[48:51], v45 offset1:32
	s_waitcnt lgkmcnt(0)
	v_pk_fma_f16 v54, v50, v3, v54
	v_pk_fma_f16 v57, v51, v3, v57
	;; [unrolled: 1-line block ×4, first 2 shown]
	ds_read2_b64 v[48:51], v45 offset0:192 offset1:224
	v_mul_u32_u24_sdwa v3, v4, s41 dst_sel:DWORD dst_unused:UNUSED_PAD src0_sel:WORD_1 src1_sel:DWORD
	s_waitcnt lgkmcnt(0)
	v_pk_fma_f16 v4, v48, v3, v20
	v_pk_fma_f16 v20, v49, v3, v21
	;; [unrolled: 1-line block ×4, first 2 shown]
	ds_read2_b64 v[48:51], v45 offset0:128 offset1:160
	s_waitcnt lgkmcnt(0)
	v_pk_fma_f16 v52, v50, v3, v54
	v_pk_fma_f16 v54, v51, v3, v57
	;; [unrolled: 1-line block ×4, first 2 shown]
	ds_read2_b64 v[48:51], v46 offset0:64 offset1:96
	v_mul_u32_u24_sdwa v3, v5, s41 dst_sel:DWORD dst_unused:UNUSED_PAD src0_sel:WORD_0 src1_sel:DWORD
	s_waitcnt lgkmcnt(0)
	v_pk_fma_f16 v4, v48, v3, v4
	v_pk_fma_f16 v57, v49, v3, v20
	;; [unrolled: 1-line block ×4, first 2 shown]
	ds_read2_b64 v[48:51], v46 offset1:32
	v_lshl_add_u64 v[20:21], s[24:25], 2, v[18:19]
	s_waitcnt lgkmcnt(0)
	v_pk_fma_f16 v52, v50, v3, v52
	v_pk_fma_f16 v54, v51, v3, v54
	;; [unrolled: 1-line block ×4, first 2 shown]
	ds_read2_b64 v[48:51], v46 offset0:192 offset1:224
	s_waitcnt lgkmcnt(0)
	v_pk_fma_f16 v62, v48, v61, v4
	ds_read2_b64 v[2:5], v46 offset0:128 offset1:160
	v_pk_fma_f16 v57, v49, v61, v57
	v_pk_fma_f16 v58, v50, v61, v58
	;; [unrolled: 1-line block ×3, first 2 shown]
	s_waitcnt lgkmcnt(0)
	s_barrier
	v_pk_fma_f16 v52, v4, v61, v52
	v_pk_fma_f16 v54, v5, v61, v54
	;; [unrolled: 1-line block ×4, first 2 shown]
	global_load_dwordx4 v[2:5], v[6:7], off
	global_load_dwordx4 v[48:51], v[6:7], off offset:512
	s_waitcnt vmcnt(1)
	ds_write_b128 v41, v[2:5]
	s_waitcnt vmcnt(0)
	ds_write_b128 v42, v[48:51]
	s_waitcnt lgkmcnt(0)
	s_barrier
	ds_read_b128 v[48:51], v39 offset:16
	ds_read2_b64 v[2:5], v28 offset1:32
	s_waitcnt lgkmcnt(1)
	v_mul_u32_u24_sdwa v6, v48, s41 dst_sel:DWORD dst_unused:UNUSED_PAD src0_sel:WORD_0 src1_sel:DWORD
	s_waitcnt lgkmcnt(0)
	v_pk_fma_f16 v7, v2, v6, v53
	v_pk_fma_f16 v53, v3, v6, v60
	;; [unrolled: 1-line block ×4, first 2 shown]
	ds_read2_b64 v[2:5], v28 offset0:64 offset1:96
	s_waitcnt lgkmcnt(0)
	v_pk_fma_f16 v60, v2, v6, v62
	v_pk_fma_f16 v57, v3, v6, v57
	;; [unrolled: 1-line block ×4, first 2 shown]
	ds_read2_b64 v[2:5], v28 offset0:128 offset1:160
	v_mul_u32_u24_sdwa v47, v48, s41 dst_sel:DWORD dst_unused:UNUSED_PAD src0_sel:WORD_1 src1_sel:DWORD
	s_waitcnt lgkmcnt(0)
	v_pk_fma_f16 v7, v2, v47, v7
	v_pk_fma_f16 v48, v3, v47, v53
	v_pk_fma_f16 v52, v4, v47, v52
	v_pk_fma_f16 v53, v5, v47, v54
	ds_read2_b64 v[2:5], v28 offset0:192 offset1:224
	s_waitcnt lgkmcnt(0)
	v_pk_fma_f16 v54, v2, v47, v60
	v_pk_fma_f16 v57, v3, v47, v57
	;; [unrolled: 1-line block ×4, first 2 shown]
	ds_read2_b64 v[2:5], v44 offset1:32
	v_mul_u32_u24_sdwa v47, v49, s41 dst_sel:DWORD dst_unused:UNUSED_PAD src0_sel:WORD_0 src1_sel:DWORD
	s_waitcnt lgkmcnt(0)
	v_pk_fma_f16 v7, v2, v47, v7
	v_pk_fma_f16 v48, v3, v47, v48
	;; [unrolled: 1-line block ×4, first 2 shown]
	ds_read2_b64 v[2:5], v44 offset0:64 offset1:96
	s_waitcnt lgkmcnt(0)
	v_pk_fma_f16 v54, v2, v47, v54
	v_pk_fma_f16 v57, v3, v47, v57
	;; [unrolled: 1-line block ×4, first 2 shown]
	ds_read2_b64 v[2:5], v44 offset0:128 offset1:160
	v_mul_u32_u24_sdwa v47, v49, s41 dst_sel:DWORD dst_unused:UNUSED_PAD src0_sel:WORD_1 src1_sel:DWORD
	s_waitcnt lgkmcnt(0)
	v_pk_fma_f16 v7, v2, v47, v7
	v_pk_fma_f16 v48, v3, v47, v48
	;; [unrolled: 1-line block ×4, first 2 shown]
	ds_read2_b64 v[2:5], v44 offset0:192 offset1:224
	s_waitcnt lgkmcnt(0)
	v_pk_fma_f16 v53, v2, v47, v54
	v_pk_fma_f16 v54, v3, v47, v57
	;; [unrolled: 1-line block ×4, first 2 shown]
	ds_read2_b64 v[2:5], v45 offset1:32
	v_mul_u32_u24_sdwa v47, v50, s41 dst_sel:DWORD dst_unused:UNUSED_PAD src0_sel:WORD_0 src1_sel:DWORD
	v_add_f32_e32 v58, v55, v56
	v_fmac_f32_e32 v58, v59, v1
	v_mul_u32_u24_sdwa v1, v50, s41 dst_sel:DWORD dst_unused:UNUSED_PAD src0_sel:WORD_1 src1_sel:DWORD
	s_waitcnt lgkmcnt(0)
	v_pk_fma_f16 v61, v3, v47, v48
	v_pk_fma_f16 v62, v4, v47, v49
	v_mul_u32_u24_sdwa v55, v51, s41 dst_sel:DWORD dst_unused:UNUSED_PAD src0_sel:WORD_0 src1_sel:DWORD
	v_mul_u32_u24_sdwa v56, v51, s41 dst_sel:DWORD dst_unused:UNUSED_PAD src0_sel:WORD_1 src1_sel:DWORD
	ds_read2_b64 v[48:51], v45 offset0:128 offset1:160
	v_pk_fma_f16 v60, v2, v47, v7
	v_pk_fma_f16 v52, v5, v47, v52
	ds_read2_b64 v[2:5], v45 offset0:64 offset1:96
	s_waitcnt lgkmcnt(1)
	v_pk_fma_f16 v59, v48, v1, v60
	v_pk_fma_f16 v60, v49, v1, v61
	;; [unrolled: 1-line block ×4, first 2 shown]
	ds_read2_b64 v[48:51], v45 offset0:192 offset1:224
	s_waitcnt lgkmcnt(1)
	v_pk_fma_f16 v53, v2, v47, v53
	v_pk_fma_f16 v54, v3, v47, v54
	v_pk_fma_f16 v57, v4, v47, v57
	v_pk_fma_f16 v47, v5, v47, v6
	s_waitcnt lgkmcnt(0)
	v_pk_fma_f16 v53, v48, v1, v53
	v_pk_fma_f16 v54, v49, v1, v54
	;; [unrolled: 1-line block ×4, first 2 shown]
	ds_read2_b64 v[48:51], v46 offset1:32
	v_lshl_add_u64 v[6:7], s[10:11], 2, v[18:19]
	v_lshl_add_u64 v[4:5], s[20:21], 2, v[18:19]
	;; [unrolled: 1-line block ×3, first 2 shown]
	s_waitcnt lgkmcnt(0)
	v_pk_fma_f16 v47, v48, v55, v59
	v_pk_fma_f16 v59, v49, v55, v60
	v_pk_fma_f16 v60, v50, v55, v61
	v_pk_fma_f16 v52, v51, v55, v52
	ds_read2_b64 v[48:51], v46 offset0:64 offset1:96
	s_waitcnt lgkmcnt(0)
	v_pk_fma_f16 v53, v48, v55, v53
	v_pk_fma_f16 v54, v49, v55, v54
	v_pk_fma_f16 v57, v50, v55, v57
	v_pk_fma_f16 v1, v51, v55, v1
	ds_read2_b64 v[48:51], v46 offset0:128 offset1:160
	;; [unrolled: 6-line block ×3, first 2 shown]
	s_waitcnt lgkmcnt(0)
	s_barrier
	v_pk_fma_f16 v62, v48, v56, v53
	v_pk_fma_f16 v63, v49, v56, v54
	;; [unrolled: 1-line block ×4, first 2 shown]
	global_load_dwordx4 v[48:51], v[24:25], off
	global_load_dwordx4 v[52:55], v[24:25], off offset:512
	s_waitcnt vmcnt(1)
	ds_write_b128 v41, v[48:51]
	s_waitcnt vmcnt(0)
	ds_write_b128 v42, v[52:55]
	s_waitcnt lgkmcnt(0)
	s_barrier
	ds_read_b128 v[48:51], v39 offset:32
	ds_read2_b64 v[52:55], v28 offset1:32
	s_waitcnt lgkmcnt(1)
	v_mul_u32_u24_sdwa v24, v48, s41 dst_sel:DWORD dst_unused:UNUSED_PAD src0_sel:WORD_0 src1_sel:DWORD
	s_waitcnt lgkmcnt(0)
	v_pk_fma_f16 v25, v52, v24, v47
	v_pk_fma_f16 v47, v53, v24, v59
	v_pk_fma_f16 v56, v54, v24, v60
	v_pk_fma_f16 v59, v55, v24, v61
	ds_read2_b64 v[52:55], v28 offset0:64 offset1:96
	s_waitcnt lgkmcnt(0)
	v_pk_fma_f16 v60, v52, v24, v62
	v_pk_fma_f16 v61, v53, v24, v63
	v_pk_fma_f16 v57, v54, v24, v57
	v_pk_fma_f16 v1, v55, v24, v1
	ds_read2_b64 v[52:55], v28 offset0:128 offset1:160
	v_mul_u32_u24_sdwa v24, v48, s41 dst_sel:DWORD dst_unused:UNUSED_PAD src0_sel:WORD_1 src1_sel:DWORD
	s_waitcnt lgkmcnt(0)
	v_pk_fma_f16 v25, v52, v24, v25
	v_pk_fma_f16 v47, v53, v24, v47
	v_pk_fma_f16 v48, v54, v24, v56
	v_pk_fma_f16 v56, v55, v24, v59
	ds_read2_b64 v[52:55], v28 offset0:192 offset1:224
	s_waitcnt lgkmcnt(0)
	v_pk_fma_f16 v59, v52, v24, v60
	v_pk_fma_f16 v60, v53, v24, v61
	v_pk_fma_f16 v57, v54, v24, v57
	v_pk_fma_f16 v1, v55, v24, v1
	ds_read2_b64 v[52:55], v44 offset1:32
	v_mul_u32_u24_sdwa v24, v49, s41 dst_sel:DWORD dst_unused:UNUSED_PAD src0_sel:WORD_0 src1_sel:DWORD
	s_waitcnt lgkmcnt(0)
	v_pk_fma_f16 v25, v52, v24, v25
	v_pk_fma_f16 v47, v53, v24, v47
	v_pk_fma_f16 v48, v54, v24, v48
	v_pk_fma_f16 v56, v55, v24, v56
	ds_read2_b64 v[52:55], v44 offset0:64 offset1:96
	s_waitcnt lgkmcnt(0)
	v_pk_fma_f16 v59, v52, v24, v59
	v_pk_fma_f16 v60, v53, v24, v60
	v_pk_fma_f16 v57, v54, v24, v57
	v_pk_fma_f16 v1, v55, v24, v1
	ds_read2_b64 v[52:55], v44 offset0:128 offset1:160
	v_mul_u32_u24_sdwa v24, v49, s41 dst_sel:DWORD dst_unused:UNUSED_PAD src0_sel:WORD_1 src1_sel:DWORD
	s_waitcnt lgkmcnt(0)
	v_pk_fma_f16 v25, v52, v24, v25
	v_pk_fma_f16 v47, v53, v24, v47
	v_pk_fma_f16 v48, v54, v24, v48
	v_pk_fma_f16 v49, v55, v24, v56
	ds_read2_b64 v[52:55], v44 offset0:192 offset1:224
	s_waitcnt lgkmcnt(0)
	v_pk_fma_f16 v56, v52, v24, v59
	v_pk_fma_f16 v59, v53, v24, v60
	v_pk_fma_f16 v57, v54, v24, v57
	v_pk_fma_f16 v1, v55, v24, v1
	ds_read2_b64 v[52:55], v45 offset1:32
	;; [unrolled: 26-line block ×3, first 2 shown]
	v_mul_u32_u24_sdwa v24, v51, s41 dst_sel:DWORD dst_unused:UNUSED_PAD src0_sel:WORD_0 src1_sel:DWORD
	s_waitcnt lgkmcnt(0)
	v_pk_fma_f16 v25, v52, v24, v25
	v_pk_fma_f16 v47, v53, v24, v47
	;; [unrolled: 1-line block ×4, first 2 shown]
	ds_read2_b64 v[52:55], v46 offset0:64 offset1:96
	s_waitcnt lgkmcnt(0)
	v_pk_fma_f16 v61, v52, v24, v50
	v_pk_fma_f16 v56, v53, v24, v56
	;; [unrolled: 1-line block ×4, first 2 shown]
	ds_read2_b64 v[52:55], v46 offset0:128 offset1:160
	v_mul_u32_u24_sdwa v24, v51, s41 dst_sel:DWORD dst_unused:UNUSED_PAD src0_sel:WORD_1 src1_sel:DWORD
	ds_read2_b64 v[48:51], v46 offset0:192 offset1:224
	s_waitcnt lgkmcnt(0)
	s_barrier
	v_pk_fma_f16 v62, v52, v24, v25
	v_pk_fma_f16 v47, v53, v24, v47
	;; [unrolled: 1-line block ×4, first 2 shown]
	global_load_dwordx4 v[52:55], v[22:23], off
	v_pk_fma_f16 v61, v48, v24, v61
	v_pk_fma_f16 v56, v49, v24, v56
	;; [unrolled: 1-line block ×4, first 2 shown]
	global_load_dwordx4 v[22:25], v[22:23], off offset:512
	s_waitcnt vmcnt(1)
	ds_write_b128 v41, v[52:55]
	s_waitcnt vmcnt(0)
	ds_write_b128 v42, v[22:25]
	s_waitcnt lgkmcnt(0)
	s_barrier
	ds_read_b128 v[22:25], v39 offset:48
	ds_read2_b64 v[48:51], v28 offset1:32
	s_waitcnt lgkmcnt(1)
	v_mul_u32_u24_sdwa v52, v22, s41 dst_sel:DWORD dst_unused:UNUSED_PAD src0_sel:WORD_0 src1_sel:DWORD
	s_waitcnt lgkmcnt(0)
	v_pk_fma_f16 v53, v48, v52, v62
	v_pk_fma_f16 v47, v49, v52, v47
	;; [unrolled: 1-line block ×4, first 2 shown]
	ds_read2_b64 v[48:51], v28 offset0:64 offset1:96
	v_mul_u32_u24_sdwa v22, v22, s41 dst_sel:DWORD dst_unused:UNUSED_PAD src0_sel:WORD_1 src1_sel:DWORD
	v_mul_u32_u24_sdwa v60, v25, s41 dst_sel:DWORD dst_unused:UNUSED_PAD src0_sel:WORD_0 src1_sel:DWORD
	s_waitcnt lgkmcnt(0)
	v_pk_fma_f16 v59, v48, v52, v61
	v_pk_fma_f16 v56, v49, v52, v56
	;; [unrolled: 1-line block ×4, first 2 shown]
	ds_read2_b64 v[48:51], v28 offset0:128 offset1:160
	v_mul_u32_u24_sdwa v61, v25, s41 dst_sel:DWORD dst_unused:UNUSED_PAD src0_sel:WORD_1 src1_sel:DWORD
	s_waitcnt lgkmcnt(0)
	v_pk_fma_f16 v52, v48, v22, v53
	v_pk_fma_f16 v47, v49, v22, v47
	;; [unrolled: 1-line block ×4, first 2 shown]
	ds_read2_b64 v[48:51], v28 offset0:192 offset1:224
	s_waitcnt lgkmcnt(0)
	v_pk_fma_f16 v55, v48, v22, v59
	v_pk_fma_f16 v56, v49, v22, v56
	;; [unrolled: 1-line block ×4, first 2 shown]
	ds_read2_b64 v[48:51], v44 offset1:32
	v_mul_u32_u24_sdwa v22, v23, s41 dst_sel:DWORD dst_unused:UNUSED_PAD src0_sel:WORD_0 src1_sel:DWORD
	v_mul_u32_u24_sdwa v59, v24, s41 dst_sel:DWORD dst_unused:UNUSED_PAD src0_sel:WORD_1 src1_sel:DWORD
	s_waitcnt lgkmcnt(0)
	v_pk_fma_f16 v52, v48, v22, v52
	v_pk_fma_f16 v47, v49, v22, v47
	;; [unrolled: 1-line block ×4, first 2 shown]
	ds_read2_b64 v[48:51], v44 offset0:64 offset1:96
	s_waitcnt lgkmcnt(0)
	v_pk_fma_f16 v55, v48, v22, v55
	v_pk_fma_f16 v56, v49, v22, v56
	;; [unrolled: 1-line block ×4, first 2 shown]
	ds_read2_b64 v[48:51], v44 offset0:128 offset1:160
	v_mul_u32_u24_sdwa v22, v23, s41 dst_sel:DWORD dst_unused:UNUSED_PAD src0_sel:WORD_1 src1_sel:DWORD
	s_waitcnt lgkmcnt(0)
	v_pk_fma_f16 v23, v48, v22, v52
	v_pk_fma_f16 v47, v49, v22, v47
	;; [unrolled: 1-line block ×4, first 2 shown]
	ds_read2_b64 v[48:51], v44 offset0:192 offset1:224
	s_waitcnt lgkmcnt(0)
	v_pk_fma_f16 v54, v48, v22, v55
	v_pk_fma_f16 v55, v49, v22, v56
	;; [unrolled: 1-line block ×4, first 2 shown]
	ds_read2_b64 v[48:51], v45 offset1:32
	v_mul_u32_u24_sdwa v22, v24, s41 dst_sel:DWORD dst_unused:UNUSED_PAD src0_sel:WORD_0 src1_sel:DWORD
	s_waitcnt lgkmcnt(0)
	v_pk_fma_f16 v57, v48, v22, v23
	v_pk_fma_f16 v47, v49, v22, v47
	;; [unrolled: 1-line block ×4, first 2 shown]
	ds_read2_b64 v[48:51], v45 offset0:64 offset1:96
	s_waitcnt lgkmcnt(0)
	v_pk_fma_f16 v54, v48, v22, v54
	v_pk_fma_f16 v55, v49, v22, v55
	;; [unrolled: 1-line block ×4, first 2 shown]
	ds_read2_b64 v[48:51], v45 offset0:128 offset1:160
	ds_read2_b64 v[22:25], v45 offset0:192 offset1:224
	s_waitcnt lgkmcnt(1)
	v_pk_fma_f16 v57, v48, v59, v57
	v_pk_fma_f16 v47, v49, v59, v47
	;; [unrolled: 1-line block ×4, first 2 shown]
	ds_read2_b64 v[48:51], v46 offset1:32
	s_waitcnt lgkmcnt(1)
	v_pk_fma_f16 v54, v22, v59, v54
	v_pk_fma_f16 v55, v23, v59, v55
	v_pk_fma_f16 v56, v24, v59, v56
	v_pk_fma_f16 v1, v25, v59, v1
	ds_read2_b64 v[22:25], v46 offset0:64 offset1:96
	s_waitcnt lgkmcnt(1)
	v_pk_fma_f16 v57, v48, v60, v57
	v_pk_fma_f16 v47, v49, v60, v47
	v_pk_fma_f16 v52, v50, v60, v52
	v_pk_fma_f16 v53, v51, v60, v53
	ds_read2_b64 v[48:51], v46 offset0:128 offset1:160
	;; [unrolled: 6-line block ×3, first 2 shown]
	s_waitcnt lgkmcnt(0)
	s_barrier
	v_pk_fma_f16 v57, v48, v61, v57
	v_pk_fma_f16 v47, v49, v61, v47
	;; [unrolled: 1-line block ×4, first 2 shown]
	global_load_dwordx4 v[48:51], v[20:21], off
	global_load_dwordx4 v[52:55], v[20:21], off offset:512
	v_pk_fma_f16 v59, v22, v61, v59
	v_pk_fma_f16 v62, v23, v61, v62
	s_waitcnt vmcnt(1)
	ds_write_b128 v41, v[48:51]
	s_waitcnt vmcnt(0)
	ds_write_b128 v42, v[52:55]
	s_waitcnt lgkmcnt(0)
	s_barrier
	ds_read_b128 v[20:23], v39 offset:64
	ds_read2_b64 v[48:51], v28 offset1:32
	ds_read2_b64 v[52:55], v28 offset0:64 offset1:96
	v_pk_fma_f16 v1, v25, v61, v1
	v_pk_fma_f16 v24, v24, v61, v56
	s_waitcnt lgkmcnt(2)
	v_mul_u32_u24_sdwa v25, v20, s41 dst_sel:DWORD dst_unused:UNUSED_PAD src0_sel:WORD_0 src1_sel:DWORD
	s_waitcnt lgkmcnt(1)
	v_pk_fma_f16 v56, v48, v25, v57
	v_pk_fma_f16 v47, v49, v25, v47
	v_pk_fma_f16 v57, v50, v25, v60
	v_pk_fma_f16 v60, v51, v25, v63
	ds_read2_b64 v[48:51], v28 offset0:128 offset1:160
	s_waitcnt lgkmcnt(1)
	v_pk_fma_f16 v59, v52, v25, v59
	v_pk_fma_f16 v61, v53, v25, v62
	v_pk_fma_f16 v24, v54, v25, v24
	v_pk_fma_f16 v1, v55, v25, v1
	ds_read2_b64 v[52:55], v28 offset0:192 offset1:224
	v_mul_u32_u24_sdwa v20, v20, s41 dst_sel:DWORD dst_unused:UNUSED_PAD src0_sel:WORD_1 src1_sel:DWORD
	s_waitcnt lgkmcnt(1)
	v_pk_fma_f16 v25, v48, v20, v56
	v_pk_fma_f16 v47, v49, v20, v47
	v_pk_fma_f16 v56, v50, v20, v57
	v_pk_fma_f16 v57, v51, v20, v60
	ds_read2_b64 v[48:51], v44 offset1:32
	s_waitcnt lgkmcnt(1)
	v_pk_fma_f16 v59, v52, v20, v59
	v_pk_fma_f16 v60, v53, v20, v61
	v_pk_fma_f16 v24, v54, v20, v24
	v_pk_fma_f16 v1, v55, v20, v1
	ds_read2_b64 v[52:55], v44 offset0:64 offset1:96
	v_mul_u32_u24_sdwa v20, v21, s41 dst_sel:DWORD dst_unused:UNUSED_PAD src0_sel:WORD_0 src1_sel:DWORD
	s_waitcnt lgkmcnt(1)
	v_pk_fma_f16 v25, v48, v20, v25
	v_pk_fma_f16 v47, v49, v20, v47
	v_pk_fma_f16 v56, v50, v20, v56
	v_pk_fma_f16 v57, v51, v20, v57
	ds_read2_b64 v[48:51], v44 offset0:128 offset1:160
	s_waitcnt lgkmcnt(1)
	v_pk_fma_f16 v59, v52, v20, v59
	v_pk_fma_f16 v60, v53, v20, v60
	v_pk_fma_f16 v24, v54, v20, v24
	v_pk_fma_f16 v1, v55, v20, v1
	ds_read2_b64 v[52:55], v44 offset0:192 offset1:224
	v_mul_u32_u24_sdwa v20, v21, s41 dst_sel:DWORD dst_unused:UNUSED_PAD src0_sel:WORD_1 src1_sel:DWORD
	s_waitcnt lgkmcnt(1)
	v_pk_fma_f16 v21, v48, v20, v25
	v_pk_fma_f16 v25, v49, v20, v47
	v_pk_fma_f16 v47, v50, v20, v56
	v_pk_fma_f16 v56, v51, v20, v57
	ds_read2_b64 v[48:51], v45 offset1:32
	s_waitcnt lgkmcnt(1)
	v_pk_fma_f16 v57, v52, v20, v59
	v_pk_fma_f16 v59, v53, v20, v60
	v_pk_fma_f16 v24, v54, v20, v24
	v_pk_fma_f16 v1, v55, v20, v1
	ds_read2_b64 v[52:55], v45 offset0:64 offset1:96
	;; [unrolled: 26-line block ×3, first 2 shown]
	v_mul_u32_u24_sdwa v20, v23, s41 dst_sel:DWORD dst_unused:UNUSED_PAD src0_sel:WORD_0 src1_sel:DWORD
	s_waitcnt lgkmcnt(1)
	v_pk_fma_f16 v59, v48, v20, v21
	v_pk_fma_f16 v60, v49, v20, v22
	;; [unrolled: 1-line block ×4, first 2 shown]
	ds_read2_b64 v[48:51], v46 offset0:128 offset1:160
	s_waitcnt lgkmcnt(1)
	v_pk_fma_f16 v56, v52, v20, v56
	v_pk_fma_f16 v57, v53, v20, v57
	;; [unrolled: 1-line block ×4, first 2 shown]
	ds_read2_b64 v[52:55], v46 offset0:192 offset1:224
	s_waitcnt lgkmcnt(0)
	s_barrier
	v_mul_u32_u24_sdwa v61, v23, s41 dst_sel:DWORD dst_unused:UNUSED_PAD src0_sel:WORD_1 src1_sel:DWORD
	global_load_dwordx4 v[20:23], v[6:7], off
	v_pk_fma_f16 v59, v48, v61, v59
	v_pk_fma_f16 v60, v49, v61, v60
	;; [unrolled: 1-line block ×4, first 2 shown]
	global_load_dwordx4 v[48:51], v[6:7], off offset:512
	v_pk_fma_f16 v6, v52, v61, v56
	v_pk_fma_f16 v7, v53, v61, v57
	;; [unrolled: 1-line block ×4, first 2 shown]
	s_waitcnt vmcnt(1)
	ds_write_b128 v41, v[20:23]
	s_waitcnt vmcnt(0)
	ds_write_b128 v42, v[48:51]
	s_waitcnt lgkmcnt(0)
	s_barrier
	ds_read_b128 v[20:23], v39 offset:80
	ds_read2_b64 v[48:51], v28 offset1:32
	ds_read2_b64 v[52:55], v28 offset0:64 offset1:96
	s_waitcnt lgkmcnt(2)
	v_mul_u32_u24_sdwa v56, v20, s41 dst_sel:DWORD dst_unused:UNUSED_PAD src0_sel:WORD_0 src1_sel:DWORD
	s_waitcnt lgkmcnt(1)
	v_pk_fma_f16 v57, v48, v56, v59
	v_pk_fma_f16 v59, v49, v56, v60
	;; [unrolled: 1-line block ×4, first 2 shown]
	ds_read2_b64 v[48:51], v28 offset0:128 offset1:160
	s_waitcnt lgkmcnt(1)
	v_pk_fma_f16 v6, v52, v56, v6
	v_pk_fma_f16 v7, v53, v56, v7
	;; [unrolled: 1-line block ×4, first 2 shown]
	ds_read2_b64 v[52:55], v28 offset0:192 offset1:224
	v_mul_u32_u24_sdwa v20, v20, s41 dst_sel:DWORD dst_unused:UNUSED_PAD src0_sel:WORD_1 src1_sel:DWORD
	s_waitcnt lgkmcnt(1)
	v_pk_fma_f16 v56, v48, v20, v57
	v_pk_fma_f16 v57, v49, v20, v59
	;; [unrolled: 1-line block ×4, first 2 shown]
	ds_read2_b64 v[48:51], v44 offset1:32
	s_waitcnt lgkmcnt(1)
	v_pk_fma_f16 v6, v52, v20, v6
	v_pk_fma_f16 v7, v53, v20, v7
	;; [unrolled: 1-line block ×4, first 2 shown]
	ds_read2_b64 v[52:55], v44 offset0:64 offset1:96
	v_mul_u32_u24_sdwa v20, v21, s41 dst_sel:DWORD dst_unused:UNUSED_PAD src0_sel:WORD_0 src1_sel:DWORD
	s_waitcnt lgkmcnt(1)
	v_pk_fma_f16 v56, v48, v20, v56
	v_pk_fma_f16 v57, v49, v20, v57
	;; [unrolled: 1-line block ×4, first 2 shown]
	ds_read2_b64 v[48:51], v44 offset0:128 offset1:160
	s_waitcnt lgkmcnt(1)
	v_pk_fma_f16 v6, v52, v20, v6
	v_pk_fma_f16 v7, v53, v20, v7
	;; [unrolled: 1-line block ×4, first 2 shown]
	ds_read2_b64 v[52:55], v44 offset0:192 offset1:224
	v_mul_u32_u24_sdwa v20, v21, s41 dst_sel:DWORD dst_unused:UNUSED_PAD src0_sel:WORD_1 src1_sel:DWORD
	s_waitcnt lgkmcnt(1)
	v_pk_fma_f16 v21, v48, v20, v56
	v_pk_fma_f16 v56, v49, v20, v57
	;; [unrolled: 1-line block ×4, first 2 shown]
	ds_read2_b64 v[48:51], v45 offset1:32
	s_waitcnt lgkmcnt(1)
	v_pk_fma_f16 v6, v52, v20, v6
	v_pk_fma_f16 v7, v53, v20, v7
	;; [unrolled: 1-line block ×4, first 2 shown]
	ds_read2_b64 v[52:55], v45 offset0:64 offset1:96
	v_mul_u32_u24_sdwa v20, v22, s41 dst_sel:DWORD dst_unused:UNUSED_PAD src0_sel:WORD_0 src1_sel:DWORD
	s_waitcnt lgkmcnt(1)
	v_pk_fma_f16 v57, v48, v20, v21
	v_pk_fma_f16 v56, v49, v20, v56
	;; [unrolled: 1-line block ×4, first 2 shown]
	ds_read2_b64 v[48:51], v45 offset0:128 offset1:160
	s_waitcnt lgkmcnt(1)
	v_pk_fma_f16 v6, v52, v20, v6
	v_pk_fma_f16 v7, v53, v20, v7
	;; [unrolled: 1-line block ×4, first 2 shown]
	ds_read2_b64 v[52:55], v45 offset0:192 offset1:224
	v_mul_u32_u24_sdwa v59, v22, s41 dst_sel:DWORD dst_unused:UNUSED_PAD src0_sel:WORD_1 src1_sel:DWORD
	v_mul_u32_u24_sdwa v60, v23, s41 dst_sel:DWORD dst_unused:UNUSED_PAD src0_sel:WORD_0 src1_sel:DWORD
	v_mul_u32_u24_sdwa v64, v23, s41 dst_sel:DWORD dst_unused:UNUSED_PAD src0_sel:WORD_1 src1_sel:DWORD
	ds_read2_b64 v[20:23], v46 offset1:32
	s_waitcnt lgkmcnt(2)
	v_pk_fma_f16 v57, v48, v59, v57
	v_pk_fma_f16 v56, v49, v59, v56
	v_pk_fma_f16 v25, v50, v59, v25
	v_pk_fma_f16 v47, v51, v59, v47
	ds_read2_b64 v[48:51], v46 offset0:64 offset1:96
	s_waitcnt lgkmcnt(2)
	v_pk_fma_f16 v6, v52, v59, v6
	v_pk_fma_f16 v7, v53, v59, v7
	v_pk_fma_f16 v24, v54, v59, v24
	v_pk_fma_f16 v1, v55, v59, v1
	ds_read2_b64 v[52:55], v46 offset0:128 offset1:160
	s_waitcnt lgkmcnt(2)
	v_pk_fma_f16 v57, v20, v60, v57
	v_pk_fma_f16 v56, v21, v60, v56
	v_pk_fma_f16 v25, v22, v60, v25
	v_pk_fma_f16 v47, v23, v60, v47
	ds_read2_b64 v[20:23], v46 offset0:192 offset1:224
	s_waitcnt lgkmcnt(0)
	s_barrier
	v_pk_fma_f16 v6, v48, v60, v6
	v_pk_fma_f16 v7, v49, v60, v7
	;; [unrolled: 1-line block ×4, first 2 shown]
	global_load_dwordx4 v[48:51], v[4:5], off
	global_load_dwordx4 v[60:63], v[4:5], off offset:512
	v_pk_fma_f16 v57, v52, v64, v57
	v_pk_fma_f16 v56, v53, v64, v56
	;; [unrolled: 1-line block ×8, first 2 shown]
	s_waitcnt vmcnt(1)
	ds_write_b128 v41, v[48:51]
	s_waitcnt vmcnt(0)
	ds_write_b128 v42, v[60:63]
	s_waitcnt lgkmcnt(0)
	s_barrier
	ds_read_b128 v[4:7], v39 offset:96
	ds_read2_b64 v[20:23], v28 offset1:32
	ds_read2_b64 v[48:51], v28 offset0:64 offset1:96
	ds_read2_b64 v[52:55], v28 offset0:128 offset1:160
	s_waitcnt lgkmcnt(3)
	v_mul_u32_u24_sdwa v60, v4, s41 dst_sel:DWORD dst_unused:UNUSED_PAD src0_sel:WORD_0 src1_sel:DWORD
	s_waitcnt lgkmcnt(2)
	v_pk_fma_f16 v57, v20, v60, v57
	v_pk_fma_f16 v56, v21, v60, v56
	;; [unrolled: 1-line block ×4, first 2 shown]
	ds_read2_b64 v[20:23], v28 offset0:192 offset1:224
	s_waitcnt lgkmcnt(2)
	v_pk_fma_f16 v59, v48, v60, v59
	v_pk_fma_f16 v61, v49, v60, v65
	;; [unrolled: 1-line block ×4, first 2 shown]
	ds_read2_b64 v[48:51], v44 offset1:32
	v_mul_u32_u24_sdwa v4, v4, s41 dst_sel:DWORD dst_unused:UNUSED_PAD src0_sel:WORD_1 src1_sel:DWORD
	s_waitcnt lgkmcnt(2)
	v_pk_fma_f16 v57, v52, v4, v57
	v_pk_fma_f16 v56, v53, v4, v56
	;; [unrolled: 1-line block ×4, first 2 shown]
	ds_read2_b64 v[52:55], v44 offset0:64 offset1:96
	s_waitcnt lgkmcnt(2)
	v_pk_fma_f16 v59, v20, v4, v59
	v_pk_fma_f16 v60, v21, v4, v61
	;; [unrolled: 1-line block ×4, first 2 shown]
	ds_read2_b64 v[20:23], v44 offset0:128 offset1:160
	v_mul_u32_u24_sdwa v4, v5, s41 dst_sel:DWORD dst_unused:UNUSED_PAD src0_sel:WORD_0 src1_sel:DWORD
	s_waitcnt lgkmcnt(2)
	v_pk_fma_f16 v57, v48, v4, v57
	v_pk_fma_f16 v56, v49, v4, v56
	;; [unrolled: 1-line block ×4, first 2 shown]
	ds_read2_b64 v[48:51], v44 offset0:192 offset1:224
	s_waitcnt lgkmcnt(2)
	v_pk_fma_f16 v59, v52, v4, v59
	v_pk_fma_f16 v60, v53, v4, v60
	;; [unrolled: 1-line block ×4, first 2 shown]
	v_mul_u32_u24_sdwa v4, v5, s41 dst_sel:DWORD dst_unused:UNUSED_PAD src0_sel:WORD_1 src1_sel:DWORD
	ds_read2_b64 v[52:55], v45 offset1:32
	s_waitcnt lgkmcnt(2)
	v_pk_fma_f16 v5, v20, v4, v57
	v_pk_fma_f16 v56, v21, v4, v56
	;; [unrolled: 1-line block ×4, first 2 shown]
	ds_read2_b64 v[20:23], v45 offset0:64 offset1:96
	s_waitcnt lgkmcnt(2)
	v_pk_fma_f16 v57, v48, v4, v59
	v_pk_fma_f16 v59, v49, v4, v60
	;; [unrolled: 1-line block ×4, first 2 shown]
	ds_read2_b64 v[48:51], v45 offset0:128 offset1:160
	v_mul_u32_u24_sdwa v4, v6, s41 dst_sel:DWORD dst_unused:UNUSED_PAD src0_sel:WORD_0 src1_sel:DWORD
	s_waitcnt lgkmcnt(2)
	v_pk_fma_f16 v5, v52, v4, v5
	v_pk_fma_f16 v56, v53, v4, v56
	;; [unrolled: 1-line block ×4, first 2 shown]
	ds_read2_b64 v[52:55], v45 offset0:192 offset1:224
	s_waitcnt lgkmcnt(2)
	v_pk_fma_f16 v57, v20, v4, v57
	v_pk_fma_f16 v59, v21, v4, v59
	;; [unrolled: 1-line block ×4, first 2 shown]
	v_mul_u32_u24_sdwa v4, v6, s41 dst_sel:DWORD dst_unused:UNUSED_PAD src0_sel:WORD_1 src1_sel:DWORD
	ds_read2_b64 v[20:23], v46 offset1:32
	s_waitcnt lgkmcnt(2)
	v_pk_fma_f16 v5, v48, v4, v5
	v_pk_fma_f16 v6, v49, v4, v56
	;; [unrolled: 1-line block ×4, first 2 shown]
	ds_read2_b64 v[48:51], v46 offset0:64 offset1:96
	s_waitcnt lgkmcnt(2)
	v_pk_fma_f16 v56, v52, v4, v57
	v_pk_fma_f16 v57, v53, v4, v59
	;; [unrolled: 1-line block ×4, first 2 shown]
	v_mul_u32_u24_sdwa v4, v7, s41 dst_sel:DWORD dst_unused:UNUSED_PAD src0_sel:WORD_0 src1_sel:DWORD
	ds_read2_b64 v[52:55], v46 offset0:128 offset1:160
	s_waitcnt lgkmcnt(2)
	v_pk_fma_f16 v59, v20, v4, v5
	v_pk_fma_f16 v6, v21, v4, v6
	;; [unrolled: 1-line block ×4, first 2 shown]
	ds_read2_b64 v[20:23], v46 offset0:192 offset1:224
	s_waitcnt lgkmcnt(0)
	s_barrier
	v_pk_fma_f16 v56, v48, v4, v56
	v_pk_fma_f16 v57, v49, v4, v57
	;; [unrolled: 1-line block ×4, first 2 shown]
	global_load_dwordx4 v[48:51], v[2:3], off
	v_mul_u32_u24_sdwa v7, v7, s41 dst_sel:DWORD dst_unused:UNUSED_PAD src0_sel:WORD_1 src1_sel:DWORD
	global_load_dwordx4 v[2:5], v[2:3], off offset:512
	v_pk_fma_f16 v59, v52, v7, v59
	v_pk_fma_f16 v6, v53, v7, v6
	;; [unrolled: 1-line block ×8, first 2 shown]
	s_waitcnt vmcnt(1)
	ds_write_b128 v41, v[48:51]
	s_waitcnt vmcnt(0)
	ds_write_b128 v42, v[2:5]
	s_waitcnt lgkmcnt(0)
	s_barrier
	ds_read_b128 v[2:5], v39 offset:112
	ds_read2_b64 v[20:23], v28 offset1:32
	ds_read2_b64 v[48:51], v28 offset0:64 offset1:96
	ds_read2_b64 v[52:55], v28 offset0:128 offset1:160
	;; [unrolled: 1-line block ×3, first 2 shown]
	s_waitcnt lgkmcnt(4)
	v_mul_u32_u24_sdwa v7, v2, s41 dst_sel:DWORD dst_unused:UNUSED_PAD src0_sel:WORD_0 src1_sel:DWORD
	s_waitcnt lgkmcnt(3)
	v_pk_fma_f16 v59, v20, v7, v59
	v_pk_fma_f16 v6, v21, v7, v6
	;; [unrolled: 1-line block ×4, first 2 shown]
	ds_read2_b64 v[20:23], v28 offset0:192 offset1:224
	s_waitcnt lgkmcnt(3)
	v_pk_fma_f16 v56, v48, v7, v56
	v_pk_fma_f16 v57, v49, v7, v57
	;; [unrolled: 1-line block ×4, first 2 shown]
	ds_read2_b64 v[48:51], v44 offset1:32
	v_mul_u32_u24_sdwa v2, v2, s41 dst_sel:DWORD dst_unused:UNUSED_PAD src0_sel:WORD_1 src1_sel:DWORD
	s_waitcnt lgkmcnt(3)
	v_pk_fma_f16 v7, v52, v2, v59
	v_pk_fma_f16 v6, v53, v2, v6
	;; [unrolled: 1-line block ×4, first 2 shown]
	ds_read2_b64 v[52:55], v44 offset0:64 offset1:96
	s_waitcnt lgkmcnt(2)
	v_pk_fma_f16 v56, v20, v2, v56
	v_pk_fma_f16 v57, v21, v2, v57
	;; [unrolled: 1-line block ×4, first 2 shown]
	v_mul_u32_u24_sdwa v2, v3, s41 dst_sel:DWORD dst_unused:UNUSED_PAD src0_sel:WORD_0 src1_sel:DWORD
	ds_read2_b64 v[20:23], v44 offset0:128 offset1:160
	s_waitcnt lgkmcnt(2)
	v_pk_fma_f16 v7, v48, v2, v7
	v_pk_fma_f16 v6, v49, v2, v6
	v_pk_fma_f16 v25, v50, v2, v25
	v_pk_fma_f16 v47, v51, v2, v47
	ds_read2_b64 v[48:51], v44 offset0:192 offset1:224
	s_waitcnt lgkmcnt(2)
	v_pk_fma_f16 v56, v52, v2, v56
	v_pk_fma_f16 v57, v53, v2, v57
	;; [unrolled: 1-line block ×4, first 2 shown]
	ds_read2_b64 v[52:55], v45 offset1:32
	v_mul_u32_u24_sdwa v2, v3, s41 dst_sel:DWORD dst_unused:UNUSED_PAD src0_sel:WORD_1 src1_sel:DWORD
	s_waitcnt lgkmcnt(2)
	v_pk_fma_f16 v3, v20, v2, v7
	v_pk_fma_f16 v6, v21, v2, v6
	;; [unrolled: 1-line block ×4, first 2 shown]
	ds_read2_b64 v[20:23], v45 offset0:64 offset1:96
	s_waitcnt lgkmcnt(2)
	v_pk_fma_f16 v47, v48, v2, v56
	v_pk_fma_f16 v56, v49, v2, v57
	;; [unrolled: 1-line block ×4, first 2 shown]
	ds_read2_b64 v[48:51], v45 offset0:128 offset1:160
	v_mul_u32_u24_sdwa v2, v4, s41 dst_sel:DWORD dst_unused:UNUSED_PAD src0_sel:WORD_0 src1_sel:DWORD
	s_waitcnt lgkmcnt(2)
	v_pk_fma_f16 v57, v52, v2, v3
	v_pk_fma_f16 v6, v53, v2, v6
	;; [unrolled: 1-line block ×4, first 2 shown]
	v_mul_u32_u24_sdwa v59, v4, s41 dst_sel:DWORD dst_unused:UNUSED_PAD src0_sel:WORD_1 src1_sel:DWORD
	ds_read2_b64 v[52:55], v45 offset0:192 offset1:224
	s_waitcnt lgkmcnt(2)
	v_pk_fma_f16 v47, v20, v2, v47
	v_pk_fma_f16 v56, v21, v2, v56
	;; [unrolled: 1-line block ×4, first 2 shown]
	ds_read2_b64 v[20:23], v46 offset1:32
	v_mul_u32_u24_sdwa v64, v5, s41 dst_sel:DWORD dst_unused:UNUSED_PAD src0_sel:WORD_0 src1_sel:DWORD
	v_mul_u32_u24_sdwa v65, v5, s41 dst_sel:DWORD dst_unused:UNUSED_PAD src0_sel:WORD_1 src1_sel:DWORD
	ds_read2_b64 v[2:5], v46 offset0:64 offset1:96
	s_waitcnt lgkmcnt(3)
	v_pk_fma_f16 v57, v48, v59, v57
	v_pk_fma_f16 v6, v49, v59, v6
	;; [unrolled: 1-line block ×4, first 2 shown]
	ds_read2_b64 v[48:51], v46 offset0:128 offset1:160
	s_waitcnt lgkmcnt(0)
	s_barrier
	s_load_dword s4, s[8:9], 0x4
	v_pk_fma_f16 v47, v52, v59, v47
	v_pk_fma_f16 v52, v53, v59, v56
	;; [unrolled: 1-line block ×4, first 2 shown]
	s_waitcnt lgkmcnt(0)
	s_lshl_b32 s4, s4, 6
	s_add_i32 s2, s4, s2
	v_pk_fma_f16 v20, v20, v64, v57
	v_pk_fma_f16 v6, v21, v64, v6
	v_pk_fma_f16 v7, v22, v64, v7
	v_pk_fma_f16 v21, v23, v64, v25
	v_pk_fma_f16 v2, v2, v64, v47
	v_pk_fma_f16 v3, v3, v64, v52
	v_pk_fma_f16 v4, v4, v64, v24
	v_pk_fma_f16 v1, v5, v64, v1
	s_cmp_ge_i32 s2, s28
	v_pk_fma_f16 v53, v48, v65, v20
	v_pk_fma_f16 v52, v49, v65, v6
	;; [unrolled: 1-line block ×8, first 2 shown]
	s_cbranch_scc0 .LBB20_9
.LBB20_10:
	v_cmp_lt_i32_e32 vcc, v35, v30
	s_cmp_lg_u64 s[12:13], 0
	s_cselect_b64 s[4:5], -1, 0
	v_cndmask_b32_e32 v1, v17, v35, vcc
	v_lshlrev_b32_e32 v1, 2, v1
	ds_bpermute_b32 v1, v1, v58
	v_cmp_lt_i32_e32 vcc, v34, v30
	s_cmp_eq_u32 s3, 0
	s_cselect_b64 s[6:7], -1, 0
	v_cndmask_b32_e32 v2, v17, v34, vcc
	v_lshlrev_b32_e32 v2, 2, v2
	s_waitcnt lgkmcnt(0)
	v_add_f32_e32 v1, v58, v1
	ds_bpermute_b32 v2, v2, v1
	v_cmp_lt_i32_e32 vcc, v33, v30
	s_and_b64 s[4:5], s[6:7], s[4:5]
	s_waitcnt lgkmcnt(0)
	v_add_f32_e32 v1, v1, v2
	v_cndmask_b32_e32 v3, v17, v33, vcc
	v_lshlrev_b32_e32 v3, 2, v3
	ds_bpermute_b32 v2, v3, v1
	v_cmp_lt_i32_e32 vcc, v32, v30
	s_waitcnt lgkmcnt(0)
	v_add_f32_e32 v1, v1, v2
	v_cndmask_b32_e32 v3, v17, v32, vcc
	v_lshlrev_b32_e32 v3, 2, v3
	ds_bpermute_b32 v2, v3, v1
	v_cmp_lt_i32_e32 vcc, v31, v30
	s_waitcnt lgkmcnt(0)
	v_add_f32_e32 v1, v1, v2
	v_cndmask_b32_e32 v3, v17, v31, vcc
	v_lshlrev_b32_e32 v3, 2, v3
	ds_bpermute_b32 v2, v3, v1
	s_and_b64 vcc, exec, s[4:5]
	s_waitcnt lgkmcnt(0)
	v_add_f32_e32 v1, v1, v2
	s_cbranch_vccz .LBB20_13
; %bb.11:
	v_add_u32_e32 v2, s29, v9
	v_ashrrev_i32_e32 v3, 31, v2
	v_lshl_add_u64 v[2:3], v[2:3], 2, s[12:13]
	global_load_dword v3, v[2:3], off
	v_max_f32_e32 v2, v0, v0
	s_mov_b32 s2, 0x3fb8aa3b
	s_mov_b32 s4, 0xc2ce8ed0
	s_waitcnt vmcnt(0)
	v_max_f32_e32 v4, v3, v3
	v_max_f32_e32 v2, v2, v4
	v_sub_f32_e32 v0, v0, v2
	v_sub_f32_e32 v3, v3, v2
	v_mul_f32_e32 v4, 0x3fb8aa3b, v0
	v_mul_f32_e32 v5, 0x3fb8aa3b, v3
	v_fma_f32 v6, v0, s2, -v4
	v_rndne_f32_e32 v7, v4
	v_fma_f32 v10, v3, s2, -v5
	v_rndne_f32_e32 v11, v5
	v_fmac_f32_e32 v6, 0x32a5705f, v0
	v_sub_f32_e32 v4, v4, v7
	v_fmac_f32_e32 v10, 0x32a5705f, v3
	v_sub_f32_e32 v5, v5, v11
	v_add_f32_e32 v4, v4, v6
	v_cvt_i32_f32_e32 v7, v7
	v_add_f32_e32 v5, v5, v10
	v_exp_f32_e32 v4, v4
	v_cvt_i32_f32_e32 v11, v11
	v_exp_f32_e32 v5, v5
	v_cmp_ngt_f32_e32 vcc, s4, v0
	v_ldexp_f32 v4, v4, v7
	s_mov_b32 s2, 0x42b17218
	v_ldexp_f32 v5, v5, v11
	v_cndmask_b32_e32 v4, 0, v4, vcc
	v_cmp_ngt_f32_e32 vcc, s4, v3
	v_mov_b32_e32 v6, 0x7f800000
	s_nop 0
	v_cndmask_b32_e32 v5, 0, v5, vcc
	v_cmp_nlt_f32_e32 vcc, s2, v0
	s_nop 1
	v_cndmask_b32_e32 v0, v6, v4, vcc
	v_cvt_f16_f32_e32 v4, v0
	v_cmp_nlt_f32_e32 vcc, s2, v3
	s_nop 1
	v_cndmask_b32_e32 v3, v6, v5, vcc
	v_fmac_f32_e32 v3, v1, v0
	v_mul_u32_u24_e32 v0, 0x10001, v4
	v_pk_mul_f16 v53, v53, v0
	v_pk_mul_f16 v52, v52, v0
	;; [unrolled: 1-line block ×8, first 2 shown]
	v_mov_b64_e32 v[0:1], v[2:3]
	v_cmp_gt_i32_e32 vcc, s22, v26
	s_and_saveexec_b64 s[4:5], vcc
	s_cbranch_execnz .LBB20_14
.LBB20_12:
	s_endpgm
.LBB20_13:
	v_mov_b32_e32 v3, v1
	v_cmp_gt_i32_e32 vcc, s22, v26
	s_and_saveexec_b64 s[4:5], vcc
	s_cbranch_execz .LBB20_12
.LBB20_14:
	s_load_dword s2, s[0:1], 0xd4
	v_div_scale_f32 v2, s[0:1], v3, v3, 1.0
	v_rcp_f32_e32 v4, v2
	s_mul_i32 s33, s33, s22
	s_waitcnt lgkmcnt(0)
	s_cmp_lg_u32 s2, 1
	s_cselect_b64 s[0:1], -1, 0
	v_fma_f32 v5, -v2, v4, 1.0
	v_fmac_f32_e32 v4, v5, v4
	v_div_scale_f32 v5, vcc, 1.0, v3, 1.0
	v_mul_f32_e32 v6, v5, v4
	v_fma_f32 v7, -v2, v6, v5
	v_fmac_f32_e32 v6, v7, v4
	v_fma_f32 v2, -v2, v6, v5
	v_div_fmas_f32 v2, v2, v4, v6
	v_div_fixup_f32 v2, v2, v3, 1.0
	v_cndmask_b32_e64 v10, v2, 1.0, s[0:1]
	v_add_u32_e32 v2, s33, v26
	v_mul_lo_u32 v2, v2, s23
	v_add3_u32 v2, s29, v9, v2
	v_cvt_f32_f16_sdwa v5, v53 dst_sel:DWORD dst_unused:UNUSED_PAD src0_sel:WORD_1
	v_cvt_f32_f16_e32 v4, v53
	v_cvt_f32_f16_sdwa v7, v52 dst_sel:DWORD dst_unused:UNUSED_PAD src0_sel:WORD_1
	v_cvt_f32_f16_e32 v6, v52
	v_mul_lo_u32 v2, s2, v2
	v_add_u32_e32 v2, s3, v2
	v_lshl_add_u32 v12, v2, 9, v27
	v_mov_b32_e32 v13, 0
	v_cmp_eq_u32_e32 vcc, 0, v8
	v_lshl_add_u64 v[8:9], v[12:13], 2, s[16:17]
	v_pk_mul_f32 v[4:5], v[10:11], v[4:5] op_sel_hi:[0,1]
	v_pk_mul_f32 v[6:7], v[10:11], v[6:7] op_sel_hi:[0,1]
	global_store_dwordx4 v[8:9], v[4:7], off
	v_cvt_f32_f16_sdwa v9, v51 dst_sel:DWORD dst_unused:UNUSED_PAD src0_sel:WORD_1
	v_cvt_f32_f16_e32 v8, v51
	v_cvt_f32_f16_sdwa v7, v54 dst_sel:DWORD dst_unused:UNUSED_PAD src0_sel:WORD_1
	v_cvt_f32_f16_e32 v6, v54
	v_add_u32_e32 v4, 0x80, v12
	v_mov_b32_e32 v5, v13
	v_lshl_add_u64 v[14:15], v[4:5], 2, s[16:17]
	v_pk_mul_f32 v[4:5], v[10:11], v[6:7] op_sel_hi:[0,1]
	v_pk_mul_f32 v[6:7], v[10:11], v[8:9] op_sel_hi:[0,1]
	global_store_dwordx4 v[14:15], v[4:7], off
	v_cvt_f32_f16_sdwa v9, v49 dst_sel:DWORD dst_unused:UNUSED_PAD src0_sel:WORD_1
	v_cvt_f32_f16_e32 v8, v49
	v_cvt_f32_f16_sdwa v7, v50 dst_sel:DWORD dst_unused:UNUSED_PAD src0_sel:WORD_1
	v_cvt_f32_f16_e32 v6, v50
	v_add_u32_e32 v4, 0x100, v12
	v_mov_b32_e32 v5, v13
	v_lshl_add_u64 v[14:15], v[4:5], 2, s[16:17]
	v_pk_mul_f32 v[4:5], v[10:11], v[6:7] op_sel_hi:[0,1]
	v_pk_mul_f32 v[6:7], v[10:11], v[8:9] op_sel_hi:[0,1]
	global_store_dwordx4 v[14:15], v[4:7], off
	v_add_u32_e32 v12, 0x180, v12
	s_and_b64 s[0:1], vcc, s[0:1]
	v_cvt_f32_f16_sdwa v5, v48 dst_sel:DWORD dst_unused:UNUSED_PAD src0_sel:WORD_1
	v_cvt_f32_f16_e32 v4, v48
	v_cvt_f32_f16_sdwa v7, v47 dst_sel:DWORD dst_unused:UNUSED_PAD src0_sel:WORD_1
	v_cvt_f32_f16_e32 v6, v47
	v_lshl_add_u64 v[8:9], v[12:13], 2, s[16:17]
	v_pk_mul_f32 v[4:5], v[10:11], v[4:5] op_sel_hi:[0,1]
	v_pk_mul_f32 v[6:7], v[10:11], v[6:7] op_sel_hi:[0,1]
	global_store_dwordx4 v[8:9], v[4:7], off
	s_and_b64 exec, exec, s[0:1]
	s_cbranch_execz .LBB20_12
; %bb.15:
	v_mov_b32_e32 v4, s18
	v_mov_b32_e32 v5, s19
	v_ashrrev_i32_e32 v3, 31, v2
	v_lshl_add_u64 v[2:3], v[2:3], 3, v[4:5]
	global_store_dwordx2 v[2:3], v[0:1], off
	s_endpgm
	.section	.rodata,"a",@progbits
	.p2align	6, 0x0
	.amdhsa_kernel _ZL15flash_attn_tileILi512ELi512ELi2ELi4ELb0EEvPKcS1_S1_S1_S1_PKiPfP15HIP_vector_typeIfLj2EEffffjfiS5_IjLj3EEiiiiiiiiiiiliiliiiiil
		.amdhsa_group_segment_fixed_size 18432
		.amdhsa_private_segment_fixed_size 0
		.amdhsa_kernarg_size 464
		.amdhsa_user_sgpr_count 2
		.amdhsa_user_sgpr_dispatch_ptr 0
		.amdhsa_user_sgpr_queue_ptr 0
		.amdhsa_user_sgpr_kernarg_segment_ptr 1
		.amdhsa_user_sgpr_dispatch_id 0
		.amdhsa_user_sgpr_kernarg_preload_length 0
		.amdhsa_user_sgpr_kernarg_preload_offset 0
		.amdhsa_user_sgpr_private_segment_size 0
		.amdhsa_uses_dynamic_stack 0
		.amdhsa_enable_private_segment 0
		.amdhsa_system_sgpr_workgroup_id_x 1
		.amdhsa_system_sgpr_workgroup_id_y 1
		.amdhsa_system_sgpr_workgroup_id_z 1
		.amdhsa_system_sgpr_workgroup_info 0
		.amdhsa_system_vgpr_workitem_id 1
		.amdhsa_next_free_vgpr 68
		.amdhsa_next_free_sgpr 47
		.amdhsa_accum_offset 68
		.amdhsa_reserve_vcc 1
		.amdhsa_float_round_mode_32 0
		.amdhsa_float_round_mode_16_64 0
		.amdhsa_float_denorm_mode_32 3
		.amdhsa_float_denorm_mode_16_64 3
		.amdhsa_dx10_clamp 1
		.amdhsa_ieee_mode 1
		.amdhsa_fp16_overflow 0
		.amdhsa_tg_split 0
		.amdhsa_exception_fp_ieee_invalid_op 0
		.amdhsa_exception_fp_denorm_src 0
		.amdhsa_exception_fp_ieee_div_zero 0
		.amdhsa_exception_fp_ieee_overflow 0
		.amdhsa_exception_fp_ieee_underflow 0
		.amdhsa_exception_fp_ieee_inexact 0
		.amdhsa_exception_int_div_zero 0
	.end_amdhsa_kernel
	.section	.text._ZL15flash_attn_tileILi512ELi512ELi2ELi4ELb0EEvPKcS1_S1_S1_S1_PKiPfP15HIP_vector_typeIfLj2EEffffjfiS5_IjLj3EEiiiiiiiiiiiliiliiiiil,"axG",@progbits,_ZL15flash_attn_tileILi512ELi512ELi2ELi4ELb0EEvPKcS1_S1_S1_S1_PKiPfP15HIP_vector_typeIfLj2EEffffjfiS5_IjLj3EEiiiiiiiiiiiliiliiiiil,comdat
.Lfunc_end20:
	.size	_ZL15flash_attn_tileILi512ELi512ELi2ELi4ELb0EEvPKcS1_S1_S1_S1_PKiPfP15HIP_vector_typeIfLj2EEffffjfiS5_IjLj3EEiiiiiiiiiiiliiliiiiil, .Lfunc_end20-_ZL15flash_attn_tileILi512ELi512ELi2ELi4ELb0EEvPKcS1_S1_S1_S1_PKiPfP15HIP_vector_typeIfLj2EEffffjfiS5_IjLj3EEiiiiiiiiiiiliiliiiiil
                                        ; -- End function
	.set _ZL15flash_attn_tileILi512ELi512ELi2ELi4ELb0EEvPKcS1_S1_S1_S1_PKiPfP15HIP_vector_typeIfLj2EEffffjfiS5_IjLj3EEiiiiiiiiiiiliiliiiiil.num_vgpr, 68
	.set _ZL15flash_attn_tileILi512ELi512ELi2ELi4ELb0EEvPKcS1_S1_S1_S1_PKiPfP15HIP_vector_typeIfLj2EEffffjfiS5_IjLj3EEiiiiiiiiiiiliiliiiiil.num_agpr, 0
	.set _ZL15flash_attn_tileILi512ELi512ELi2ELi4ELb0EEvPKcS1_S1_S1_S1_PKiPfP15HIP_vector_typeIfLj2EEffffjfiS5_IjLj3EEiiiiiiiiiiiliiliiiiil.numbered_sgpr, 47
	.set _ZL15flash_attn_tileILi512ELi512ELi2ELi4ELb0EEvPKcS1_S1_S1_S1_PKiPfP15HIP_vector_typeIfLj2EEffffjfiS5_IjLj3EEiiiiiiiiiiiliiliiiiil.num_named_barrier, 0
	.set _ZL15flash_attn_tileILi512ELi512ELi2ELi4ELb0EEvPKcS1_S1_S1_S1_PKiPfP15HIP_vector_typeIfLj2EEffffjfiS5_IjLj3EEiiiiiiiiiiiliiliiiiil.private_seg_size, 0
	.set _ZL15flash_attn_tileILi512ELi512ELi2ELi4ELb0EEvPKcS1_S1_S1_S1_PKiPfP15HIP_vector_typeIfLj2EEffffjfiS5_IjLj3EEiiiiiiiiiiiliiliiiiil.uses_vcc, 1
	.set _ZL15flash_attn_tileILi512ELi512ELi2ELi4ELb0EEvPKcS1_S1_S1_S1_PKiPfP15HIP_vector_typeIfLj2EEffffjfiS5_IjLj3EEiiiiiiiiiiiliiliiiiil.uses_flat_scratch, 0
	.set _ZL15flash_attn_tileILi512ELi512ELi2ELi4ELb0EEvPKcS1_S1_S1_S1_PKiPfP15HIP_vector_typeIfLj2EEffffjfiS5_IjLj3EEiiiiiiiiiiiliiliiiiil.has_dyn_sized_stack, 0
	.set _ZL15flash_attn_tileILi512ELi512ELi2ELi4ELb0EEvPKcS1_S1_S1_S1_PKiPfP15HIP_vector_typeIfLj2EEffffjfiS5_IjLj3EEiiiiiiiiiiiliiliiiiil.has_recursion, 0
	.set _ZL15flash_attn_tileILi512ELi512ELi2ELi4ELb0EEvPKcS1_S1_S1_S1_PKiPfP15HIP_vector_typeIfLj2EEffffjfiS5_IjLj3EEiiiiiiiiiiiliiliiiiil.has_indirect_call, 0
	.section	.AMDGPU.csdata,"",@progbits
; Kernel info:
; codeLenInByte = 22392
; TotalNumSgprs: 53
; NumVgprs: 68
; NumAgprs: 0
; TotalNumVgprs: 68
; ScratchSize: 0
; MemoryBound: 0
; FloatMode: 240
; IeeeMode: 1
; LDSByteSize: 18432 bytes/workgroup (compile time only)
; SGPRBlocks: 6
; VGPRBlocks: 8
; NumSGPRsForWavesPerEU: 53
; NumVGPRsForWavesPerEU: 68
; AccumOffset: 68
; Occupancy: 7
; WaveLimiterHint : 1
; COMPUTE_PGM_RSRC2:SCRATCH_EN: 0
; COMPUTE_PGM_RSRC2:USER_SGPR: 2
; COMPUTE_PGM_RSRC2:TRAP_HANDLER: 0
; COMPUTE_PGM_RSRC2:TGID_X_EN: 1
; COMPUTE_PGM_RSRC2:TGID_Y_EN: 1
; COMPUTE_PGM_RSRC2:TGID_Z_EN: 1
; COMPUTE_PGM_RSRC2:TIDIG_COMP_CNT: 1
; COMPUTE_PGM_RSRC3_GFX90A:ACCUM_OFFSET: 16
; COMPUTE_PGM_RSRC3_GFX90A:TG_SPLIT: 0
	.section	.text._ZL33flash_attn_stream_k_fixup_uniformILi512ELi2ELi4EEvPfPK15HIP_vector_typeIfLj2EEiiiiiiS1_IjLj3EES5_S5_,"axG",@progbits,_ZL33flash_attn_stream_k_fixup_uniformILi512ELi2ELi4EEvPfPK15HIP_vector_typeIfLj2EEiiiiiiS1_IjLj3EES5_S5_,comdat
	.globl	_ZL33flash_attn_stream_k_fixup_uniformILi512ELi2ELi4EEvPfPK15HIP_vector_typeIfLj2EEiiiiiiS1_IjLj3EES5_S5_ ; -- Begin function _ZL33flash_attn_stream_k_fixup_uniformILi512ELi2ELi4EEvPfPK15HIP_vector_typeIfLj2EEiiiiiiS1_IjLj3EES5_S5_
	.p2align	8
	.type	_ZL33flash_attn_stream_k_fixup_uniformILi512ELi2ELi4EEvPfPK15HIP_vector_typeIfLj2EEiiiiiiS1_IjLj3EES5_S5_,@function
_ZL33flash_attn_stream_k_fixup_uniformILi512ELi2ELi4EEvPfPK15HIP_vector_typeIfLj2EEiiiiiiS1_IjLj3EES5_S5_: ; @_ZL33flash_attn_stream_k_fixup_uniformILi512ELi2ELi4EEvPfPK15HIP_vector_typeIfLj2EEiiiiiiS1_IjLj3EES5_S5_
; %bb.0:
	s_load_dwordx8 s[8:15], s[0:1], 0x1c
	s_load_dwordx2 s[6:7], s[0:1], 0x10
	s_load_dwordx4 s[20:23], s[0:1], 0x3c
	s_waitcnt lgkmcnt(0)
	s_mul_hi_u32 s5, s11, s2
	s_add_i32 s5, s2, s5
	s_lshr_b32 s5, s5, s12
	s_mul_i32 s11, s5, s13
	s_sub_i32 s11, s2, s11
	s_mul_hi_u32 s12, s11, s14
	s_add_i32 s12, s11, s12
	s_lshr_b32 s16, s12, s15
	s_mul_i32 s12, s16, s20
	s_sub_i32 s11, s11, s12
	;; [unrolled: 5-line block ×3, first 2 shown]
	s_lshl_b32 s11, s12, 2
	s_lshl_b32 s12, s17, 1
	s_add_i32 s12, s12, s3
	s_cmp_lt_i32 s12, s6
	s_cselect_b64 s[12:13], -1, 0
	s_add_i32 s14, s11, s4
	s_cmp_lt_i32 s14, s9
	s_cselect_b64 s[14:15], -1, 0
	s_and_b64 s[12:13], s[12:13], s[14:15]
	s_andn2_b64 vcc, exec, s[12:13]
	s_cbranch_vccnz .LBB21_6
; %bb.1:
	s_load_dwordx4 s[12:15], s[0:1], 0x0
	s_mul_i32 s0, s5, s6
	s_add_i32 s0, s0, s3
	s_mul_i32 s0, s0, s7
	s_mul_i32 s16, s16, s9
	s_add_i32 s0, s0, s4
	s_add_i32 s0, s0, s16
	s_mul_i32 s1, s7, s17
	s_add_i32 s0, s0, s11
	s_lshl_b32 s1, s1, 10
	s_lshl_b32 s0, s0, 9
	s_add_i32 s1, s1, s0
	v_or_b32_e32 v4, s1, v0
	s_waitcnt lgkmcnt(0)
	v_mov_b32_e32 v2, s12
	v_mov_b32_e32 v3, s13
	v_ashrrev_i32_e32 v5, 31, v4
	v_lshl_add_u64 v[2:3], v[4:5], 2, v[2:3]
	global_load_dword v5, v[2:3], off
	s_mul_i32 s5, s10, s2
	s_lshl_b32 s11, s3, 2
	s_add_i32 s9, s5, s10
	s_add_i32 s0, s11, s4
	s_lshl_b32 s1, s9, 3
	s_add_i32 s0, s0, s1
	s_add_i32 s0, s0, -8
	s_ashr_i32 s1, s0, 31
	s_lshl_b64 s[0:1], s[0:1], 3
	s_add_u32 s0, s14, s0
	s_addc_u32 s1, s15, s1
	s_load_dword s12, s[0:1], 0x4
	s_add_i32 s6, s9, -2
	s_cmp_lt_i32 s6, s5
	s_cbranch_scc1 .LBB21_4
; %bb.2:
	s_lshl_b32 s6, s8, 5
	s_ashr_i32 s7, s6, 31
	s_lshl_b64 s[6:7], s[6:7], 2
	s_add_u32 s6, s14, s6
	s_addc_u32 s7, s15, s7
	s_add_i32 s2, s2, 1
	s_load_dword s0, s[0:1], 0x0
	s_mul_i32 s1, s10, s2
	s_lshl_b32 s3, s3, 11
	s_lshl_b32 s10, s4, 9
	;; [unrolled: 1-line block ×3, first 2 shown]
	s_add_i32 s3, s10, s3
	s_lshl_b32 s1, s1, 3
	s_add_i32 s3, s3, s2
	s_add_i32 s1, s4, s1
	s_lshl_b32 s2, s8, 3
	s_add_i32 s1, s1, s2
	v_or_b32_e32 v0, s3, v0
	s_add_i32 s1, s1, s11
	s_add_i32 s9, s9, -1
	v_add_u32_e32 v0, 0xffffe000, v0
	s_add_i32 s2, s1, -16
	s_waitcnt lgkmcnt(0)
	v_mov_b32_e32 v7, s0
	v_mov_b32_e32 v4, s12
	s_mov_b32 s4, 0x3fb8aa3b
	s_mov_b32 s8, 0xc2ce8ed0
	;; [unrolled: 1-line block ×3, first 2 shown]
	v_mov_b32_e32 v6, 0x7f800000
	s_mov_b32 s11, 0xc1a00000
.LBB21_3:                               ; =>This Inner Loop Header: Depth=1
	v_ashrrev_i32_e32 v1, 31, v0
	v_lshl_add_u64 v[8:9], v[0:1], 2, s[6:7]
	global_load_dword v9, v[8:9], off
	s_ashr_i32 s3, s2, 31
	s_lshl_b64 s[0:1], s[2:3], 3
	s_add_u32 s0, s14, s0
	s_addc_u32 s1, s15, s1
	s_load_dwordx2 s[0:1], s[0:1], 0x0
	v_max_f32_e32 v1, v7, v7
	s_add_i32 s9, s9, -1
	s_add_i32 s2, s2, -8
	v_add_u32_e32 v0, 0xfffff000, v0
	s_waitcnt lgkmcnt(0)
	v_max_f32_e64 v10, s0, s0
	v_max_f32_e32 v1, v1, v10
	v_sub_f32_e32 v11, s0, v1
	v_sub_f32_e32 v10, v7, v1
	v_mul_f32_e32 v12, 0x3fb8aa3b, v11
	v_mov_b32_e32 v7, v1
	v_mul_f32_e32 v1, 0x3fb8aa3b, v10
	v_fma_f32 v15, v11, s4, -v12
	v_rndne_f32_e32 v16, v12
	v_fma_f32 v13, v10, s4, -v1
	v_rndne_f32_e32 v14, v1
	v_fmac_f32_e32 v15, 0x32a5705f, v11
	v_sub_f32_e32 v12, v12, v16
	v_fmac_f32_e32 v13, 0x32a5705f, v10
	v_sub_f32_e32 v1, v1, v14
	v_add_f32_e32 v12, v12, v15
	v_cvt_i32_f32_e32 v16, v16
	v_add_f32_e32 v1, v1, v13
	v_exp_f32_e32 v12, v12
	v_cvt_i32_f32_e32 v14, v14
	v_exp_f32_e32 v1, v1
	v_cmp_ngt_f32_e32 vcc, s8, v11
	v_ldexp_f32 v12, v12, v16
	v_mov_b32_e32 v8, s1
	v_ldexp_f32 v1, v1, v14
	v_cmp_ngt_f32_e64 s[0:1], s8, v10
	v_cndmask_b32_e32 v12, 0, v12, vcc
	v_cmp_nlt_f32_e32 vcc, s10, v11
	v_cndmask_b32_e64 v1, 0, v1, s[0:1]
	v_cmp_nlt_f32_e64 s[0:1], s10, v10
	v_cndmask_b32_e32 v12, v6, v12, vcc
	v_cmp_le_f32_e32 vcc, s11, v11
	v_cndmask_b32_e64 v1, v6, v1, s[0:1]
	v_cmp_le_f32_e64 s[0:1], s11, v10
	v_cndmask_b32_e32 v12, 0, v12, vcc
	s_cmp_le_i32 s9, s5
	v_cndmask_b32_e64 v10, 0, v1, s[0:1]
	s_waitcnt vmcnt(0)
	v_pk_mul_f32 v[8:9], v[8:9], v[12:13] op_sel_hi:[1,0]
	s_nop 0
	v_pk_fma_f32 v[4:5], v[4:5], v[10:11], v[8:9] op_sel_hi:[1,0,1]
	s_cbranch_scc0 .LBB21_3
	s_branch .LBB21_5
.LBB21_4:
	s_waitcnt lgkmcnt(0)
	v_mov_b32_e32 v4, s12
.LBB21_5:
	s_waitcnt vmcnt(0)
	v_div_scale_f32 v0, s[0:1], v4, v4, v5
	v_rcp_f32_e32 v1, v0
	v_div_scale_f32 v6, vcc, v5, v4, v5
	v_fma_f32 v7, -v0, v1, 1.0
	v_fmac_f32_e32 v1, v7, v1
	v_mul_f32_e32 v7, v6, v1
	v_fma_f32 v8, -v0, v7, v6
	v_fmac_f32_e32 v7, v8, v1
	v_fma_f32 v0, -v0, v7, v6
	v_div_fmas_f32 v0, v0, v1, v7
	v_div_fixup_f32 v0, v0, v4, v5
	global_store_dword v[2:3], v0, off
.LBB21_6:
	s_endpgm
	.section	.rodata,"a",@progbits
	.p2align	6, 0x0
	.amdhsa_kernel _ZL33flash_attn_stream_k_fixup_uniformILi512ELi2ELi4EEvPfPK15HIP_vector_typeIfLj2EEiiiiiiS1_IjLj3EES5_S5_
		.amdhsa_group_segment_fixed_size 0
		.amdhsa_private_segment_fixed_size 0
		.amdhsa_kernarg_size 76
		.amdhsa_user_sgpr_count 2
		.amdhsa_user_sgpr_dispatch_ptr 0
		.amdhsa_user_sgpr_queue_ptr 0
		.amdhsa_user_sgpr_kernarg_segment_ptr 1
		.amdhsa_user_sgpr_dispatch_id 0
		.amdhsa_user_sgpr_kernarg_preload_length 0
		.amdhsa_user_sgpr_kernarg_preload_offset 0
		.amdhsa_user_sgpr_private_segment_size 0
		.amdhsa_uses_dynamic_stack 0
		.amdhsa_enable_private_segment 0
		.amdhsa_system_sgpr_workgroup_id_x 1
		.amdhsa_system_sgpr_workgroup_id_y 1
		.amdhsa_system_sgpr_workgroup_id_z 1
		.amdhsa_system_sgpr_workgroup_info 0
		.amdhsa_system_vgpr_workitem_id 0
		.amdhsa_next_free_vgpr 17
		.amdhsa_next_free_sgpr 24
		.amdhsa_accum_offset 20
		.amdhsa_reserve_vcc 1
		.amdhsa_float_round_mode_32 0
		.amdhsa_float_round_mode_16_64 0
		.amdhsa_float_denorm_mode_32 3
		.amdhsa_float_denorm_mode_16_64 3
		.amdhsa_dx10_clamp 1
		.amdhsa_ieee_mode 1
		.amdhsa_fp16_overflow 0
		.amdhsa_tg_split 0
		.amdhsa_exception_fp_ieee_invalid_op 0
		.amdhsa_exception_fp_denorm_src 0
		.amdhsa_exception_fp_ieee_div_zero 0
		.amdhsa_exception_fp_ieee_overflow 0
		.amdhsa_exception_fp_ieee_underflow 0
		.amdhsa_exception_fp_ieee_inexact 0
		.amdhsa_exception_int_div_zero 0
	.end_amdhsa_kernel
	.section	.text._ZL33flash_attn_stream_k_fixup_uniformILi512ELi2ELi4EEvPfPK15HIP_vector_typeIfLj2EEiiiiiiS1_IjLj3EES5_S5_,"axG",@progbits,_ZL33flash_attn_stream_k_fixup_uniformILi512ELi2ELi4EEvPfPK15HIP_vector_typeIfLj2EEiiiiiiS1_IjLj3EES5_S5_,comdat
.Lfunc_end21:
	.size	_ZL33flash_attn_stream_k_fixup_uniformILi512ELi2ELi4EEvPfPK15HIP_vector_typeIfLj2EEiiiiiiS1_IjLj3EES5_S5_, .Lfunc_end21-_ZL33flash_attn_stream_k_fixup_uniformILi512ELi2ELi4EEvPfPK15HIP_vector_typeIfLj2EEiiiiiiS1_IjLj3EES5_S5_
                                        ; -- End function
	.set _ZL33flash_attn_stream_k_fixup_uniformILi512ELi2ELi4EEvPfPK15HIP_vector_typeIfLj2EEiiiiiiS1_IjLj3EES5_S5_.num_vgpr, 17
	.set _ZL33flash_attn_stream_k_fixup_uniformILi512ELi2ELi4EEvPfPK15HIP_vector_typeIfLj2EEiiiiiiS1_IjLj3EES5_S5_.num_agpr, 0
	.set _ZL33flash_attn_stream_k_fixup_uniformILi512ELi2ELi4EEvPfPK15HIP_vector_typeIfLj2EEiiiiiiS1_IjLj3EES5_S5_.numbered_sgpr, 24
	.set _ZL33flash_attn_stream_k_fixup_uniformILi512ELi2ELi4EEvPfPK15HIP_vector_typeIfLj2EEiiiiiiS1_IjLj3EES5_S5_.num_named_barrier, 0
	.set _ZL33flash_attn_stream_k_fixup_uniformILi512ELi2ELi4EEvPfPK15HIP_vector_typeIfLj2EEiiiiiiS1_IjLj3EES5_S5_.private_seg_size, 0
	.set _ZL33flash_attn_stream_k_fixup_uniformILi512ELi2ELi4EEvPfPK15HIP_vector_typeIfLj2EEiiiiiiS1_IjLj3EES5_S5_.uses_vcc, 1
	.set _ZL33flash_attn_stream_k_fixup_uniformILi512ELi2ELi4EEvPfPK15HIP_vector_typeIfLj2EEiiiiiiS1_IjLj3EES5_S5_.uses_flat_scratch, 0
	.set _ZL33flash_attn_stream_k_fixup_uniformILi512ELi2ELi4EEvPfPK15HIP_vector_typeIfLj2EEiiiiiiS1_IjLj3EES5_S5_.has_dyn_sized_stack, 0
	.set _ZL33flash_attn_stream_k_fixup_uniformILi512ELi2ELi4EEvPfPK15HIP_vector_typeIfLj2EEiiiiiiS1_IjLj3EES5_S5_.has_recursion, 0
	.set _ZL33flash_attn_stream_k_fixup_uniformILi512ELi2ELi4EEvPfPK15HIP_vector_typeIfLj2EEiiiiiiS1_IjLj3EES5_S5_.has_indirect_call, 0
	.section	.AMDGPU.csdata,"",@progbits
; Kernel info:
; codeLenInByte = 836
; TotalNumSgprs: 30
; NumVgprs: 17
; NumAgprs: 0
; TotalNumVgprs: 17
; ScratchSize: 0
; MemoryBound: 0
; FloatMode: 240
; IeeeMode: 1
; LDSByteSize: 0 bytes/workgroup (compile time only)
; SGPRBlocks: 3
; VGPRBlocks: 2
; NumSGPRsForWavesPerEU: 30
; NumVGPRsForWavesPerEU: 17
; AccumOffset: 20
; Occupancy: 8
; WaveLimiterHint : 0
; COMPUTE_PGM_RSRC2:SCRATCH_EN: 0
; COMPUTE_PGM_RSRC2:USER_SGPR: 2
; COMPUTE_PGM_RSRC2:TRAP_HANDLER: 0
; COMPUTE_PGM_RSRC2:TGID_X_EN: 1
; COMPUTE_PGM_RSRC2:TGID_Y_EN: 1
; COMPUTE_PGM_RSRC2:TGID_Z_EN: 1
; COMPUTE_PGM_RSRC2:TIDIG_COMP_CNT: 0
; COMPUTE_PGM_RSRC3_GFX90A:ACCUM_OFFSET: 4
; COMPUTE_PGM_RSRC3_GFX90A:TG_SPLIT: 0
	.section	.text._ZL33flash_attn_stream_k_fixup_generalILi512ELi2ELi4EEvPfPK15HIP_vector_typeIfLj2EEiiiiS1_IjLj3EES5_S5_S5_,"axG",@progbits,_ZL33flash_attn_stream_k_fixup_generalILi512ELi2ELi4EEvPfPK15HIP_vector_typeIfLj2EEiiiiS1_IjLj3EES5_S5_S5_,comdat
	.globl	_ZL33flash_attn_stream_k_fixup_generalILi512ELi2ELi4EEvPfPK15HIP_vector_typeIfLj2EEiiiiS1_IjLj3EES5_S5_S5_ ; -- Begin function _ZL33flash_attn_stream_k_fixup_generalILi512ELi2ELi4EEvPfPK15HIP_vector_typeIfLj2EEiiiiS1_IjLj3EES5_S5_S5_
	.p2align	8
	.type	_ZL33flash_attn_stream_k_fixup_generalILi512ELi2ELi4EEvPfPK15HIP_vector_typeIfLj2EEiiiiS1_IjLj3EES5_S5_S5_,@function
_ZL33flash_attn_stream_k_fixup_generalILi512ELi2ELi4EEvPfPK15HIP_vector_typeIfLj2EEiiiiS1_IjLj3EES5_S5_S5_: ; @_ZL33flash_attn_stream_k_fixup_generalILi512ELi2ELi4EEvPfPK15HIP_vector_typeIfLj2EEiiiiS1_IjLj3EES5_S5_S5_
; %bb.0:
	s_load_dwordx4 s[8:11], s[0:1], 0x10
	s_load_dword s22, s[0:1], 0x50
	s_mov_b32 s12, 0
	s_waitcnt lgkmcnt(0)
	s_mul_hi_i32 s13, s11, s2
	s_cmp_lg_u64 s[12:13], 0
	s_mul_i32 s5, s11, s2
	s_cbranch_scc0 .LBB22_20
; %bb.1:
	s_add_u32 s6, s22, 0
	s_addc_u32 s7, 0, 0
	s_xor_b64 s[6:7], s[6:7], 0
	v_cvt_f32_u32_e32 v1, s6
	v_cvt_f32_u32_e32 v2, s7
	s_sub_u32 s12, 0, s6
	s_subb_u32 s18, 0, s7
	v_fmamk_f32 v1, v2, 0x4f800000, v1
	v_rcp_f32_e32 v1, v1
	s_nop 0
	v_mul_f32_e32 v1, 0x5f7ffffc, v1
	v_mul_f32_e32 v2, 0x2f800000, v1
	v_trunc_f32_e32 v2, v2
	v_fmamk_f32 v1, v2, 0xcf800000, v1
	v_cvt_u32_f32_e32 v2, v2
	v_cvt_u32_f32_e32 v1, v1
	v_readfirstlane_b32 s19, v2
	v_readfirstlane_b32 s14, v1
	s_mul_i32 s15, s12, s19
	s_mul_hi_u32 s21, s12, s14
	s_mul_i32 s20, s18, s14
	s_add_i32 s15, s21, s15
	s_add_i32 s15, s15, s20
	s_mul_i32 s23, s12, s14
	s_mul_i32 s21, s14, s15
	s_mul_hi_u32 s24, s14, s23
	s_mul_hi_u32 s20, s14, s15
	s_add_u32 s21, s24, s21
	s_addc_u32 s20, 0, s20
	s_mul_hi_u32 s25, s19, s23
	s_mul_i32 s23, s19, s23
	s_add_u32 s21, s21, s23
	s_mul_hi_u32 s24, s19, s15
	s_addc_u32 s20, s20, s25
	s_addc_u32 s21, s24, 0
	s_mul_i32 s15, s19, s15
	s_add_u32 s15, s20, s15
	s_addc_u32 s20, 0, s21
	s_add_u32 s21, s14, s15
	s_cselect_b64 s[14:15], -1, 0
	s_cmp_lg_u64 s[14:15], 0
	s_addc_u32 s19, s19, s20
	s_mul_i32 s14, s12, s19
	s_mul_hi_u32 s15, s12, s21
	s_add_i32 s14, s15, s14
	s_mul_i32 s18, s18, s21
	s_add_i32 s14, s14, s18
	s_mul_i32 s12, s12, s21
	s_mul_hi_u32 s18, s19, s12
	s_mul_i32 s20, s19, s12
	s_mul_i32 s24, s21, s14
	s_mul_hi_u32 s12, s21, s12
	s_mul_hi_u32 s23, s21, s14
	s_add_u32 s12, s12, s24
	s_addc_u32 s23, 0, s23
	s_add_u32 s12, s12, s20
	s_mul_hi_u32 s15, s19, s14
	s_addc_u32 s12, s23, s18
	s_addc_u32 s15, s15, 0
	s_mul_i32 s14, s19, s14
	s_add_u32 s12, s12, s14
	s_addc_u32 s18, 0, s15
	s_add_u32 s20, s21, s12
	s_cselect_b64 s[14:15], -1, 0
	s_cmp_lg_u64 s[14:15], 0
	s_addc_u32 s18, s19, s18
	s_ashr_i32 s14, s13, 31
	s_add_u32 s12, s5, s14
	s_mov_b32 s15, s14
	s_addc_u32 s13, s13, s14
	s_xor_b64 s[12:13], s[12:13], s[14:15]
	s_mul_i32 s21, s12, s18
	s_mul_hi_u32 s23, s12, s20
	s_mul_hi_u32 s19, s12, s18
	s_add_u32 s21, s23, s21
	s_addc_u32 s19, 0, s19
	s_mul_hi_u32 s24, s13, s20
	s_mul_i32 s20, s13, s20
	s_add_u32 s20, s21, s20
	s_mul_hi_u32 s23, s13, s18
	s_addc_u32 s19, s19, s24
	s_addc_u32 s20, s23, 0
	s_mul_i32 s18, s13, s18
	s_add_u32 s23, s19, s18
	s_addc_u32 s24, 0, s20
	s_mul_i32 s18, s6, s24
	s_mul_hi_u32 s19, s6, s23
	s_add_i32 s18, s19, s18
	s_mul_i32 s19, s7, s23
	s_add_i32 s25, s18, s19
	s_sub_i32 s20, s13, s25
	s_mul_i32 s18, s6, s23
	s_sub_u32 s12, s12, s18
	s_cselect_b64 s[18:19], -1, 0
	s_cmp_lg_u64 s[18:19], 0
	s_subb_u32 s26, s20, s7
	s_sub_u32 s27, s12, s6
	s_cselect_b64 s[20:21], -1, 0
	s_cmp_lg_u64 s[20:21], 0
	s_subb_u32 s20, s26, 0
	s_cmp_ge_u32 s20, s7
	s_cselect_b32 s21, -1, 0
	s_cmp_ge_u32 s27, s6
	s_cselect_b32 s26, -1, 0
	s_cmp_eq_u32 s20, s7
	s_cselect_b32 s20, s26, s21
	s_add_u32 s21, s23, 1
	s_addc_u32 s26, s24, 0
	s_add_u32 s27, s23, 2
	s_addc_u32 s28, s24, 0
	s_cmp_lg_u32 s20, 0
	s_cselect_b32 s20, s27, s21
	s_cselect_b32 s21, s28, s26
	s_cmp_lg_u64 s[18:19], 0
	s_subb_u32 s13, s13, s25
	s_cmp_ge_u32 s13, s7
	s_cselect_b32 s18, -1, 0
	s_cmp_ge_u32 s12, s6
	s_cselect_b32 s6, -1, 0
	s_cmp_eq_u32 s13, s7
	s_cselect_b32 s6, s6, s18
	s_cmp_lg_u32 s6, 0
	s_cselect_b32 s7, s21, s24
	s_cselect_b32 s6, s20, s23
	s_xor_b64 s[12:13], s[14:15], 0
	s_xor_b64 s[6:7], s[6:7], s[12:13]
	s_sub_u32 s6, s6, s12
	s_load_dwordx4 s[12:15], s[0:1], 0x44
	s_cbranch_execnz .LBB22_3
.LBB22_2:
	v_cvt_f32_u32_e32 v1, s22
	s_sub_i32 s6, 0, s22
	v_rcp_iflag_f32_e32 v1, v1
	s_nop 0
	v_mul_f32_e32 v1, 0x4f7ffffe, v1
	v_cvt_u32_f32_e32 v1, v1
	s_nop 0
	v_readfirstlane_b32 s7, v1
	s_mul_i32 s6, s6, s7
	s_mul_hi_u32 s6, s7, s6
	s_add_i32 s7, s7, s6
	s_mul_hi_u32 s6, s5, s7
	s_waitcnt lgkmcnt(0)
	s_mul_i32 s15, s6, s22
	s_sub_i32 s5, s5, s15
	s_add_i32 s7, s6, 1
	s_sub_i32 s15, s5, s22
	s_cmp_ge_u32 s5, s22
	s_cselect_b32 s6, s7, s6
	s_cselect_b32 s5, s15, s5
	s_add_i32 s7, s6, 1
	s_cmp_ge_u32 s5, s22
	s_cselect_b32 s6, s7, s6
.LBB22_3:
	s_add_i32 s5, s2, 1
	s_mul_hi_i32 s21, s11, s5
	s_mov_b32 s20, 0
	s_cmp_lg_u64 s[20:21], 0
	s_mul_i32 s5, s11, s5
	s_cbranch_scc0 .LBB22_21
; %bb.4:
	s_add_u32 s16, s22, 0
	s_addc_u32 s17, 0, 0
	s_xor_b64 s[18:19], s[16:17], 0
	v_cvt_f32_u32_e32 v1, s18
	v_cvt_f32_u32_e32 v2, s19
	s_sub_u32 s7, 0, s18
	s_waitcnt lgkmcnt(0)
	s_subb_u32 s15, 0, s19
	v_fmamk_f32 v1, v2, 0x4f800000, v1
	v_rcp_f32_e32 v1, v1
	s_nop 0
	v_mul_f32_e32 v1, 0x5f7ffffc, v1
	v_mul_f32_e32 v2, 0x2f800000, v1
	v_trunc_f32_e32 v2, v2
	v_fmamk_f32 v1, v2, 0xcf800000, v1
	v_cvt_u32_f32_e32 v2, v2
	v_cvt_u32_f32_e32 v1, v1
	v_readfirstlane_b32 s20, v2
	v_readfirstlane_b32 s23, v1
	s_mul_i32 s24, s7, s20
	s_mul_hi_u32 s26, s7, s23
	s_mul_i32 s25, s15, s23
	s_add_i32 s24, s26, s24
	s_add_i32 s24, s24, s25
	s_mul_i32 s27, s7, s23
	s_mul_i32 s26, s23, s24
	s_mul_hi_u32 s28, s23, s27
	s_mul_hi_u32 s25, s23, s24
	s_add_u32 s26, s28, s26
	s_addc_u32 s25, 0, s25
	s_mul_hi_u32 s29, s20, s27
	s_mul_i32 s27, s20, s27
	s_add_u32 s26, s26, s27
	s_mul_hi_u32 s28, s20, s24
	s_addc_u32 s25, s25, s29
	s_addc_u32 s26, s28, 0
	s_mul_i32 s24, s20, s24
	s_add_u32 s24, s25, s24
	s_addc_u32 s26, 0, s26
	s_add_u32 s23, s23, s24
	s_cselect_b64 s[24:25], -1, 0
	s_cmp_lg_u64 s[24:25], 0
	s_addc_u32 s20, s20, s26
	s_mul_i32 s24, s7, s20
	s_mul_hi_u32 s25, s7, s23
	s_add_i32 s24, s25, s24
	s_mul_i32 s15, s15, s23
	s_add_i32 s24, s24, s15
	s_mul_i32 s7, s7, s23
	s_mul_hi_u32 s25, s20, s7
	s_mul_i32 s26, s20, s7
	s_mul_i32 s28, s23, s24
	s_mul_hi_u32 s7, s23, s7
	s_mul_hi_u32 s27, s23, s24
	s_add_u32 s7, s7, s28
	s_addc_u32 s27, 0, s27
	s_add_u32 s7, s7, s26
	s_mul_hi_u32 s15, s20, s24
	s_addc_u32 s7, s27, s25
	s_addc_u32 s15, s15, 0
	s_mul_i32 s24, s20, s24
	s_add_u32 s7, s7, s24
	s_addc_u32 s15, 0, s15
	s_add_u32 s7, s23, s7
	s_cselect_b64 s[24:25], -1, 0
	s_cmp_lg_u64 s[24:25], 0
	s_addc_u32 s15, s20, s15
	s_ashr_i32 s24, s21, 31
	s_add_u32 s20, s5, s24
	s_mov_b32 s25, s24
	s_addc_u32 s21, s21, s24
	s_xor_b64 s[20:21], s[20:21], s[24:25]
	s_mul_i32 s26, s20, s15
	s_mul_hi_u32 s27, s20, s7
	s_mul_hi_u32 s23, s20, s15
	s_add_u32 s26, s27, s26
	s_addc_u32 s23, 0, s23
	s_mul_hi_u32 s28, s21, s7
	s_mul_i32 s7, s21, s7
	s_add_u32 s7, s26, s7
	s_mul_hi_u32 s27, s21, s15
	s_addc_u32 s7, s23, s28
	s_addc_u32 s23, s27, 0
	s_mul_i32 s15, s21, s15
	s_add_u32 s7, s7, s15
	s_addc_u32 s15, 0, s23
	s_mul_i32 s23, s18, s15
	s_mul_hi_u32 s26, s18, s7
	s_add_i32 s23, s26, s23
	s_mul_i32 s26, s19, s7
	s_add_i32 s23, s23, s26
	s_sub_i32 s28, s21, s23
	s_mul_i32 s26, s18, s7
	s_sub_u32 s20, s20, s26
	s_cselect_b64 s[26:27], -1, 0
	s_cmp_lg_u64 s[26:27], 0
	s_subb_u32 s30, s28, s19
	s_sub_u32 s31, s20, s18
	s_cselect_b64 s[28:29], -1, 0
	s_cmp_lg_u64 s[28:29], 0
	s_subb_u32 s28, s30, 0
	s_cmp_ge_u32 s28, s19
	s_cselect_b32 s29, -1, 0
	s_cmp_ge_u32 s31, s18
	s_cselect_b32 s30, -1, 0
	s_cmp_eq_u32 s28, s19
	s_cselect_b32 s28, s30, s29
	s_add_u32 s29, s7, 1
	s_addc_u32 s30, s15, 0
	s_add_u32 s31, s7, 2
	s_addc_u32 s33, s15, 0
	s_cmp_lg_u32 s28, 0
	s_cselect_b32 s28, s31, s29
	s_cselect_b32 s29, s33, s30
	s_cmp_lg_u64 s[26:27], 0
	s_subb_u32 s21, s21, s23
	s_cmp_ge_u32 s21, s19
	s_cselect_b32 s23, -1, 0
	s_cmp_ge_u32 s20, s18
	s_cselect_b32 s18, -1, 0
	s_cmp_eq_u32 s21, s19
	s_cselect_b32 s18, s18, s23
	s_cmp_lg_u32 s18, 0
	s_cselect_b32 s19, s29, s15
	s_cselect_b32 s18, s28, s7
	s_xor_b64 s[20:21], s[24:25], 0
	s_xor_b64 s[18:19], s[18:19], s[20:21]
	s_sub_u32 s18, s18, s20
	s_cbranch_execnz .LBB22_6
.LBB22_5:
	v_cvt_f32_u32_e32 v1, s22
	s_sub_i32 s7, 0, s22
	v_rcp_iflag_f32_e32 v1, v1
	s_nop 0
	v_mul_f32_e32 v1, 0x4f7ffffe, v1
	v_cvt_u32_f32_e32 v1, v1
	s_waitcnt lgkmcnt(0)
	v_readfirstlane_b32 s15, v1
	s_mul_i32 s7, s7, s15
	s_mul_hi_u32 s7, s15, s7
	s_add_i32 s15, s15, s7
	s_mul_hi_u32 s7, s5, s15
	s_mul_i32 s16, s7, s22
	s_sub_i32 s5, s5, s16
	s_add_i32 s15, s7, 1
	s_sub_i32 s16, s5, s22
	s_cmp_ge_u32 s5, s22
	s_cselect_b32 s7, s15, s7
	s_cselect_b32 s5, s16, s5
	s_add_i32 s15, s7, 1
	s_cmp_ge_u32 s5, s22
	s_cselect_b32 s18, s15, s7
.LBB22_6:
	s_cmp_eq_u32 s6, s18
	s_waitcnt lgkmcnt(0)
	s_mul_hi_u32 s5, s6, s12
	s_cselect_b64 s[16:17], -1, 0
	s_add_i32 s5, s5, s6
	s_lshr_b32 s7, s5, s13
	s_mul_i32 s5, s7, s14
	s_cmp_eq_u32 s5, s6
	s_mul_hi_u32 s5, s18, s12
	s_cselect_b64 s[20:21], -1, 0
	s_add_i32 s5, s5, s18
	s_lshr_b32 s5, s5, s13
	s_cmp_eq_u32 s7, s5
	s_mul_i32 s5, s5, s14
	s_cselect_b64 s[24:25], -1, 0
	s_cmp_lg_u32 s5, s18
	s_cselect_b64 s[18:19], -1, 0
	s_and_b64 s[18:19], s[24:25], s[18:19]
	s_or_b64 s[16:17], s[16:17], s[20:21]
	s_or_b64 s[16:17], s[16:17], s[18:19]
	s_and_b64 vcc, exec, s[16:17]
	s_cbranch_vccnz .LBB22_23
; %bb.7:
	s_load_dwordx8 s[24:31], s[0:1], 0x20
	s_load_dword s15, s[0:1], 0x40
	s_waitcnt lgkmcnt(0)
	s_mul_hi_u32 s5, s6, s24
	s_add_i32 s5, s5, s6
	s_lshr_b32 s5, s5, s25
	s_mul_i32 s16, s5, s26
	s_sub_i32 s16, s6, s16
	s_mul_hi_u32 s17, s16, s27
	s_add_i32 s17, s16, s17
	s_lshr_b32 s20, s17, s28
	s_mul_i32 s17, s20, s29
	s_sub_i32 s16, s16, s17
	;; [unrolled: 5-line block ×3, first 2 shown]
	s_mul_hi_u32 s16, s15, s12
	s_add_i32 s15, s15, s16
	s_lshr_b32 s23, s15, s13
	s_lshl_b32 s15, s23, 1
	s_lshl_b32 s21, s17, 2
	s_add_i32 s15, s15, s3
	s_cmp_lt_i32 s15, s8
	s_cselect_b64 s[16:17], -1, 0
	s_add_i32 s15, s21, s4
	s_cmp_lt_i32 s15, s10
	s_cselect_b64 s[18:19], -1, 0
	s_and_b64 s[16:17], s[16:17], s[18:19]
	s_andn2_b64 vcc, exec, s[16:17]
	s_cbranch_vccnz .LBB22_23
; %bb.8:
	s_load_dwordx4 s[16:19], s[0:1], 0x0
	s_mov_b32 s0, 0
	s_lshl_b32 s15, s3, 2
	s_lshl_b32 s24, s22, 5
	s_mov_b32 s25, s0
	s_add_i32 s15, s15, s4
	s_waitcnt lgkmcnt(0)
	v_mov_b32_e32 v2, s16
	v_mov_b32_e32 v3, s17
	s_lshl_b64 s[16:17], s[24:25], 2
	s_add_u32 s16, s18, s16
	s_mul_i32 s1, s5, s8
	s_addc_u32 s17, s19, s17
	s_add_i32 s1, s1, s3
	s_mul_i32 s1, s1, s9
	s_mul_i32 s20, s20, s10
	s_add_i32 s1, s1, s4
	s_add_i32 s1, s1, s20
	s_mul_i32 s5, s9, s23
	s_add_i32 s1, s1, s21
	s_lshl_b32 s5, s5, 10
	s_lshl_b32 s1, s1, 9
	s_add_i32 s5, s5, s1
	v_or_b32_e32 v4, s5, v0
	v_ashrrev_i32_e32 v5, 31, v4
	v_lshl_add_u64 v[2:3], v[4:5], 2, v[2:3]
	global_load_dword v1, v[2:3], off
	v_cvt_f32_u32_e32 v4, s22
	s_lshl_b32 s1, s2, 3
	s_add_i32 s4, s15, s1
	s_ashr_i32 s5, s4, 31
	s_lshl_b64 s[4:5], s[4:5], 3
	v_rcp_iflag_f32_e32 v4, v4
	s_add_u32 s4, s18, s4
	s_addc_u32 s5, s19, s5
	s_load_dwordx2 s[4:5], s[4:5], 0x0
	v_mul_f32_e32 v4, 0x4f7ffffe, v4
	v_cvt_u32_f32_e32 v7, v4
	s_add_i32 s24, s2, -1
	v_lshl_or_b32 v6, s15, 9, v0
	s_waitcnt lgkmcnt(0)
	v_mov_b32_e32 v0, s5
	v_mov_b32_e32 v9, s4
	s_mov_b32 s10, 0x3fb8aa3b
	s_mov_b32 s20, 0xc2ce8ed0
	s_mov_b32 s21, 0x42b17218
	s_mov_b32 s23, 0xc1a00000
	v_mov_b32_e32 v8, 0x7f800000
	s_mul_hi_i32 s1, s24, s11
	s_cmp_lg_u64 s[0:1], 0
	s_mul_i32 s8, s24, s11
	s_cbranch_scc0 .LBB22_19
.LBB22_9:
	s_add_u32 s2, s22, 0
	s_addc_u32 s3, 0, 0
	s_xor_b64 s[2:3], s[2:3], 0
	v_cvt_f32_u32_e32 v4, s2
	v_cvt_f32_u32_e32 v5, s3
	s_sub_u32 s9, 0, s2
	s_subb_u32 s25, 0, s3
	v_fmac_f32_e32 v4, 0x4f800000, v5
	v_rcp_f32_e32 v4, v4
	s_nop 0
	v_mul_f32_e32 v4, 0x5f7ffffc, v4
	v_mul_f32_e32 v5, 0x2f800000, v4
	v_trunc_f32_e32 v5, v5
	v_fmac_f32_e32 v4, 0xcf800000, v5
	v_cvt_u32_f32_e32 v5, v5
	v_cvt_u32_f32_e32 v4, v4
	v_readfirstlane_b32 s26, v5
	v_readfirstlane_b32 s4, v4
	s_mul_i32 s5, s9, s26
	s_mul_hi_u32 s28, s9, s4
	s_mul_i32 s27, s25, s4
	s_add_i32 s5, s28, s5
	s_mul_i32 s29, s9, s4
	s_add_i32 s5, s5, s27
	s_mul_i32 s28, s4, s5
	s_mul_hi_u32 s30, s4, s29
	s_mul_hi_u32 s27, s4, s5
	s_add_u32 s28, s30, s28
	s_addc_u32 s27, 0, s27
	s_mul_hi_u32 s31, s26, s29
	s_mul_i32 s29, s26, s29
	s_add_u32 s28, s28, s29
	s_mul_hi_u32 s30, s26, s5
	s_addc_u32 s27, s27, s31
	s_addc_u32 s28, s30, 0
	s_mul_i32 s5, s26, s5
	s_add_u32 s5, s27, s5
	s_addc_u32 s27, 0, s28
	s_add_u32 s28, s4, s5
	s_cselect_b64 s[4:5], -1, 0
	s_cmp_lg_u64 s[4:5], 0
	s_addc_u32 s26, s26, s27
	s_mul_i32 s4, s9, s26
	s_mul_hi_u32 s5, s9, s28
	s_add_i32 s4, s5, s4
	s_mul_i32 s25, s25, s28
	s_add_i32 s4, s4, s25
	s_mul_i32 s9, s9, s28
	s_mul_hi_u32 s25, s26, s9
	s_mul_i32 s27, s26, s9
	s_mul_i32 s30, s28, s4
	s_mul_hi_u32 s9, s28, s9
	s_mul_hi_u32 s29, s28, s4
	s_add_u32 s9, s9, s30
	s_addc_u32 s29, 0, s29
	s_add_u32 s9, s9, s27
	s_mul_hi_u32 s5, s26, s4
	s_addc_u32 s9, s29, s25
	s_addc_u32 s5, s5, 0
	s_mul_i32 s4, s26, s4
	s_add_u32 s4, s9, s4
	s_addc_u32 s9, 0, s5
	s_add_u32 s25, s28, s4
	s_cselect_b64 s[4:5], -1, 0
	s_cmp_lg_u64 s[4:5], 0
	s_addc_u32 s9, s26, s9
	s_ashr_i32 s4, s1, 31
	s_add_u32 s26, s8, s4
	s_mov_b32 s5, s4
	s_addc_u32 s27, s1, s4
	s_xor_b64 s[26:27], s[26:27], s[4:5]
	s_mul_i32 s28, s26, s9
	s_mul_hi_u32 s29, s26, s25
	s_mul_hi_u32 s1, s26, s9
	s_add_u32 s28, s29, s28
	s_addc_u32 s1, 0, s1
	s_mul_hi_u32 s30, s27, s25
	s_mul_i32 s25, s27, s25
	s_add_u32 s25, s28, s25
	s_mul_hi_u32 s29, s27, s9
	s_addc_u32 s1, s1, s30
	s_addc_u32 s25, s29, 0
	s_mul_i32 s9, s27, s9
	s_add_u32 s1, s1, s9
	s_addc_u32 s9, 0, s25
	s_mul_i32 s25, s2, s9
	s_mul_hi_u32 s28, s2, s1
	s_add_i32 s25, s28, s25
	s_mul_i32 s28, s3, s1
	s_add_i32 s25, s25, s28
	s_sub_i32 s30, s27, s25
	s_mul_i32 s28, s2, s1
	s_sub_u32 s26, s26, s28
	s_cselect_b64 s[28:29], -1, 0
	s_cmp_lg_u64 s[28:29], 0
	s_subb_u32 s33, s30, s3
	s_sub_u32 s34, s26, s2
	s_cselect_b64 s[30:31], -1, 0
	s_cmp_lg_u64 s[30:31], 0
	s_subb_u32 s30, s33, 0
	s_cmp_ge_u32 s30, s3
	s_cselect_b32 s31, -1, 0
	s_cmp_ge_u32 s34, s2
	s_cselect_b32 s33, -1, 0
	s_cmp_eq_u32 s30, s3
	s_cselect_b32 s30, s33, s31
	s_add_u32 s31, s1, 1
	s_addc_u32 s33, s9, 0
	s_add_u32 s34, s1, 2
	s_addc_u32 s35, s9, 0
	s_cmp_lg_u32 s30, 0
	s_cselect_b32 s30, s34, s31
	s_cselect_b32 s31, s35, s33
	s_cmp_lg_u64 s[28:29], 0
	s_subb_u32 s25, s27, s25
	s_cmp_ge_u32 s25, s3
	s_cselect_b32 s27, -1, 0
	s_cmp_ge_u32 s26, s2
	s_cselect_b32 s2, -1, 0
	s_cmp_eq_u32 s25, s3
	s_cselect_b32 s2, s2, s27
	s_cmp_lg_u32 s2, 0
	s_cselect_b32 s3, s31, s9
	s_cselect_b32 s2, s30, s1
	s_xor_b64 s[4:5], s[4:5], 0
	s_xor_b64 s[2:3], s[2:3], s[4:5]
	s_sub_u32 s4, s2, s4
	s_cbranch_execnz .LBB22_11
.LBB22_10:
	s_sub_i32 s1, 0, s22
	v_readfirstlane_b32 s2, v7
	s_mul_i32 s1, s1, s2
	s_mul_hi_u32 s1, s2, s1
	s_add_i32 s2, s2, s1
	s_mul_hi_u32 s1, s8, s2
	s_mul_i32 s3, s1, s22
	s_sub_i32 s3, s8, s3
	s_add_i32 s2, s1, 1
	s_sub_i32 s4, s3, s22
	s_cmp_ge_u32 s3, s22
	s_cselect_b32 s1, s2, s1
	s_cselect_b32 s3, s4, s3
	s_add_i32 s2, s1, 1
	s_cmp_ge_u32 s3, s22
	s_cselect_b32 s4, s2, s1
.LBB22_11:
	s_cmp_lg_u32 s6, s4
	s_cbranch_scc0 .LBB22_15
; %bb.12:
	s_add_i32 s1, s24, s22
	s_lshl_b32 s1, s1, 3
	s_add_i32 s2, s1, s15
	s_mov_b32 s3, s0
	s_lshl_b64 s[2:3], s[2:3], 3
	s_add_u32 s8, s18, s2
	s_mul_hi_u32 s1, s4, s12
	s_addc_u32 s9, s19, s3
	s_add_i32 s1, s1, s4
	s_lshr_b32 s1, s1, s13
	s_mul_i32 s2, s1, s14
	s_cmp_eq_u32 s2, s4
	s_cselect_b64 s[2:3], -1, 0
	s_cmp_lt_u32 s1, s7
	s_cselect_b64 s[26:27], -1, 0
	s_or_b64 s[26:27], s[26:27], s[2:3]
	s_mov_b64 s[2:3], -1
	s_and_b64 vcc, exec, s[26:27]
	s_mov_b32 s1, s24
	s_mov_b32 s25, s6
	s_cbranch_vccnz .LBB22_14
; %bb.13:
	s_add_i32 s1, s24, -1
	s_mov_b64 s[2:3], 0
	s_mov_b32 s25, s4
.LBB22_14:
	v_lshl_add_u32 v4, s24, 12, v6
	v_ashrrev_i32_e32 v5, 31, v4
	v_lshl_add_u64 v[4:5], v[4:5], 2, s[16:17]
	global_load_dword v5, v[4:5], off
	s_load_dwordx2 s[4:5], s[8:9], 0x0
	v_max_f32_e32 v4, v9, v9
	s_waitcnt lgkmcnt(0)
	v_max_f32_e64 v10, s4, s4
	v_max_f32_e32 v10, v4, v10
	v_sub_f32_e32 v11, v9, v10
	v_sub_f32_e32 v13, s4, v10
	v_mul_f32_e32 v4, 0x3fb8aa3b, v11
	v_mul_f32_e32 v12, 0x3fb8aa3b, v13
	v_fma_f32 v14, v11, s10, -v4
	v_rndne_f32_e32 v15, v4
	v_fma_f32 v16, v13, s10, -v12
	v_rndne_f32_e32 v17, v12
	v_fmac_f32_e32 v14, 0x32a5705f, v11
	v_sub_f32_e32 v4, v4, v15
	v_fmac_f32_e32 v16, 0x32a5705f, v13
	v_sub_f32_e32 v12, v12, v17
	v_add_f32_e32 v4, v4, v14
	v_cvt_i32_f32_e32 v15, v15
	v_add_f32_e32 v12, v12, v16
	v_exp_f32_e32 v14, v4
	v_cvt_i32_f32_e32 v17, v17
	v_exp_f32_e32 v12, v12
	v_cmp_ngt_f32_e32 vcc, s20, v11
	v_ldexp_f32 v14, v14, v15
	v_mov_b32_e32 v4, s5
	v_ldexp_f32 v12, v12, v17
	v_cndmask_b32_e32 v14, 0, v14, vcc
	v_cmp_ngt_f32_e32 vcc, s20, v13
	s_nop 1
	v_cndmask_b32_e32 v12, 0, v12, vcc
	v_cmp_nlt_f32_e32 vcc, s21, v11
	s_nop 1
	v_cndmask_b32_e32 v14, v8, v14, vcc
	v_cmp_nlt_f32_e32 vcc, s21, v13
	s_nop 1
	v_cndmask_b32_e32 v15, v8, v12, vcc
	v_cmp_le_f32_e32 vcc, s23, v11
	s_nop 1
	v_cndmask_b32_e32 v12, 0, v14, vcc
	v_cmp_le_f32_e32 vcc, s23, v13
	s_nop 1
	v_cndmask_b32_e32 v14, 0, v15, vcc
	s_waitcnt vmcnt(0)
	v_pk_mul_f32 v[4:5], v[4:5], v[14:15] op_sel_hi:[1,0]
	s_nop 0
	v_pk_fma_f32 v[4:5], v[0:1], v[12:13], v[4:5] op_sel_hi:[1,0,1]
	s_cbranch_execz .LBB22_16
	s_branch .LBB22_17
.LBB22_15:
                                        ; implicit-def: $vgpr4_vgpr5
                                        ; implicit-def: $sgpr2_sgpr3
                                        ; implicit-def: $vgpr10
                                        ; implicit-def: $sgpr1
                                        ; implicit-def: $sgpr25
.LBB22_16:
	s_add_i32 s1, s24, -1
	s_mov_b64 s[2:3], 0
	s_mov_b32 s25, s6
	v_mov_b32_e32 v10, v9
	s_waitcnt vmcnt(0)
	v_mov_b64_e32 v[4:5], v[0:1]
.LBB22_17:
	s_andn2_b64 vcc, exec, s[2:3]
	s_cbranch_vccz .LBB22_22
; %bb.18:
	s_mov_b32 s6, s25
	s_mov_b32 s24, s1
	v_mov_b32_e32 v9, v10
	s_waitcnt vmcnt(0)
	v_mov_b64_e32 v[0:1], v[4:5]
	s_mul_hi_i32 s1, s24, s11
	s_cmp_lg_u64 s[0:1], 0
	s_mul_i32 s8, s24, s11
	s_cbranch_scc1 .LBB22_9
.LBB22_19:
                                        ; implicit-def: $sgpr4_sgpr5
	s_branch .LBB22_10
.LBB22_20:
                                        ; implicit-def: $sgpr6_sgpr7
	s_load_dwordx4 s[12:15], s[0:1], 0x44
	s_branch .LBB22_2
.LBB22_21:
                                        ; implicit-def: $sgpr18_sgpr19
	s_branch .LBB22_5
.LBB22_22:
	v_div_scale_f32 v0, s[0:1], v4, v4, v5
	s_waitcnt vmcnt(0)
	v_rcp_f32_e32 v1, v0
	v_div_scale_f32 v6, vcc, v5, v4, v5
	v_fma_f32 v7, -v0, v1, 1.0
	v_fmac_f32_e32 v1, v7, v1
	v_mul_f32_e32 v7, v6, v1
	v_fma_f32 v8, -v0, v7, v6
	v_fmac_f32_e32 v7, v8, v1
	v_fma_f32 v0, -v0, v7, v6
	v_div_fmas_f32 v0, v0, v1, v7
	v_div_fixup_f32 v0, v0, v4, v5
	global_store_dword v[2:3], v0, off
.LBB22_23:
	s_endpgm
	.section	.rodata,"a",@progbits
	.p2align	6, 0x0
	.amdhsa_kernel _ZL33flash_attn_stream_k_fixup_generalILi512ELi2ELi4EEvPfPK15HIP_vector_typeIfLj2EEiiiiS1_IjLj3EES5_S5_S5_
		.amdhsa_group_segment_fixed_size 0
		.amdhsa_private_segment_fixed_size 0
		.amdhsa_kernarg_size 336
		.amdhsa_user_sgpr_count 2
		.amdhsa_user_sgpr_dispatch_ptr 0
		.amdhsa_user_sgpr_queue_ptr 0
		.amdhsa_user_sgpr_kernarg_segment_ptr 1
		.amdhsa_user_sgpr_dispatch_id 0
		.amdhsa_user_sgpr_kernarg_preload_length 0
		.amdhsa_user_sgpr_kernarg_preload_offset 0
		.amdhsa_user_sgpr_private_segment_size 0
		.amdhsa_uses_dynamic_stack 0
		.amdhsa_enable_private_segment 0
		.amdhsa_system_sgpr_workgroup_id_x 1
		.amdhsa_system_sgpr_workgroup_id_y 1
		.amdhsa_system_sgpr_workgroup_id_z 1
		.amdhsa_system_sgpr_workgroup_info 0
		.amdhsa_system_vgpr_workitem_id 0
		.amdhsa_next_free_vgpr 18
		.amdhsa_next_free_sgpr 36
		.amdhsa_accum_offset 20
		.amdhsa_reserve_vcc 1
		.amdhsa_float_round_mode_32 0
		.amdhsa_float_round_mode_16_64 0
		.amdhsa_float_denorm_mode_32 3
		.amdhsa_float_denorm_mode_16_64 3
		.amdhsa_dx10_clamp 1
		.amdhsa_ieee_mode 1
		.amdhsa_fp16_overflow 0
		.amdhsa_tg_split 0
		.amdhsa_exception_fp_ieee_invalid_op 0
		.amdhsa_exception_fp_denorm_src 0
		.amdhsa_exception_fp_ieee_div_zero 0
		.amdhsa_exception_fp_ieee_overflow 0
		.amdhsa_exception_fp_ieee_underflow 0
		.amdhsa_exception_fp_ieee_inexact 0
		.amdhsa_exception_int_div_zero 0
	.end_amdhsa_kernel
	.section	.text._ZL33flash_attn_stream_k_fixup_generalILi512ELi2ELi4EEvPfPK15HIP_vector_typeIfLj2EEiiiiS1_IjLj3EES5_S5_S5_,"axG",@progbits,_ZL33flash_attn_stream_k_fixup_generalILi512ELi2ELi4EEvPfPK15HIP_vector_typeIfLj2EEiiiiS1_IjLj3EES5_S5_S5_,comdat
.Lfunc_end22:
	.size	_ZL33flash_attn_stream_k_fixup_generalILi512ELi2ELi4EEvPfPK15HIP_vector_typeIfLj2EEiiiiS1_IjLj3EES5_S5_S5_, .Lfunc_end22-_ZL33flash_attn_stream_k_fixup_generalILi512ELi2ELi4EEvPfPK15HIP_vector_typeIfLj2EEiiiiS1_IjLj3EES5_S5_S5_
                                        ; -- End function
	.set _ZL33flash_attn_stream_k_fixup_generalILi512ELi2ELi4EEvPfPK15HIP_vector_typeIfLj2EEiiiiS1_IjLj3EES5_S5_S5_.num_vgpr, 18
	.set _ZL33flash_attn_stream_k_fixup_generalILi512ELi2ELi4EEvPfPK15HIP_vector_typeIfLj2EEiiiiS1_IjLj3EES5_S5_S5_.num_agpr, 0
	.set _ZL33flash_attn_stream_k_fixup_generalILi512ELi2ELi4EEvPfPK15HIP_vector_typeIfLj2EEiiiiS1_IjLj3EES5_S5_S5_.numbered_sgpr, 36
	.set _ZL33flash_attn_stream_k_fixup_generalILi512ELi2ELi4EEvPfPK15HIP_vector_typeIfLj2EEiiiiS1_IjLj3EES5_S5_S5_.num_named_barrier, 0
	.set _ZL33flash_attn_stream_k_fixup_generalILi512ELi2ELi4EEvPfPK15HIP_vector_typeIfLj2EEiiiiS1_IjLj3EES5_S5_S5_.private_seg_size, 0
	.set _ZL33flash_attn_stream_k_fixup_generalILi512ELi2ELi4EEvPfPK15HIP_vector_typeIfLj2EEiiiiS1_IjLj3EES5_S5_S5_.uses_vcc, 1
	.set _ZL33flash_attn_stream_k_fixup_generalILi512ELi2ELi4EEvPfPK15HIP_vector_typeIfLj2EEiiiiS1_IjLj3EES5_S5_S5_.uses_flat_scratch, 0
	.set _ZL33flash_attn_stream_k_fixup_generalILi512ELi2ELi4EEvPfPK15HIP_vector_typeIfLj2EEiiiiS1_IjLj3EES5_S5_S5_.has_dyn_sized_stack, 0
	.set _ZL33flash_attn_stream_k_fixup_generalILi512ELi2ELi4EEvPfPK15HIP_vector_typeIfLj2EEiiiiS1_IjLj3EES5_S5_S5_.has_recursion, 0
	.set _ZL33flash_attn_stream_k_fixup_generalILi512ELi2ELi4EEvPfPK15HIP_vector_typeIfLj2EEiiiiS1_IjLj3EES5_S5_S5_.has_indirect_call, 0
	.section	.AMDGPU.csdata,"",@progbits
; Kernel info:
; codeLenInByte = 2940
; TotalNumSgprs: 42
; NumVgprs: 18
; NumAgprs: 0
; TotalNumVgprs: 18
; ScratchSize: 0
; MemoryBound: 0
; FloatMode: 240
; IeeeMode: 1
; LDSByteSize: 0 bytes/workgroup (compile time only)
; SGPRBlocks: 5
; VGPRBlocks: 2
; NumSGPRsForWavesPerEU: 42
; NumVGPRsForWavesPerEU: 18
; AccumOffset: 20
; Occupancy: 8
; WaveLimiterHint : 0
; COMPUTE_PGM_RSRC2:SCRATCH_EN: 0
; COMPUTE_PGM_RSRC2:USER_SGPR: 2
; COMPUTE_PGM_RSRC2:TRAP_HANDLER: 0
; COMPUTE_PGM_RSRC2:TGID_X_EN: 1
; COMPUTE_PGM_RSRC2:TGID_Y_EN: 1
; COMPUTE_PGM_RSRC2:TGID_Z_EN: 1
; COMPUTE_PGM_RSRC2:TIDIG_COMP_CNT: 0
; COMPUTE_PGM_RSRC3_GFX90A:ACCUM_OFFSET: 4
; COMPUTE_PGM_RSRC3_GFX90A:TG_SPLIT: 0
	.section	.text._ZL15flash_attn_tileILi512ELi512ELi1ELi4ELb0EEvPKcS1_S1_S1_S1_PKiPfP15HIP_vector_typeIfLj2EEffffjfiS5_IjLj3EEiiiiiiiiiiiliiliiiiil,"axG",@progbits,_ZL15flash_attn_tileILi512ELi512ELi1ELi4ELb0EEvPKcS1_S1_S1_S1_PKiPfP15HIP_vector_typeIfLj2EEffffjfiS5_IjLj3EEiiiiiiiiiiiliiliiiiil,comdat
	.globl	_ZL15flash_attn_tileILi512ELi512ELi1ELi4ELb0EEvPKcS1_S1_S1_S1_PKiPfP15HIP_vector_typeIfLj2EEffffjfiS5_IjLj3EEiiiiiiiiiiiliiliiiiil ; -- Begin function _ZL15flash_attn_tileILi512ELi512ELi1ELi4ELb0EEvPKcS1_S1_S1_S1_PKiPfP15HIP_vector_typeIfLj2EEffffjfiS5_IjLj3EEiiiiiiiiiiiliiliiiiil
	.p2align	8
	.type	_ZL15flash_attn_tileILi512ELi512ELi1ELi4ELb0EEvPKcS1_S1_S1_S1_PKiPfP15HIP_vector_typeIfLj2EEffffjfiS5_IjLj3EEiiiiiiiiiiiliiliiiiil,@function
_ZL15flash_attn_tileILi512ELi512ELi1ELi4ELb0EEvPKcS1_S1_S1_S1_PKiPfP15HIP_vector_typeIfLj2EEffffjfiS5_IjLj3EEiiiiiiiiiiiliiliiiiil: ; @_ZL15flash_attn_tileILi512ELi512ELi1ELi4ELb0EEvPKcS1_S1_S1_S1_PKiPfP15HIP_vector_typeIfLj2EEffffjfiS5_IjLj3EEiiiiiiiiiiiliiliiiiil
; %bb.0:
	s_load_dwordx4 s[20:23], s[0:1], 0x5c
	s_load_dwordx2 s[28:29], s[0:1], 0x80
	s_load_dwordx2 s[34:35], s[0:1], 0xb8
	s_mov_b64 s[30:31], 0
	s_waitcnt lgkmcnt(0)
	s_ashr_i32 s5, s23, 31
	s_lshr_b32 s5, s5, 30
	s_add_i32 s5, s23, s5
	s_ashr_i32 s5, s5, 2
	v_cvt_f32_u32_e32 v1, s5
	s_sub_i32 s6, 0, s5
	v_rcp_iflag_f32_e32 v1, v1
	s_nop 0
	v_mul_f32_e32 v1, 0x4f7ffffe, v1
	v_cvt_u32_f32_e32 v1, v1
	s_nop 0
	v_readfirstlane_b32 s7, v1
	s_mul_i32 s6, s6, s7
	s_mul_hi_u32 s6, s7, s6
	s_add_i32 s7, s7, s6
	s_mul_hi_u32 s6, s4, s7
	s_mul_i32 s7, s6, s5
	s_sub_i32 s7, s4, s7
	s_add_i32 s8, s6, 1
	s_sub_i32 s9, s7, s5
	s_cmp_ge_u32 s7, s5
	s_cselect_b32 s6, s8, s6
	s_cselect_b32 s7, s9, s7
	s_add_i32 s8, s6, 1
	s_cmp_ge_u32 s7, s5
	s_cselect_b32 s33, s8, s6
	s_abs_i32 s5, s29
	v_cvt_f32_u32_e32 v1, s5
	s_lshl_b32 s4, s4, 2
	s_mul_i32 s8, s33, s23
	s_xor_b32 s6, s23, s29
	v_rcp_iflag_f32_e32 v1, v1
	s_sub_i32 s9, 0, s5
	s_sub_i32 s29, s4, s8
	s_abs_i32 s7, s23
	v_mul_f32_e32 v1, 0x4f7ffffe, v1
	v_cvt_u32_f32_e32 v1, v1
	s_ashr_i32 s6, s6, 31
	v_readfirstlane_b32 s4, v1
	s_mul_i32 s9, s9, s4
	s_mul_hi_u32 s8, s4, s9
	s_add_i32 s4, s4, s8
	s_mul_hi_u32 s4, s7, s4
	s_mul_i32 s8, s4, s5
	s_sub_i32 s7, s7, s8
	s_add_i32 s9, s4, 1
	s_sub_i32 s8, s7, s5
	s_cmp_ge_u32 s7, s5
	s_cselect_b32 s4, s9, s4
	s_cselect_b32 s7, s8, s7
	s_add_i32 s8, s4, 1
	s_cmp_ge_u32 s7, s5
	s_cselect_b32 s4, s8, s4
	s_xor_b32 s4, s4, s6
	s_sub_i32 s37, s4, s6
	s_abs_i32 s36, s37
	v_cvt_f32_u32_e32 v1, s36
	s_load_dwordx16 s[4:19], s[0:1], 0x0
	v_rcp_iflag_f32_e32 v1, v1
	s_waitcnt lgkmcnt(0)
	s_cmp_eq_u64 s[10:11], 0
	v_mul_f32_e32 v1, 0x4f7ffffe, v1
	v_cvt_u32_f32_e32 v1, v1
	s_nop 0
	v_readfirstlane_b32 s38, v1
	s_cbranch_scc1 .LBB23_2
; %bb.1:
	s_abs_i32 s26, s34
	v_cvt_f32_u32_e32 v1, s26
	s_sub_i32 s31, 0, s26
	s_abs_i32 s30, s33
	s_ashr_i32 s27, s33, 31
	v_rcp_iflag_f32_e32 v1, v1
	s_load_dwordx2 s[24:25], s[0:1], 0xc8
	v_mul_f32_e32 v1, 0x4f7ffffe, v1
	v_cvt_u32_f32_e32 v1, v1
	s_nop 0
	v_readfirstlane_b32 s34, v1
	s_mul_i32 s31, s31, s34
	s_mul_hi_u32 s31, s34, s31
	s_add_i32 s34, s34, s31
	s_mul_hi_u32 s31, s30, s34
	s_mul_i32 s31, s31, s26
	s_sub_i32 s30, s30, s31
	s_sub_i32 s31, s30, s26
	s_cmp_ge_u32 s30, s26
	s_cselect_b32 s30, s31, s30
	s_sub_i32 s31, s30, s26
	s_cmp_ge_u32 s30, s26
	s_cselect_b32 s26, s31, s30
	s_xor_b32 s26, s26, s27
	s_sub_i32 s26, s26, s27
	s_ashr_i32 s27, s26, 31
	s_waitcnt lgkmcnt(0)
	s_mul_hi_u32 s30, s24, s26
	s_mul_i32 s27, s24, s27
	s_mul_i32 s25, s25, s26
	s_add_i32 s27, s30, s27
	s_add_i32 s27, s27, s25
	s_mul_i32 s24, s24, s26
	s_add_u32 s30, s10, s24
	s_addc_u32 s31, s11, s27
.LBB23_2:
	s_load_dwordx4 s[24:27], s[0:1], 0x70
	v_bfe_u32 v38, v0, 10, 2
	v_lshrrev_b32_e32 v1, 10, v0
	v_bfe_u32 v1, v1, 2, 8
	s_waitcnt lgkmcnt(0)
	s_mul_i32 s10, s33, s26
	s_ashr_i32 s26, s10, 31
	s_mul_i32 s11, s29, s25
	s_add_u32 s4, s4, s10
	s_addc_u32 s5, s5, s26
	s_ashr_i32 s10, s11, 31
	s_add_u32 s4, s4, s11
	s_addc_u32 s5, s5, s10
	s_ashr_i32 s11, s25, 31
	s_mov_b32 s10, s25
	s_lshr_b64 s[26:27], s[10:11], 2
	s_lshr_b32 s25, s11, 2
	v_mad_u64_u32 v[4:5], s[10:11], s26, v38, 0
	v_mov_b32_e32 v2, v5
	v_mad_u64_u32 v[2:3], s[10:11], s25, v38, v[2:3]
	v_add_u32_e32 v3, s2, v1
	v_mul_hi_u32 v1, s20, v3
	v_add_u32_e32 v1, v3, v1
	v_lshrrev_b32_e32 v1, s21, v1
	v_mul_lo_u32 v1, v1, s22
	s_ashr_i32 s25, s24, 31
	v_sub_u32_e32 v12, v3, v1
	s_lshr_b64 s[10:11], s[24:25], 2
	v_mad_u64_u32 v[6:7], s[10:11], s10, v12, 0
	v_mov_b32_e32 v5, v2
	v_mov_b32_e32 v2, v7
	s_lshr_b32 s10, s25, 2
	v_mad_u64_u32 v[8:9], s[10:11], s10, v12, v[2:3]
	v_mov_b32_e32 v7, v8
	v_and_b32_e32 v2, 0x3ff, v0
	v_lshl_add_u64 v[4:5], v[4:5], 2, s[4:5]
	v_mov_b32_e32 v9, 0
	v_lshl_add_u64 v[4:5], v[6:7], 2, v[4:5]
	v_lshlrev_b32_e32 v8, 4, v2
	v_lshl_add_u64 v[14:15], v[4:5], 0, v[8:9]
	global_load_dwordx4 v[4:7], v[14:15], off
	global_load_dwordx4 v[8:11], v[14:15], off offset:512
	global_load_dwordx4 v[16:19], v[14:15], off offset:1024
	;; [unrolled: 1-line block ×3, first 2 shown]
	s_load_dword s4, s[0:1], 0x40
	v_bfe_u32 v0, v0, 10, 10
	v_lshlrev_b32_e32 v15, 10, v0
	v_lshlrev_b32_e32 v40, 3, v2
	v_add_u32_e32 v41, 0x2400, v15
	v_add_u32_e32 v1, v41, v40
	s_cmp_eq_u64 s[14:15], 0
	s_waitcnt vmcnt(3) lgkmcnt(0)
	v_fma_mixlo_f16 v4, s4, v4, 0
	v_fma_mixlo_f16 v5, s4, v5, 0
	v_fma_mixlo_f16 v6, s4, v6, 0
	v_fma_mixlo_f16 v7, s4, v7, 0
	s_waitcnt vmcnt(2)
	v_fma_mixlo_f16 v8, s4, v8, 0
	v_fma_mixlo_f16 v9, s4, v9, 0
	v_fma_mixlo_f16 v10, s4, v10, 0
	v_fma_mixlo_f16 v11, s4, v11, 0
	s_waitcnt vmcnt(1)
	;; [unrolled: 5-line block ×3, first 2 shown]
	v_fma_mixlo_f16 v18, s4, v20, 0
	v_fma_mixlo_f16 v19, s4, v21, 0
	v_lshlrev_b32_e32 v5, 16, v5
	v_and_b32_e32 v4, 0xffff, v4
	v_lshlrev_b32_e32 v7, 16, v7
	v_and_b32_e32 v6, 0xffff, v6
	;; [unrolled: 2-line block ×3, first 2 shown]
	v_fma_mixlo_f16 v20, s4, v22, 0
	v_fma_mixlo_f16 v21, s4, v23, 0
	v_lshlrev_b32_e32 v11, 16, v11
	v_and_b32_e32 v10, 0xffff, v10
	v_lshlrev_b32_e32 v14, 16, v14
	v_and_b32_e32 v13, 0xffff, v13
	;; [unrolled: 2-line block ×3, first 2 shown]
	v_or_b32_e32 v4, v5, v4
	v_or3_b32 v5, v7, v6, 0
	v_or_b32_e32 v6, v9, v8
	v_lshlrev_b32_e32 v17, 16, v17
	v_and_b32_e32 v16, 0xffff, v16
	v_lshlrev_b32_e32 v21, 16, v21
	v_and_b32_e32 v20, 0xffff, v20
	v_or3_b32 v7, v11, v10, 0
	v_or_b32_e32 v8, v14, v13
	v_or_b32_e32 v10, v19, v18
	v_or3_b32 v4, 0, 0, v4
	v_or3_b32 v6, 0, 0, v6
	;; [unrolled: 1-line block ×6, first 2 shown]
	ds_write2_b64 v1, v[4:5], v[6:7] offset1:32
	ds_write2_b64 v1, v[8:9], v[10:11] offset0:64 offset1:96
	s_waitcnt lgkmcnt(0)
	s_barrier
	s_cbranch_scc1 .LBB23_4
; %bb.3:
	s_load_dword s4, s[0:1], 0xd0
	s_mov_b32 s5, 0
	s_waitcnt lgkmcnt(0)
	s_mul_i32 s4, s4, s33
	s_add_i32 s4, s4, s2
	s_lshl_b64 s[4:5], s[4:5], 2
	s_add_u32 s4, s14, s4
	s_addc_u32 s5, s15, s5
	s_load_dword s28, s[4:5], 0x0
.LBB23_4:
	s_lshl_b32 s2, s3, 6
	v_lshlrev_b32_e32 v39, 2, v2
	s_waitcnt lgkmcnt(0)
	s_cmp_lt_i32 s2, s28
	v_mbcnt_lo_u32_b32 v16, -1, 0
	s_cbranch_scc1 .LBB23_7
; %bb.5:
	v_mbcnt_hi_u32_b32 v13, -1, v16
	v_and_b32_e32 v1, 0x60, v13
	v_add_u32_e32 v42, 32, v1
	v_xor_b32_e32 v47, 16, v13
	v_xor_b32_e32 v46, 8, v13
	;; [unrolled: 1-line block ×5, first 2 shown]
	s_cbranch_execz .LBB23_8
; %bb.6:
	v_mov_b32_e32 v67, 0
	v_mov_b32_e32 v72, 0
	;; [unrolled: 1-line block ×10, first 2 shown]
	s_branch .LBB23_10
.LBB23_7:
                                        ; implicit-def: $vgpr13
                                        ; implicit-def: $vgpr42
                                        ; implicit-def: $vgpr47
                                        ; implicit-def: $vgpr46
                                        ; implicit-def: $vgpr45
                                        ; implicit-def: $vgpr43
                                        ; implicit-def: $vgpr44
.LBB23_8:
	s_sub_i32 s4, 0, s36
	s_mul_i32 s4, s4, s38
	s_mul_hi_u32 s4, s38, s4
	s_add_i32 s38, s38, s4
	s_load_dwordx2 s[4:5], s[0:1], 0x8c
	s_load_dwordx4 s[24:27], s[0:1], 0x98
	s_abs_i32 s14, s29
	s_mul_hi_u32 s15, s14, s38
	s_ashr_i32 s34, s29, 31
	s_waitcnt lgkmcnt(0)
	s_ashr_i32 s11, s4, 2
	s_ashr_i32 s4, s33, 31
	s_mul_hi_u32 s38, s24, s33
	s_mul_i32 s39, s24, s4
	s_add_i32 s38, s38, s39
	s_mul_i32 s25, s25, s33
	s_ashr_i32 s37, s37, 31
	s_ashr_i32 s10, s26, 2
	;; [unrolled: 1-line block ×3, first 2 shown]
	s_add_i32 s38, s38, s25
	s_mul_i32 s24, s24, s33
	s_add_u32 s6, s6, s24
	s_mul_i32 s25, s15, s36
	s_addc_u32 s7, s7, s38
	s_sub_i32 s14, s14, s25
	s_xor_b32 s24, s34, s37
	s_add_i32 s25, s15, 1
	s_sub_i32 s34, s14, s36
	s_cmp_ge_u32 s14, s36
	s_cselect_b32 s15, s25, s15
	s_cselect_b32 s14, s34, s14
	s_add_i32 s25, s15, 1
	s_cmp_ge_u32 s14, s36
	s_load_dwordx2 s[20:21], s[0:1], 0xa8
	s_cselect_b32 s14, s25, s15
	s_xor_b32 s14, s14, s24
	s_sub_i32 s24, s14, s24
	s_mul_i32 s5, s24, s5
	s_ashr_i32 s15, s5, 31
	s_add_u32 s14, s6, s5
	s_waitcnt lgkmcnt(0)
	s_mul_hi_u32 s5, s20, s33
	s_mul_i32 s4, s20, s4
	s_addc_u32 s15, s7, s15
	s_add_i32 s4, s5, s4
	s_mul_i32 s5, s21, s33
	s_add_i32 s4, s4, s5
	s_mul_i32 s5, s20, s33
	s_add_u32 s5, s8, s5
	s_mul_i32 s24, s24, s27
	s_addc_u32 s4, s9, s4
	s_ashr_i32 s6, s24, 31
	s_add_u32 s20, s5, s24
	v_lshrrev_b32_e32 v1, 3, v2
	v_and_b32_e32 v18, 28, v39
	s_addc_u32 s21, s4, s6
	v_lshl_add_u32 v4, v0, 2, v1
	v_lshlrev_b32_e32 v5, 2, v18
	s_movk_i32 s4, 0x90
	v_mad_u32_u24 v48, v4, s4, v5
	v_mul_lo_u32 v4, s11, v4
	s_lshl_b32 s4, s11, 4
	v_add_u32_e32 v6, s4, v4
	v_add_u32_e32 v8, s4, v6
	;; [unrolled: 1-line block ×3, first 2 shown]
	v_mad_u64_u32 v[12:13], s[4:5], v12, s35, v[2:3]
	v_mov_b32_e32 v13, 0x3400
	v_mul_lo_u32 v22, s10, v0
	s_and_b32 s4, s26, -4
	v_lshl_add_u32 v53, v0, 7, v13
	v_lshlrev_b32_e32 v14, 2, v39
	v_add_u32_e32 v24, s4, v22
	v_mbcnt_hi_u32_b32 v13, -1, v16
	v_mov_b32_e32 v1, 0
	v_add_u32_e32 v55, v15, v14
	v_ashrrev_i32_e32 v23, 31, v22
	v_lshl_add_u32 v0, v0, 10, v14
	v_ashrrev_i32_e32 v25, 31, v24
	s_add_u32 s6, s0, 0xd0
	v_and_b32_e32 v15, 0x60, v13
	v_ashrrev_i32_e32 v5, 31, v4
	v_add_u32_e32 v49, 0x900, v48
	v_ashrrev_i32_e32 v7, 31, v6
	v_add_u32_e32 v50, 0x1200, v48
	;; [unrolled: 2-line block ×3, first 2 shown]
	v_ashrrev_i32_e32 v11, 31, v10
	v_mul_u32_u24_e32 v52, 0x90, v2
	v_lshl_add_u32 v54, v2, 1, v53
	v_add_u32_e32 v56, 0x200, v55
	v_add_u32_e32 v57, 0x1000, v0
	;; [unrolled: 1-line block ×3, first 2 shown]
	s_addc_u32 s7, s1, 0
	v_mov_b32_e32 v20, 0xfeffffff
	v_lshlrev_b32_e32 v0, 2, v18
	v_add_u32_e32 v42, 32, v15
	v_xor_b32_e32 v47, 16, v13
	v_xor_b32_e32 v46, 8, v13
	;; [unrolled: 1-line block ×5, first 2 shown]
	s_mov_b32 s24, 0x3fb8aa3b
	s_mov_b32 s25, 0xc2ce8ed0
	s_mov_b32 s26, 0x42b17218
	v_mov_b32_e32 v59, 0x7f800000
	s_mov_b32 s27, 0x10001
	v_lshlrev_b64 v[16:17], 2, v[22:23]
	v_mov_b32_e32 v15, v1
	v_lshlrev_b64 v[18:19], 2, v[24:25]
	v_add_u32_e32 v60, 0x800, v40
	v_add_u32_e32 v61, 0x1000, v40
	;; [unrolled: 1-line block ×3, first 2 shown]
	v_mov_b32_e32 v36, v1
	v_mov_b32_e32 v37, v1
	;; [unrolled: 1-line block ×9, first 2 shown]
.LBB23_9:                               ; =>This Inner Loop Header: Depth=1
	s_mul_hi_i32 s5, s2, s11
	s_mul_i32 s4, s2, s11
	s_lshl_b64 s[4:5], s[4:5], 2
	s_add_u32 s4, s14, s4
	s_addc_u32 s5, s15, s5
	v_mov_b32_e32 v69, v20
	v_lshl_add_u64 v[20:21], v[4:5], 2, s[4:5]
	v_lshl_add_u64 v[22:23], v[6:7], 2, s[4:5]
	v_lshl_add_u64 v[30:31], v[8:9], 2, s[4:5]
	v_lshl_add_u64 v[32:33], v[10:11], 2, s[4:5]
	v_lshl_add_u64 v[24:25], v[20:21], 0, v[0:1]
	v_lshl_add_u64 v[26:27], v[22:23], 0, v[0:1]
	v_lshl_add_u64 v[20:21], v[30:31], 0, v[0:1]
	v_lshl_add_u64 v[22:23], v[32:33], 0, v[0:1]
	global_load_dwordx4 v[30:33], v[24:25], off
	global_load_dwordx4 v[74:77], v[26:27], off
	;; [unrolled: 1-line block ×3, first 2 shown]
	v_mov_b32_e32 v70, 0
	v_mov_b32_e32 v71, 0
	v_cmp_lt_i32_e32 vcc, v47, v42
	s_mul_hi_i32 s5, s2, s10
	s_mul_i32 s4, s2, s10
	s_lshl_b64 s[4:5], s[4:5], 2
	s_add_u32 s4, s20, s4
	s_addc_u32 s5, s21, s5
	s_or_b32 s8, s2, 8
	v_mov_b32_e32 v73, v72
	v_add_u32_e32 v28, s2, v12
	v_ashrrev_i32_e32 v29, 31, v28
	v_lshl_add_u64 v[28:29], v[28:29], 1, s[30:31]
	s_waitcnt vmcnt(2)
	ds_write_b128 v48, v[30:33]
	global_load_dwordx4 v[30:33], v[22:23], off
	s_waitcnt vmcnt(2)
	ds_write_b128 v49, v[74:77]
	s_waitcnt vmcnt(1)
	ds_write_b128 v50, v[78:81]
	;; [unrolled: 2-line block ×3, first 2 shown]
	s_waitcnt lgkmcnt(0)
	s_barrier
	ds_read_b128 v[30:33], v52
	ds_read_b128 v[74:77], v41
	ds_read_b128 v[78:81], v52 offset:4608
	s_waitcnt lgkmcnt(1)
	;;#ASMSTART
	v_dot2_f32_f16 v70, v30, v74, v70
	;;#ASMEND
	s_nop 0
	;;#ASMSTART
	v_dot2_f32_f16 v70, v31, v75, v70
	;;#ASMEND
	s_nop 0
	;;#ASMSTART
	v_dot2_f32_f16 v70, v32, v76, v70
	;;#ASMEND
	s_nop 0
	;;#ASMSTART
	v_dot2_f32_f16 v70, v33, v77, v70
	;;#ASMEND
	s_waitcnt lgkmcnt(0)
	;;#ASMSTART
	v_dot2_f32_f16 v71, v78, v74, v71
	;;#ASMEND
	s_nop 0
	;;#ASMSTART
	v_dot2_f32_f16 v71, v79, v75, v71
	;;#ASMEND
	s_nop 0
	;;#ASMSTART
	v_dot2_f32_f16 v71, v80, v76, v71
	;;#ASMEND
	s_nop 0
	;;#ASMSTART
	v_dot2_f32_f16 v71, v81, v77, v71
	;;#ASMEND
	ds_read_b128 v[30:33], v52 offset:16
	ds_read_b128 v[74:77], v41 offset:16
	ds_read_b128 v[78:81], v52 offset:4624
	s_waitcnt lgkmcnt(1)
	;;#ASMSTART
	v_dot2_f32_f16 v70, v30, v74, v70
	;;#ASMEND
	s_nop 0
	;;#ASMSTART
	v_dot2_f32_f16 v70, v31, v75, v70
	;;#ASMEND
	s_nop 0
	;;#ASMSTART
	v_dot2_f32_f16 v70, v32, v76, v70
	;;#ASMEND
	s_nop 0
	;;#ASMSTART
	v_dot2_f32_f16 v70, v33, v77, v70
	;;#ASMEND
	s_waitcnt lgkmcnt(0)
	;;#ASMSTART
	v_dot2_f32_f16 v71, v78, v74, v71
	;;#ASMEND
	s_nop 0
	;;#ASMSTART
	v_dot2_f32_f16 v71, v79, v75, v71
	;;#ASMEND
	s_nop 0
	;;#ASMSTART
	v_dot2_f32_f16 v71, v80, v76, v71
	;;#ASMEND
	s_nop 0
	;;#ASMSTART
	v_dot2_f32_f16 v71, v81, v77, v71
	;;#ASMEND
	ds_read_b128 v[30:33], v52 offset:32
	ds_read_b128 v[74:77], v41 offset:32
	;; [unrolled: 35-line block ×7, first 2 shown]
	ds_read_b128 v[78:81], v52 offset:4720
	s_waitcnt lgkmcnt(1)
	;;#ASMSTART
	v_dot2_f32_f16 v70, v30, v74, v70
	;;#ASMEND
	s_nop 0
	;;#ASMSTART
	v_dot2_f32_f16 v70, v31, v75, v70
	;;#ASMEND
	s_nop 0
	;; [unrolled: 4-line block ×3, first 2 shown]
	;;#ASMSTART
	v_dot2_f32_f16 v70, v33, v77, v70
	;;#ASMEND
	s_waitcnt lgkmcnt(0)
	;;#ASMSTART
	v_dot2_f32_f16 v71, v78, v74, v71
	;;#ASMEND
	s_nop 0
	;;#ASMSTART
	v_dot2_f32_f16 v71, v79, v75, v71
	;;#ASMEND
	s_nop 0
	;;#ASMSTART
	v_dot2_f32_f16 v71, v80, v76, v71
	;;#ASMEND
	s_nop 0
	;;#ASMSTART
	v_dot2_f32_f16 v71, v81, v77, v71
	;;#ASMEND
	s_barrier
	global_load_dwordx4 v[30:33], v[24:25], off offset:128
	global_load_dwordx4 v[74:77], v[26:27], off offset:128
	;; [unrolled: 1-line block ×3, first 2 shown]
	s_waitcnt vmcnt(2)
	ds_write_b128 v48, v[30:33]
	global_load_dwordx4 v[30:33], v[22:23], off offset:128
	s_waitcnt vmcnt(2)
	ds_write_b128 v49, v[74:77]
	s_waitcnt vmcnt(1)
	ds_write_b128 v50, v[78:81]
	;; [unrolled: 2-line block ×3, first 2 shown]
	s_waitcnt lgkmcnt(0)
	s_barrier
	ds_read_b128 v[30:33], v52
	ds_read_b128 v[74:77], v41 offset:128
	ds_read_b128 v[78:81], v52 offset:4608
	s_waitcnt lgkmcnt(1)
	;;#ASMSTART
	v_dot2_f32_f16 v70, v30, v74, v70
	;;#ASMEND
	s_nop 0
	;;#ASMSTART
	v_dot2_f32_f16 v70, v31, v75, v70
	;;#ASMEND
	s_nop 0
	;;#ASMSTART
	v_dot2_f32_f16 v70, v32, v76, v70
	;;#ASMEND
	s_nop 0
	;;#ASMSTART
	v_dot2_f32_f16 v70, v33, v77, v70
	;;#ASMEND
	s_waitcnt lgkmcnt(0)
	;;#ASMSTART
	v_dot2_f32_f16 v71, v78, v74, v71
	;;#ASMEND
	s_nop 0
	;;#ASMSTART
	v_dot2_f32_f16 v71, v79, v75, v71
	;;#ASMEND
	s_nop 0
	;;#ASMSTART
	v_dot2_f32_f16 v71, v80, v76, v71
	;;#ASMEND
	s_nop 0
	;;#ASMSTART
	v_dot2_f32_f16 v71, v81, v77, v71
	;;#ASMEND
	ds_read_b128 v[30:33], v52 offset:16
	ds_read_b128 v[74:77], v41 offset:144
	ds_read_b128 v[78:81], v52 offset:4624
	s_waitcnt lgkmcnt(1)
	;;#ASMSTART
	v_dot2_f32_f16 v70, v30, v74, v70
	;;#ASMEND
	s_nop 0
	;;#ASMSTART
	v_dot2_f32_f16 v70, v31, v75, v70
	;;#ASMEND
	s_nop 0
	;;#ASMSTART
	v_dot2_f32_f16 v70, v32, v76, v70
	;;#ASMEND
	s_nop 0
	;;#ASMSTART
	v_dot2_f32_f16 v70, v33, v77, v70
	;;#ASMEND
	s_waitcnt lgkmcnt(0)
	;;#ASMSTART
	v_dot2_f32_f16 v71, v78, v74, v71
	;;#ASMEND
	s_nop 0
	;;#ASMSTART
	v_dot2_f32_f16 v71, v79, v75, v71
	;;#ASMEND
	s_nop 0
	;;#ASMSTART
	v_dot2_f32_f16 v71, v80, v76, v71
	;;#ASMEND
	s_nop 0
	;;#ASMSTART
	v_dot2_f32_f16 v71, v81, v77, v71
	;;#ASMEND
	ds_read_b128 v[30:33], v52 offset:32
	;; [unrolled: 35-line block ×7, first 2 shown]
	ds_read_b128 v[74:77], v41 offset:240
	ds_read_b128 v[78:81], v52 offset:4720
	s_waitcnt lgkmcnt(1)
	;;#ASMSTART
	v_dot2_f32_f16 v70, v30, v74, v70
	;;#ASMEND
	s_nop 0
	;;#ASMSTART
	v_dot2_f32_f16 v70, v31, v75, v70
	;;#ASMEND
	s_nop 0
	;; [unrolled: 4-line block ×3, first 2 shown]
	;;#ASMSTART
	v_dot2_f32_f16 v70, v33, v77, v70
	;;#ASMEND
	s_waitcnt lgkmcnt(0)
	;;#ASMSTART
	v_dot2_f32_f16 v71, v78, v74, v71
	;;#ASMEND
	s_nop 0
	;;#ASMSTART
	v_dot2_f32_f16 v71, v79, v75, v71
	;;#ASMEND
	s_nop 0
	;; [unrolled: 4-line block ×3, first 2 shown]
	;;#ASMSTART
	v_dot2_f32_f16 v71, v81, v77, v71
	;;#ASMEND
	s_barrier
	global_load_dwordx4 v[30:33], v[24:25], off offset:256
	global_load_dwordx4 v[74:77], v[26:27], off offset:256
	global_load_dwordx4 v[78:81], v[20:21], off offset:256
	s_waitcnt vmcnt(2)
	ds_write_b128 v48, v[30:33]
	global_load_dwordx4 v[30:33], v[22:23], off offset:256
	s_waitcnt vmcnt(2)
	ds_write_b128 v49, v[74:77]
	s_waitcnt vmcnt(1)
	ds_write_b128 v50, v[78:81]
	;; [unrolled: 2-line block ×3, first 2 shown]
	s_waitcnt lgkmcnt(0)
	s_barrier
	ds_read_b128 v[30:33], v52
	ds_read_b128 v[74:77], v41 offset:256
	ds_read_b128 v[78:81], v52 offset:4608
	s_waitcnt lgkmcnt(1)
	;;#ASMSTART
	v_dot2_f32_f16 v70, v30, v74, v70
	;;#ASMEND
	s_nop 0
	;;#ASMSTART
	v_dot2_f32_f16 v70, v31, v75, v70
	;;#ASMEND
	s_nop 0
	;;#ASMSTART
	v_dot2_f32_f16 v70, v32, v76, v70
	;;#ASMEND
	s_nop 0
	;;#ASMSTART
	v_dot2_f32_f16 v70, v33, v77, v70
	;;#ASMEND
	s_waitcnt lgkmcnt(0)
	;;#ASMSTART
	v_dot2_f32_f16 v71, v78, v74, v71
	;;#ASMEND
	s_nop 0
	;;#ASMSTART
	v_dot2_f32_f16 v71, v79, v75, v71
	;;#ASMEND
	s_nop 0
	;;#ASMSTART
	v_dot2_f32_f16 v71, v80, v76, v71
	;;#ASMEND
	s_nop 0
	;;#ASMSTART
	v_dot2_f32_f16 v71, v81, v77, v71
	;;#ASMEND
	ds_read_b128 v[30:33], v52 offset:16
	ds_read_b128 v[74:77], v41 offset:272
	ds_read_b128 v[78:81], v52 offset:4624
	s_waitcnt lgkmcnt(1)
	;;#ASMSTART
	v_dot2_f32_f16 v70, v30, v74, v70
	;;#ASMEND
	s_nop 0
	;;#ASMSTART
	v_dot2_f32_f16 v70, v31, v75, v70
	;;#ASMEND
	s_nop 0
	;;#ASMSTART
	v_dot2_f32_f16 v70, v32, v76, v70
	;;#ASMEND
	s_nop 0
	;;#ASMSTART
	v_dot2_f32_f16 v70, v33, v77, v70
	;;#ASMEND
	s_waitcnt lgkmcnt(0)
	;;#ASMSTART
	v_dot2_f32_f16 v71, v78, v74, v71
	;;#ASMEND
	s_nop 0
	;;#ASMSTART
	v_dot2_f32_f16 v71, v79, v75, v71
	;;#ASMEND
	s_nop 0
	;;#ASMSTART
	v_dot2_f32_f16 v71, v80, v76, v71
	;;#ASMEND
	s_nop 0
	;;#ASMSTART
	v_dot2_f32_f16 v71, v81, v77, v71
	;;#ASMEND
	ds_read_b128 v[30:33], v52 offset:32
	;; [unrolled: 35-line block ×7, first 2 shown]
	ds_read_b128 v[74:77], v41 offset:368
	ds_read_b128 v[78:81], v52 offset:4720
	s_waitcnt lgkmcnt(1)
	;;#ASMSTART
	v_dot2_f32_f16 v70, v30, v74, v70
	;;#ASMEND
	s_nop 0
	;;#ASMSTART
	v_dot2_f32_f16 v70, v31, v75, v70
	;;#ASMEND
	s_nop 0
	;; [unrolled: 4-line block ×3, first 2 shown]
	;;#ASMSTART
	v_dot2_f32_f16 v70, v33, v77, v70
	;;#ASMEND
	s_waitcnt lgkmcnt(0)
	;;#ASMSTART
	v_dot2_f32_f16 v71, v78, v74, v71
	;;#ASMEND
	s_nop 0
	;;#ASMSTART
	v_dot2_f32_f16 v71, v79, v75, v71
	;;#ASMEND
	s_nop 0
	;; [unrolled: 4-line block ×3, first 2 shown]
	;;#ASMSTART
	v_dot2_f32_f16 v71, v81, v77, v71
	;;#ASMEND
	s_barrier
	global_load_dwordx4 v[30:33], v[24:25], off offset:384
	global_load_dwordx4 v[74:77], v[26:27], off offset:384
	;; [unrolled: 1-line block ×3, first 2 shown]
	s_waitcnt vmcnt(2)
	ds_write_b128 v48, v[30:33]
	global_load_dwordx4 v[30:33], v[22:23], off offset:384
	s_waitcnt vmcnt(2)
	ds_write_b128 v49, v[74:77]
	s_waitcnt vmcnt(1)
	ds_write_b128 v50, v[78:81]
	;; [unrolled: 2-line block ×3, first 2 shown]
	s_waitcnt lgkmcnt(0)
	s_barrier
	ds_read_b128 v[30:33], v52
	ds_read_b128 v[74:77], v41 offset:384
	ds_read_b128 v[78:81], v52 offset:4608
	s_waitcnt lgkmcnt(1)
	;;#ASMSTART
	v_dot2_f32_f16 v70, v30, v74, v70
	;;#ASMEND
	s_nop 0
	;;#ASMSTART
	v_dot2_f32_f16 v70, v31, v75, v70
	;;#ASMEND
	s_nop 0
	;;#ASMSTART
	v_dot2_f32_f16 v70, v32, v76, v70
	;;#ASMEND
	s_nop 0
	;;#ASMSTART
	v_dot2_f32_f16 v70, v33, v77, v70
	;;#ASMEND
	s_waitcnt lgkmcnt(0)
	;;#ASMSTART
	v_dot2_f32_f16 v71, v78, v74, v71
	;;#ASMEND
	s_nop 0
	;;#ASMSTART
	v_dot2_f32_f16 v71, v79, v75, v71
	;;#ASMEND
	s_nop 0
	;;#ASMSTART
	v_dot2_f32_f16 v71, v80, v76, v71
	;;#ASMEND
	s_nop 0
	;;#ASMSTART
	v_dot2_f32_f16 v71, v81, v77, v71
	;;#ASMEND
	ds_read_b128 v[30:33], v52 offset:16
	ds_read_b128 v[74:77], v41 offset:400
	ds_read_b128 v[78:81], v52 offset:4624
	s_waitcnt lgkmcnt(1)
	;;#ASMSTART
	v_dot2_f32_f16 v70, v30, v74, v70
	;;#ASMEND
	s_nop 0
	;;#ASMSTART
	v_dot2_f32_f16 v70, v31, v75, v70
	;;#ASMEND
	s_nop 0
	;;#ASMSTART
	v_dot2_f32_f16 v70, v32, v76, v70
	;;#ASMEND
	s_nop 0
	;;#ASMSTART
	v_dot2_f32_f16 v70, v33, v77, v70
	;;#ASMEND
	s_waitcnt lgkmcnt(0)
	;;#ASMSTART
	v_dot2_f32_f16 v71, v78, v74, v71
	;;#ASMEND
	s_nop 0
	;;#ASMSTART
	v_dot2_f32_f16 v71, v79, v75, v71
	;;#ASMEND
	s_nop 0
	;;#ASMSTART
	v_dot2_f32_f16 v71, v80, v76, v71
	;;#ASMEND
	s_nop 0
	;;#ASMSTART
	v_dot2_f32_f16 v71, v81, v77, v71
	;;#ASMEND
	ds_read_b128 v[30:33], v52 offset:32
	;; [unrolled: 35-line block ×7, first 2 shown]
	ds_read_b128 v[74:77], v41 offset:496
	ds_read_b128 v[78:81], v52 offset:4720
	s_waitcnt lgkmcnt(1)
	;;#ASMSTART
	v_dot2_f32_f16 v70, v30, v74, v70
	;;#ASMEND
	s_nop 0
	;;#ASMSTART
	v_dot2_f32_f16 v70, v31, v75, v70
	;;#ASMEND
	s_nop 0
	;; [unrolled: 4-line block ×3, first 2 shown]
	;;#ASMSTART
	v_dot2_f32_f16 v70, v33, v77, v70
	;;#ASMEND
	s_waitcnt lgkmcnt(0)
	;;#ASMSTART
	v_dot2_f32_f16 v71, v78, v74, v71
	;;#ASMEND
	s_nop 0
	;;#ASMSTART
	v_dot2_f32_f16 v71, v79, v75, v71
	;;#ASMEND
	s_nop 0
	;; [unrolled: 4-line block ×3, first 2 shown]
	;;#ASMSTART
	v_dot2_f32_f16 v71, v81, v77, v71
	;;#ASMEND
	s_barrier
	global_load_dwordx4 v[30:33], v[24:25], off offset:512
	global_load_dwordx4 v[74:77], v[26:27], off offset:512
	;; [unrolled: 1-line block ×3, first 2 shown]
	s_waitcnt vmcnt(2)
	ds_write_b128 v48, v[30:33]
	global_load_dwordx4 v[30:33], v[22:23], off offset:512
	s_waitcnt vmcnt(2)
	ds_write_b128 v49, v[74:77]
	s_waitcnt vmcnt(1)
	ds_write_b128 v50, v[78:81]
	;; [unrolled: 2-line block ×3, first 2 shown]
	s_waitcnt lgkmcnt(0)
	s_barrier
	ds_read_b128 v[30:33], v52
	ds_read_b128 v[74:77], v41 offset:512
	ds_read_b128 v[78:81], v52 offset:4608
	s_waitcnt lgkmcnt(1)
	;;#ASMSTART
	v_dot2_f32_f16 v70, v30, v74, v70
	;;#ASMEND
	s_nop 0
	;;#ASMSTART
	v_dot2_f32_f16 v70, v31, v75, v70
	;;#ASMEND
	s_nop 0
	;;#ASMSTART
	v_dot2_f32_f16 v70, v32, v76, v70
	;;#ASMEND
	s_nop 0
	;;#ASMSTART
	v_dot2_f32_f16 v70, v33, v77, v70
	;;#ASMEND
	s_waitcnt lgkmcnt(0)
	;;#ASMSTART
	v_dot2_f32_f16 v71, v78, v74, v71
	;;#ASMEND
	s_nop 0
	;;#ASMSTART
	v_dot2_f32_f16 v71, v79, v75, v71
	;;#ASMEND
	s_nop 0
	;;#ASMSTART
	v_dot2_f32_f16 v71, v80, v76, v71
	;;#ASMEND
	s_nop 0
	;;#ASMSTART
	v_dot2_f32_f16 v71, v81, v77, v71
	;;#ASMEND
	ds_read_b128 v[30:33], v52 offset:16
	ds_read_b128 v[74:77], v41 offset:528
	ds_read_b128 v[78:81], v52 offset:4624
	s_waitcnt lgkmcnt(1)
	;;#ASMSTART
	v_dot2_f32_f16 v70, v30, v74, v70
	;;#ASMEND
	s_nop 0
	;;#ASMSTART
	v_dot2_f32_f16 v70, v31, v75, v70
	;;#ASMEND
	s_nop 0
	;;#ASMSTART
	v_dot2_f32_f16 v70, v32, v76, v70
	;;#ASMEND
	s_nop 0
	;;#ASMSTART
	v_dot2_f32_f16 v70, v33, v77, v70
	;;#ASMEND
	s_waitcnt lgkmcnt(0)
	;;#ASMSTART
	v_dot2_f32_f16 v71, v78, v74, v71
	;;#ASMEND
	s_nop 0
	;;#ASMSTART
	v_dot2_f32_f16 v71, v79, v75, v71
	;;#ASMEND
	s_nop 0
	;;#ASMSTART
	v_dot2_f32_f16 v71, v80, v76, v71
	;;#ASMEND
	s_nop 0
	;;#ASMSTART
	v_dot2_f32_f16 v71, v81, v77, v71
	;;#ASMEND
	ds_read_b128 v[30:33], v52 offset:32
	ds_read_b128 v[74:77], v41 offset:544
	ds_read_b128 v[78:81], v52 offset:4640
	s_waitcnt lgkmcnt(1)
	;;#ASMSTART
	v_dot2_f32_f16 v70, v30, v74, v70
	;;#ASMEND
	s_nop 0
	;;#ASMSTART
	v_dot2_f32_f16 v70, v31, v75, v70
	;;#ASMEND
	s_nop 0
	;;#ASMSTART
	v_dot2_f32_f16 v70, v32, v76, v70
	;;#ASMEND
	s_nop 0
	;;#ASMSTART
	v_dot2_f32_f16 v70, v33, v77, v70
	;;#ASMEND
	s_waitcnt lgkmcnt(0)
	;;#ASMSTART
	v_dot2_f32_f16 v71, v78, v74, v71
	;;#ASMEND
	s_nop 0
	;;#ASMSTART
	v_dot2_f32_f16 v71, v79, v75, v71
	;;#ASMEND
	s_nop 0
	;;#ASMSTART
	v_dot2_f32_f16 v71, v80, v76, v71
	;;#ASMEND
	s_nop 0
	;;#ASMSTART
	v_dot2_f32_f16 v71, v81, v77, v71
	;;#ASMEND
	ds_read_b128 v[30:33], v52 offset:48
	ds_read_b128 v[74:77], v41 offset:560
	ds_read_b128 v[78:81], v52 offset:4656
	s_waitcnt lgkmcnt(1)
	;;#ASMSTART
	v_dot2_f32_f16 v70, v30, v74, v70
	;;#ASMEND
	s_nop 0
	;;#ASMSTART
	v_dot2_f32_f16 v70, v31, v75, v70
	;;#ASMEND
	s_nop 0
	;;#ASMSTART
	v_dot2_f32_f16 v70, v32, v76, v70
	;;#ASMEND
	s_nop 0
	;;#ASMSTART
	v_dot2_f32_f16 v70, v33, v77, v70
	;;#ASMEND
	s_waitcnt lgkmcnt(0)
	;;#ASMSTART
	v_dot2_f32_f16 v71, v78, v74, v71
	;;#ASMEND
	s_nop 0
	;;#ASMSTART
	v_dot2_f32_f16 v71, v79, v75, v71
	;;#ASMEND
	s_nop 0
	;;#ASMSTART
	v_dot2_f32_f16 v71, v80, v76, v71
	;;#ASMEND
	s_nop 0
	;;#ASMSTART
	v_dot2_f32_f16 v71, v81, v77, v71
	;;#ASMEND
	ds_read_b128 v[30:33], v52 offset:64
	ds_read_b128 v[74:77], v41 offset:576
	ds_read_b128 v[78:81], v52 offset:4672
	s_waitcnt lgkmcnt(1)
	;;#ASMSTART
	v_dot2_f32_f16 v70, v30, v74, v70
	;;#ASMEND
	s_nop 0
	;;#ASMSTART
	v_dot2_f32_f16 v70, v31, v75, v70
	;;#ASMEND
	s_nop 0
	;;#ASMSTART
	v_dot2_f32_f16 v70, v32, v76, v70
	;;#ASMEND
	s_nop 0
	;;#ASMSTART
	v_dot2_f32_f16 v70, v33, v77, v70
	;;#ASMEND
	s_waitcnt lgkmcnt(0)
	;;#ASMSTART
	v_dot2_f32_f16 v71, v78, v74, v71
	;;#ASMEND
	s_nop 0
	;;#ASMSTART
	v_dot2_f32_f16 v71, v79, v75, v71
	;;#ASMEND
	s_nop 0
	;;#ASMSTART
	v_dot2_f32_f16 v71, v80, v76, v71
	;;#ASMEND
	s_nop 0
	;;#ASMSTART
	v_dot2_f32_f16 v71, v81, v77, v71
	;;#ASMEND
	ds_read_b128 v[30:33], v52 offset:80
	ds_read_b128 v[74:77], v41 offset:592
	ds_read_b128 v[78:81], v52 offset:4688
	s_waitcnt lgkmcnt(1)
	;;#ASMSTART
	v_dot2_f32_f16 v70, v30, v74, v70
	;;#ASMEND
	s_nop 0
	;;#ASMSTART
	v_dot2_f32_f16 v70, v31, v75, v70
	;;#ASMEND
	s_nop 0
	;;#ASMSTART
	v_dot2_f32_f16 v70, v32, v76, v70
	;;#ASMEND
	s_nop 0
	;;#ASMSTART
	v_dot2_f32_f16 v70, v33, v77, v70
	;;#ASMEND
	s_waitcnt lgkmcnt(0)
	;;#ASMSTART
	v_dot2_f32_f16 v71, v78, v74, v71
	;;#ASMEND
	s_nop 0
	;;#ASMSTART
	v_dot2_f32_f16 v71, v79, v75, v71
	;;#ASMEND
	s_nop 0
	;;#ASMSTART
	v_dot2_f32_f16 v71, v80, v76, v71
	;;#ASMEND
	s_nop 0
	;;#ASMSTART
	v_dot2_f32_f16 v71, v81, v77, v71
	;;#ASMEND
	ds_read_b128 v[30:33], v52 offset:96
	ds_read_b128 v[74:77], v41 offset:608
	ds_read_b128 v[78:81], v52 offset:4704
	s_waitcnt lgkmcnt(1)
	;;#ASMSTART
	v_dot2_f32_f16 v70, v30, v74, v70
	;;#ASMEND
	s_nop 0
	;;#ASMSTART
	v_dot2_f32_f16 v70, v31, v75, v70
	;;#ASMEND
	s_nop 0
	;;#ASMSTART
	v_dot2_f32_f16 v70, v32, v76, v70
	;;#ASMEND
	s_nop 0
	;;#ASMSTART
	v_dot2_f32_f16 v70, v33, v77, v70
	;;#ASMEND
	s_waitcnt lgkmcnt(0)
	;;#ASMSTART
	v_dot2_f32_f16 v71, v78, v74, v71
	;;#ASMEND
	s_nop 0
	;;#ASMSTART
	v_dot2_f32_f16 v71, v79, v75, v71
	;;#ASMEND
	s_nop 0
	;;#ASMSTART
	v_dot2_f32_f16 v71, v80, v76, v71
	;;#ASMEND
	s_nop 0
	;;#ASMSTART
	v_dot2_f32_f16 v71, v81, v77, v71
	;;#ASMEND
	ds_read_b128 v[30:33], v52 offset:112
	ds_read_b128 v[74:77], v41 offset:624
	ds_read_b128 v[78:81], v52 offset:4720
	s_waitcnt lgkmcnt(1)
	;;#ASMSTART
	v_dot2_f32_f16 v70, v30, v74, v70
	;;#ASMEND
	s_nop 0
	;;#ASMSTART
	v_dot2_f32_f16 v70, v31, v75, v70
	;;#ASMEND
	s_nop 0
	;; [unrolled: 4-line block ×3, first 2 shown]
	;;#ASMSTART
	v_dot2_f32_f16 v70, v33, v77, v70
	;;#ASMEND
	s_waitcnt lgkmcnt(0)
	;;#ASMSTART
	v_dot2_f32_f16 v71, v78, v74, v71
	;;#ASMEND
	s_nop 0
	;;#ASMSTART
	v_dot2_f32_f16 v71, v79, v75, v71
	;;#ASMEND
	s_nop 0
	;; [unrolled: 4-line block ×3, first 2 shown]
	;;#ASMSTART
	v_dot2_f32_f16 v71, v81, v77, v71
	;;#ASMEND
	s_barrier
	global_load_dwordx4 v[30:33], v[24:25], off offset:640
	global_load_dwordx4 v[74:77], v[26:27], off offset:640
	global_load_dwordx4 v[78:81], v[20:21], off offset:640
	s_waitcnt vmcnt(2)
	ds_write_b128 v48, v[30:33]
	global_load_dwordx4 v[30:33], v[22:23], off offset:640
	s_waitcnt vmcnt(2)
	ds_write_b128 v49, v[74:77]
	s_waitcnt vmcnt(1)
	ds_write_b128 v50, v[78:81]
	;; [unrolled: 2-line block ×3, first 2 shown]
	s_waitcnt lgkmcnt(0)
	s_barrier
	ds_read_b128 v[30:33], v52
	ds_read_b128 v[74:77], v41 offset:640
	ds_read_b128 v[78:81], v52 offset:4608
	s_waitcnt lgkmcnt(1)
	;;#ASMSTART
	v_dot2_f32_f16 v70, v30, v74, v70
	;;#ASMEND
	s_nop 0
	;;#ASMSTART
	v_dot2_f32_f16 v70, v31, v75, v70
	;;#ASMEND
	s_nop 0
	;;#ASMSTART
	v_dot2_f32_f16 v70, v32, v76, v70
	;;#ASMEND
	s_nop 0
	;;#ASMSTART
	v_dot2_f32_f16 v70, v33, v77, v70
	;;#ASMEND
	s_waitcnt lgkmcnt(0)
	;;#ASMSTART
	v_dot2_f32_f16 v71, v78, v74, v71
	;;#ASMEND
	s_nop 0
	;;#ASMSTART
	v_dot2_f32_f16 v71, v79, v75, v71
	;;#ASMEND
	s_nop 0
	;;#ASMSTART
	v_dot2_f32_f16 v71, v80, v76, v71
	;;#ASMEND
	s_nop 0
	;;#ASMSTART
	v_dot2_f32_f16 v71, v81, v77, v71
	;;#ASMEND
	ds_read_b128 v[30:33], v52 offset:16
	ds_read_b128 v[74:77], v41 offset:656
	ds_read_b128 v[78:81], v52 offset:4624
	s_waitcnt lgkmcnt(1)
	;;#ASMSTART
	v_dot2_f32_f16 v70, v30, v74, v70
	;;#ASMEND
	s_nop 0
	;;#ASMSTART
	v_dot2_f32_f16 v70, v31, v75, v70
	;;#ASMEND
	s_nop 0
	;;#ASMSTART
	v_dot2_f32_f16 v70, v32, v76, v70
	;;#ASMEND
	s_nop 0
	;;#ASMSTART
	v_dot2_f32_f16 v70, v33, v77, v70
	;;#ASMEND
	s_waitcnt lgkmcnt(0)
	;;#ASMSTART
	v_dot2_f32_f16 v71, v78, v74, v71
	;;#ASMEND
	s_nop 0
	;;#ASMSTART
	v_dot2_f32_f16 v71, v79, v75, v71
	;;#ASMEND
	s_nop 0
	;;#ASMSTART
	v_dot2_f32_f16 v71, v80, v76, v71
	;;#ASMEND
	s_nop 0
	;;#ASMSTART
	v_dot2_f32_f16 v71, v81, v77, v71
	;;#ASMEND
	ds_read_b128 v[30:33], v52 offset:32
	;; [unrolled: 35-line block ×7, first 2 shown]
	ds_read_b128 v[74:77], v41 offset:752
	ds_read_b128 v[78:81], v52 offset:4720
	s_waitcnt lgkmcnt(1)
	;;#ASMSTART
	v_dot2_f32_f16 v70, v30, v74, v70
	;;#ASMEND
	s_nop 0
	;;#ASMSTART
	v_dot2_f32_f16 v70, v31, v75, v70
	;;#ASMEND
	s_nop 0
	;; [unrolled: 4-line block ×3, first 2 shown]
	;;#ASMSTART
	v_dot2_f32_f16 v70, v33, v77, v70
	;;#ASMEND
	s_waitcnt lgkmcnt(0)
	;;#ASMSTART
	v_dot2_f32_f16 v71, v78, v74, v71
	;;#ASMEND
	s_nop 0
	;;#ASMSTART
	v_dot2_f32_f16 v71, v79, v75, v71
	;;#ASMEND
	s_nop 0
	;; [unrolled: 4-line block ×3, first 2 shown]
	;;#ASMSTART
	v_dot2_f32_f16 v71, v81, v77, v71
	;;#ASMEND
	s_barrier
	global_load_dwordx4 v[30:33], v[24:25], off offset:768
	global_load_dwordx4 v[74:77], v[26:27], off offset:768
	;; [unrolled: 1-line block ×3, first 2 shown]
	s_waitcnt vmcnt(2)
	ds_write_b128 v48, v[30:33]
	global_load_dwordx4 v[30:33], v[22:23], off offset:768
	s_waitcnt vmcnt(2)
	ds_write_b128 v49, v[74:77]
	s_waitcnt vmcnt(1)
	ds_write_b128 v50, v[78:81]
	;; [unrolled: 2-line block ×3, first 2 shown]
	s_waitcnt lgkmcnt(0)
	s_barrier
	ds_read_b128 v[30:33], v52
	ds_read_b128 v[74:77], v41 offset:768
	ds_read_b128 v[78:81], v52 offset:4608
	s_waitcnt lgkmcnt(1)
	;;#ASMSTART
	v_dot2_f32_f16 v70, v30, v74, v70
	;;#ASMEND
	s_nop 0
	;;#ASMSTART
	v_dot2_f32_f16 v70, v31, v75, v70
	;;#ASMEND
	s_nop 0
	;;#ASMSTART
	v_dot2_f32_f16 v70, v32, v76, v70
	;;#ASMEND
	s_nop 0
	;;#ASMSTART
	v_dot2_f32_f16 v70, v33, v77, v70
	;;#ASMEND
	s_waitcnt lgkmcnt(0)
	;;#ASMSTART
	v_dot2_f32_f16 v71, v78, v74, v71
	;;#ASMEND
	s_nop 0
	;;#ASMSTART
	v_dot2_f32_f16 v71, v79, v75, v71
	;;#ASMEND
	s_nop 0
	;;#ASMSTART
	v_dot2_f32_f16 v71, v80, v76, v71
	;;#ASMEND
	s_nop 0
	;;#ASMSTART
	v_dot2_f32_f16 v71, v81, v77, v71
	;;#ASMEND
	ds_read_b128 v[30:33], v52 offset:16
	ds_read_b128 v[74:77], v41 offset:784
	ds_read_b128 v[78:81], v52 offset:4624
	s_waitcnt lgkmcnt(1)
	;;#ASMSTART
	v_dot2_f32_f16 v70, v30, v74, v70
	;;#ASMEND
	s_nop 0
	;;#ASMSTART
	v_dot2_f32_f16 v70, v31, v75, v70
	;;#ASMEND
	s_nop 0
	;;#ASMSTART
	v_dot2_f32_f16 v70, v32, v76, v70
	;;#ASMEND
	s_nop 0
	;;#ASMSTART
	v_dot2_f32_f16 v70, v33, v77, v70
	;;#ASMEND
	s_waitcnt lgkmcnt(0)
	;;#ASMSTART
	v_dot2_f32_f16 v71, v78, v74, v71
	;;#ASMEND
	s_nop 0
	;;#ASMSTART
	v_dot2_f32_f16 v71, v79, v75, v71
	;;#ASMEND
	s_nop 0
	;;#ASMSTART
	v_dot2_f32_f16 v71, v80, v76, v71
	;;#ASMEND
	s_nop 0
	;;#ASMSTART
	v_dot2_f32_f16 v71, v81, v77, v71
	;;#ASMEND
	ds_read_b128 v[30:33], v52 offset:32
	;; [unrolled: 35-line block ×7, first 2 shown]
	ds_read_b128 v[74:77], v41 offset:880
	ds_read_b128 v[78:81], v52 offset:4720
	s_waitcnt lgkmcnt(1)
	;;#ASMSTART
	v_dot2_f32_f16 v70, v30, v74, v70
	;;#ASMEND
	s_nop 0
	;;#ASMSTART
	v_dot2_f32_f16 v70, v31, v75, v70
	;;#ASMEND
	v_cndmask_b32_e32 v30, v13, v47, vcc
	;;#ASMSTART
	v_dot2_f32_f16 v70, v32, v76, v70
	;;#ASMEND
	v_cmp_lt_i32_e32 vcc, v46, v42
	;;#ASMSTART
	v_dot2_f32_f16 v70, v33, v77, v70
	;;#ASMEND
	s_waitcnt lgkmcnt(0)
	;;#ASMSTART
	v_dot2_f32_f16 v71, v78, v74, v71
	;;#ASMEND
	s_nop 0
	;;#ASMSTART
	v_dot2_f32_f16 v71, v79, v75, v71
	;;#ASMEND
	v_cndmask_b32_e32 v31, v13, v46, vcc
	v_cmp_lt_i32_e32 vcc, v45, v42
	;;#ASMSTART
	v_dot2_f32_f16 v71, v80, v76, v71
	;;#ASMEND
	v_lshlrev_b32_e32 v76, 2, v31
	;;#ASMSTART
	v_dot2_f32_f16 v71, v81, v77, v71
	;;#ASMEND
	v_lshlrev_b32_e32 v77, 2, v30
	v_cndmask_b32_e32 v32, v13, v45, vcc
	v_cmp_lt_i32_e32 vcc, v43, v42
	v_lshlrev_b32_e32 v75, 2, v32
	s_nop 0
	v_cndmask_b32_e32 v33, v13, v43, vcc
	v_lshlrev_b32_e32 v74, 2, v33
	s_barrier
	global_load_dwordx4 v[30:33], v[24:25], off offset:896
	global_load_dwordx4 v[78:81], v[26:27], off offset:896
	v_cmp_lt_i32_e32 vcc, v44, v42
	s_waitcnt vmcnt(1)
	ds_write_b128 v48, v[30:33]
	global_load_dwordx4 v[24:27], v[20:21], off offset:896
	global_load_dwordx4 v[30:33], v[22:23], off offset:896
	s_waitcnt vmcnt(2)
	ds_write_b128 v49, v[78:81]
	s_waitcnt vmcnt(1)
	ds_write_b128 v50, v[24:27]
	s_waitcnt vmcnt(0)
	ds_write_b128 v51, v[30:33]
	s_waitcnt lgkmcnt(0)
	s_barrier
	ds_read_b128 v[20:23], v52
	ds_read_b128 v[24:27], v41 offset:896
	ds_read_b128 v[30:33], v52 offset:4608
	s_waitcnt lgkmcnt(1)
	;;#ASMSTART
	v_dot2_f32_f16 v70, v20, v24, v70
	;;#ASMEND
	s_nop 0
	;;#ASMSTART
	v_dot2_f32_f16 v70, v21, v25, v70
	;;#ASMEND
	v_cndmask_b32_e32 v34, v13, v44, vcc
	;;#ASMSTART
	v_dot2_f32_f16 v70, v22, v26, v70
	;;#ASMEND
	v_lshlrev_b32_e32 v72, 2, v34
	;;#ASMSTART
	v_dot2_f32_f16 v70, v23, v27, v70
	;;#ASMEND
	s_waitcnt lgkmcnt(0)
	;;#ASMSTART
	v_dot2_f32_f16 v71, v30, v24, v71
	;;#ASMEND
	v_lshl_add_u64 v[34:35], s[4:5], 0, v[16:17]
	;;#ASMSTART
	v_dot2_f32_f16 v71, v31, v25, v71
	;;#ASMEND
	v_lshl_add_u64 v[34:35], v[34:35], 0, v[14:15]
	;;#ASMSTART
	v_dot2_f32_f16 v71, v32, v26, v71
	;;#ASMEND
	s_nop 0
	;;#ASMSTART
	v_dot2_f32_f16 v71, v33, v27, v71
	;;#ASMEND
	ds_read_b128 v[20:23], v52 offset:16
	ds_read_b128 v[24:27], v41 offset:912
	ds_read_b128 v[30:33], v52 offset:4624
	s_waitcnt lgkmcnt(1)
	;;#ASMSTART
	v_dot2_f32_f16 v70, v20, v24, v70
	;;#ASMEND
	s_nop 0
	;;#ASMSTART
	v_dot2_f32_f16 v70, v21, v25, v70
	;;#ASMEND
	s_nop 0
	;;#ASMSTART
	v_dot2_f32_f16 v70, v22, v26, v70
	;;#ASMEND
	s_nop 0
	;;#ASMSTART
	v_dot2_f32_f16 v70, v23, v27, v70
	;;#ASMEND
	s_waitcnt lgkmcnt(0)
	;;#ASMSTART
	v_dot2_f32_f16 v71, v30, v24, v71
	;;#ASMEND
	s_nop 0
	;;#ASMSTART
	v_dot2_f32_f16 v71, v31, v25, v71
	;;#ASMEND
	s_nop 0
	;;#ASMSTART
	v_dot2_f32_f16 v71, v32, v26, v71
	;;#ASMEND
	s_nop 0
	;;#ASMSTART
	v_dot2_f32_f16 v71, v33, v27, v71
	;;#ASMEND
	ds_read_b128 v[20:23], v52 offset:32
	ds_read_b128 v[24:27], v41 offset:928
	ds_read_b128 v[30:33], v52 offset:4640
	s_waitcnt lgkmcnt(1)
	;;#ASMSTART
	v_dot2_f32_f16 v70, v20, v24, v70
	;;#ASMEND
	s_nop 0
	;;#ASMSTART
	v_dot2_f32_f16 v70, v21, v25, v70
	;;#ASMEND
	s_nop 0
	;;#ASMSTART
	v_dot2_f32_f16 v70, v22, v26, v70
	;;#ASMEND
	s_nop 0
	;;#ASMSTART
	v_dot2_f32_f16 v70, v23, v27, v70
	;;#ASMEND
	s_waitcnt lgkmcnt(0)
	;;#ASMSTART
	v_dot2_f32_f16 v71, v30, v24, v71
	;;#ASMEND
	s_nop 0
	;;#ASMSTART
	v_dot2_f32_f16 v71, v31, v25, v71
	;;#ASMEND
	s_nop 0
	;; [unrolled: 35-line block ×6, first 2 shown]
	;;#ASMSTART
	v_dot2_f32_f16 v71, v32, v26, v71
	;;#ASMEND
	s_nop 0
	;;#ASMSTART
	v_dot2_f32_f16 v71, v33, v27, v71
	;;#ASMEND
	ds_read_b128 v[20:23], v52 offset:112
	ds_read_b128 v[30:33], v41 offset:1008
	;; [unrolled: 1-line block ×3, first 2 shown]
	s_waitcnt lgkmcnt(1)
	;;#ASMSTART
	v_dot2_f32_f16 v70, v20, v30, v70
	;;#ASMEND
	s_nop 0
	;;#ASMSTART
	v_dot2_f32_f16 v70, v21, v31, v70
	;;#ASMEND
	v_lshl_add_u64 v[20:21], s[4:5], 0, v[18:19]
	s_mul_hi_i32 s5, s8, s10
	s_mul_i32 s4, s8, s10
	s_lshl_b64 s[4:5], s[4:5], 2
	s_add_u32 s4, s20, s4
	;;#ASMSTART
	v_dot2_f32_f16 v70, v22, v32, v70
	;;#ASMEND
	s_addc_u32 s5, s21, s5
	s_or_b32 s8, s2, 16
	;;#ASMSTART
	v_dot2_f32_f16 v70, v23, v33, v70
	;;#ASMEND
	v_lshl_add_u64 v[26:27], v[20:21], 0, v[14:15]
	v_lshl_add_u64 v[20:21], s[4:5], 0, v[16:17]
	;; [unrolled: 1-line block ×3, first 2 shown]
	s_mul_hi_i32 s5, s8, s10
	s_mul_i32 s4, s8, s10
	s_waitcnt lgkmcnt(0)
	;;#ASMSTART
	v_dot2_f32_f16 v71, v78, v30, v71
	;;#ASMEND
	s_lshl_b64 s[4:5], s[4:5], 2
	;;#ASMSTART
	v_dot2_f32_f16 v71, v79, v31, v71
	;;#ASMEND
	s_add_u32 s4, s20, s4
	;;#ASMSTART
	v_dot2_f32_f16 v71, v80, v32, v71
	;;#ASMEND
	s_addc_u32 s5, s21, s5
	;;#ASMSTART
	v_dot2_f32_f16 v71, v81, v33, v71
	;;#ASMEND
	v_lshl_add_u64 v[32:33], v[20:21], 0, v[14:15]
	v_lshl_add_u64 v[20:21], s[4:5], 0, v[16:17]
	v_lshl_add_u64 v[24:25], v[20:21], 0, v[14:15]
	global_load_ushort v20, v[28:29], off
	global_load_ushort v21, v[28:29], off offset:64
	s_barrier
	s_or_b32 s8, s2, 24
	v_lshl_add_u64 v[30:31], v[22:23], 0, v[14:15]
	v_lshl_add_u64 v[22:23], s[4:5], 0, v[18:19]
	s_mul_hi_i32 s5, s8, s10
	s_mul_i32 s4, s8, s10
	s_lshl_b64 s[4:5], s[4:5], 2
	s_add_u32 s8, s20, s4
	s_addc_u32 s9, s21, s5
	v_lshl_add_u64 v[22:23], v[22:23], 0, v[14:15]
	s_or_b32 s34, s2, 32
	s_waitcnt vmcnt(1)
	v_cvt_f32_f16_e32 v20, v20
	s_waitcnt vmcnt(0)
	v_cvt_f32_f16_e32 v21, v21
	v_add_f32_e32 v28, v70, v20
	v_add_f32_e32 v21, v71, v21
	;; [unrolled: 1-line block ×4, first 2 shown]
	v_max3_f32 v20, v69, v20, v29
	ds_bpermute_b32 v29, v77, v20
	s_waitcnt lgkmcnt(0)
	v_max_f32_e32 v29, v29, v29
	v_max_f32_e32 v20, v20, v29
	ds_bpermute_b32 v29, v76, v20
	s_waitcnt lgkmcnt(0)
	v_max_f32_e32 v29, v29, v29
	v_max_f32_e32 v20, v20, v29
	;; [unrolled: 4-line block ×5, first 2 shown]
	v_sub_f32_e32 v28, v28, v20
	v_sub_f32_e32 v21, v21, v20
	v_sub_f32_e32 v29, v69, v20
	v_mul_f32_e32 v69, 0x3fb8aa3b, v28
	v_mul_f32_e32 v70, 0x3fb8aa3b, v21
	v_fma_f32 v72, v28, s24, -v69
	v_rndne_f32_e32 v74, v69
	v_fma_f32 v75, v21, s24, -v70
	v_rndne_f32_e32 v76, v70
	v_fmac_f32_e32 v72, 0x32a5705f, v28
	v_sub_f32_e32 v69, v69, v74
	v_fmac_f32_e32 v75, 0x32a5705f, v21
	v_sub_f32_e32 v70, v70, v76
	v_add_f32_e32 v69, v69, v72
	v_add_f32_e32 v70, v70, v75
	v_cvt_i32_f32_e32 v74, v74
	v_cvt_i32_f32_e32 v76, v76
	v_exp_f32_e32 v69, v69
	v_exp_f32_e32 v70, v70
	v_mul_f32_e32 v71, 0x3fb8aa3b, v29
	v_fma_f32 v77, v29, s24, -v71
	v_rndne_f32_e32 v72, v71
	v_fmac_f32_e32 v77, 0x32a5705f, v29
	v_sub_f32_e32 v71, v71, v72
	v_add_f32_e32 v71, v71, v77
	v_ldexp_f32 v69, v69, v74
	v_ldexp_f32 v70, v70, v76
	global_load_dwordx4 v[74:77], v[34:35], off
	v_cmp_ngt_f32_e64 s[4:5], s25, v28
	v_cmp_ngt_f32_e32 vcc, s25, v21
	s_nop 0
	v_cndmask_b32_e64 v69, 0, v69, s[4:5]
	v_cmp_nlt_f32_e64 s[4:5], s26, v28
	v_cndmask_b32_e32 v70, 0, v70, vcc
	v_cmp_nlt_f32_e32 vcc, s26, v21
	v_cndmask_b32_e64 v21, v59, v69, s[4:5]
	v_cvt_f16_f32_e32 v28, v21
	v_cndmask_b32_e32 v69, v59, v70, vcc
	v_cvt_f16_f32_e32 v70, v69
	ds_write_b16 v54, v28
	ds_write_b16 v54, v70 offset:64
	global_load_dwordx4 v[78:81], v[34:35], off offset:512
	v_cvt_i32_f32_e32 v28, v72
	v_cmp_ngt_f32_e32 vcc, s25, v29
	s_mul_hi_i32 s5, s34, s10
	s_mul_i32 s4, s34, s10
	s_lshl_b64 s[4:5], s[4:5], 2
	s_add_u32 s4, s20, s4
	s_addc_u32 s5, s21, s5
	s_waitcnt vmcnt(1)
	ds_write_b128 v55, v[74:77]
	global_load_dwordx4 v[74:77], v[26:27], off
	v_exp_f32_e32 v34, v71
	s_waitcnt vmcnt(1)
	ds_write_b128 v56, v[78:81]
	v_ldexp_f32 v28, v34, v28
	v_cndmask_b32_e32 v34, 0, v28, vcc
	v_cmp_nlt_f32_e32 vcc, s26, v29
	global_load_dwordx4 v[26:29], v[26:27], off offset:512
	s_waitcnt vmcnt(1)
	ds_write_b128 v57, v[74:77]
	s_waitcnt vmcnt(0)
	ds_write_b128 v58, v[26:29]
	v_cndmask_b32_e32 v70, v59, v34, vcc
	v_cvt_f16_f32_e32 v34, v70
	s_waitcnt lgkmcnt(0)
	s_barrier
	ds_read_b128 v[74:77], v53
	ds_read2_b64 v[26:29], v40 offset1:32
	v_mul_u32_u24_e32 v71, 0x10001, v34
	v_pk_mul_f16 v34, v68, v71
	v_pk_mul_f16 v35, v65, v71
	s_waitcnt lgkmcnt(1)
	v_mul_u32_u24_sdwa v65, v74, s27 dst_sel:DWORD dst_unused:UNUSED_PAD src0_sel:WORD_0 src1_sel:DWORD
	s_waitcnt lgkmcnt(0)
	v_pk_mul_f16 v68, v26, v65
	v_pk_mul_f16 v72, v27, v65
	v_pk_fma_f16 v78, v28, v65, v34
	v_pk_fma_f16 v79, v29, v65, v35
	ds_read2_b64 v[26:29], v40 offset0:64 offset1:96
	v_pk_mul_f16 v34, v64, v71
	v_pk_mul_f16 v35, v63, v71
	;; [unrolled: 1-line block ×4, first 2 shown]
	s_waitcnt lgkmcnt(0)
	v_pk_fma_f16 v63, v26, v65, v34
	v_pk_fma_f16 v64, v27, v65, v35
	;; [unrolled: 1-line block ×4, first 2 shown]
	ds_read2_b64 v[26:29], v40 offset0:192 offset1:224
	v_pk_fma_f16 v65, v67, v71, v68
	v_mul_u32_u24_sdwa v67, v74, s27 dst_sel:DWORD dst_unused:UNUSED_PAD src0_sel:WORD_1 src1_sel:DWORD
	v_pk_fma_f16 v66, v66, v71, v72
	v_lshl_add_u64 v[34:35], s[8:9], 0, v[16:17]
	s_waitcnt lgkmcnt(0)
	v_pk_fma_f16 v63, v26, v67, v63
	v_pk_fma_f16 v64, v27, v67, v64
	;; [unrolled: 1-line block ×4, first 2 shown]
	ds_read2_b64 v[26:29], v40 offset0:128 offset1:160
	s_waitcnt lgkmcnt(0)
	v_pk_fma_f16 v68, v28, v67, v78
	v_pk_fma_f16 v71, v29, v67, v79
	;; [unrolled: 1-line block ×4, first 2 shown]
	ds_read2_b64 v[26:29], v60 offset0:64 offset1:96
	v_mul_u32_u24_sdwa v67, v75, s27 dst_sel:DWORD dst_unused:UNUSED_PAD src0_sel:WORD_0 src1_sel:DWORD
	s_waitcnt lgkmcnt(0)
	v_pk_fma_f16 v63, v26, v67, v63
	v_pk_fma_f16 v64, v27, v67, v64
	;; [unrolled: 1-line block ×4, first 2 shown]
	ds_read2_b64 v[26:29], v60 offset1:32
	s_waitcnt lgkmcnt(0)
	v_pk_fma_f16 v68, v28, v67, v68
	v_pk_fma_f16 v71, v29, v67, v71
	;; [unrolled: 1-line block ×4, first 2 shown]
	ds_read2_b64 v[26:29], v60 offset0:192 offset1:224
	v_mul_u32_u24_sdwa v67, v75, s27 dst_sel:DWORD dst_unused:UNUSED_PAD src0_sel:WORD_1 src1_sel:DWORD
	v_lshl_add_u64 v[74:75], s[4:5], 0, v[16:17]
	s_waitcnt lgkmcnt(0)
	v_pk_fma_f16 v63, v26, v67, v63
	v_pk_fma_f16 v64, v27, v67, v64
	;; [unrolled: 1-line block ×4, first 2 shown]
	ds_read2_b64 v[26:29], v60 offset0:128 offset1:160
	s_waitcnt lgkmcnt(0)
	v_pk_fma_f16 v68, v28, v67, v68
	v_pk_fma_f16 v71, v29, v67, v71
	;; [unrolled: 1-line block ×4, first 2 shown]
	ds_read2_b64 v[26:29], v61 offset0:64 offset1:96
	v_mul_u32_u24_sdwa v67, v76, s27 dst_sel:DWORD dst_unused:UNUSED_PAD src0_sel:WORD_0 src1_sel:DWORD
	s_waitcnt lgkmcnt(0)
	v_pk_fma_f16 v63, v26, v67, v63
	v_pk_fma_f16 v64, v27, v67, v64
	;; [unrolled: 1-line block ×4, first 2 shown]
	ds_read2_b64 v[26:29], v61 offset1:32
	s_waitcnt lgkmcnt(0)
	v_pk_fma_f16 v68, v28, v67, v68
	v_pk_fma_f16 v71, v29, v67, v71
	;; [unrolled: 1-line block ×4, first 2 shown]
	ds_read2_b64 v[26:29], v61 offset0:192 offset1:224
	v_mul_u32_u24_sdwa v67, v76, s27 dst_sel:DWORD dst_unused:UNUSED_PAD src0_sel:WORD_1 src1_sel:DWORD
	s_waitcnt lgkmcnt(0)
	v_pk_fma_f16 v63, v26, v67, v63
	v_pk_fma_f16 v64, v27, v67, v64
	;; [unrolled: 1-line block ×4, first 2 shown]
	ds_read2_b64 v[26:29], v61 offset0:128 offset1:160
	s_waitcnt lgkmcnt(0)
	v_pk_fma_f16 v68, v28, v67, v68
	v_pk_fma_f16 v71, v29, v67, v71
	v_lshl_add_u64 v[28:29], v[34:35], 0, v[14:15]
	ds_read2_b64 v[34:37], v62 offset0:64 offset1:96
	v_pk_fma_f16 v65, v26, v67, v65
	v_pk_fma_f16 v66, v27, v67, v66
	v_mul_u32_u24_sdwa v67, v77, s27 dst_sel:DWORD dst_unused:UNUSED_PAD src0_sel:WORD_0 src1_sel:DWORD
	v_mul_u32_u24_sdwa v77, v77, s27 dst_sel:DWORD dst_unused:UNUSED_PAD src0_sel:WORD_1 src1_sel:DWORD
	s_waitcnt lgkmcnt(0)
	v_pk_fma_f16 v63, v34, v67, v63
	v_pk_fma_f16 v64, v35, v67, v64
	;; [unrolled: 1-line block ×4, first 2 shown]
	ds_read2_b64 v[34:37], v62 offset1:32
	v_lshl_add_u64 v[26:27], s[8:9], 0, v[18:19]
	v_lshl_add_u64 v[26:27], v[26:27], 0, v[14:15]
	s_or_b32 s8, s2, 40
	s_waitcnt lgkmcnt(0)
	v_pk_fma_f16 v68, v36, v67, v68
	v_pk_fma_f16 v71, v37, v67, v71
	;; [unrolled: 1-line block ×4, first 2 shown]
	ds_read2_b64 v[34:37], v62 offset0:192 offset1:224
	s_waitcnt lgkmcnt(0)
	v_pk_fma_f16 v63, v34, v77, v63
	v_pk_fma_f16 v78, v35, v77, v64
	v_pk_fma_f16 v72, v36, v77, v72
	v_pk_fma_f16 v76, v37, v77, v76
	ds_read2_b64 v[34:37], v62 offset0:128 offset1:160
	s_waitcnt lgkmcnt(0)
	s_barrier
	v_pk_fma_f16 v68, v36, v77, v68
	v_pk_fma_f16 v71, v37, v77, v71
	v_pk_fma_f16 v79, v34, v77, v65
	v_pk_fma_f16 v77, v35, v77, v66
	global_load_dwordx4 v[34:37], v[32:33], off
	global_load_dwordx4 v[64:67], v[32:33], off offset:512
	s_waitcnt vmcnt(1)
	ds_write_b128 v55, v[34:37]
	global_load_dwordx4 v[32:35], v[30:31], off
	s_waitcnt vmcnt(1)
	ds_write_b128 v56, v[64:67]
	global_load_dwordx4 v[64:67], v[30:31], off offset:512
	s_waitcnt vmcnt(1)
	ds_write_b128 v57, v[32:35]
	s_waitcnt vmcnt(0)
	ds_write_b128 v58, v[64:67]
	s_waitcnt lgkmcnt(0)
	s_barrier
	ds_read_b128 v[32:35], v53 offset:16
	ds_read2_b64 v[64:67], v40 offset1:32
	s_waitcnt lgkmcnt(1)
	v_mul_u32_u24_sdwa v30, v32, s27 dst_sel:DWORD dst_unused:UNUSED_PAD src0_sel:WORD_0 src1_sel:DWORD
	s_waitcnt lgkmcnt(0)
	v_pk_fma_f16 v31, v64, v30, v79
	v_pk_fma_f16 v36, v65, v30, v77
	;; [unrolled: 1-line block ×4, first 2 shown]
	ds_read2_b64 v[64:67], v40 offset0:64 offset1:96
	v_mul_u32_u24_sdwa v32, v32, s27 dst_sel:DWORD dst_unused:UNUSED_PAD src0_sel:WORD_1 src1_sel:DWORD
	v_mul_u32_u24_sdwa v77, v33, s27 dst_sel:DWORD dst_unused:UNUSED_PAD src0_sel:WORD_1 src1_sel:DWORD
	s_waitcnt lgkmcnt(0)
	v_pk_fma_f16 v63, v64, v30, v63
	v_pk_fma_f16 v71, v65, v30, v78
	;; [unrolled: 1-line block ×4, first 2 shown]
	ds_read2_b64 v[64:67], v40 offset0:128 offset1:160
	s_waitcnt lgkmcnt(0)
	v_pk_fma_f16 v31, v64, v32, v31
	v_pk_fma_f16 v36, v65, v32, v36
	;; [unrolled: 1-line block ×4, first 2 shown]
	ds_read2_b64 v[64:67], v40 offset0:192 offset1:224
	s_waitcnt lgkmcnt(0)
	v_pk_fma_f16 v63, v64, v32, v63
	v_pk_fma_f16 v71, v65, v32, v71
	v_pk_fma_f16 v72, v66, v32, v72
	v_pk_fma_f16 v30, v67, v32, v30
	ds_read2_b64 v[64:67], v60 offset1:32
	v_mul_u32_u24_sdwa v32, v33, s27 dst_sel:DWORD dst_unused:UNUSED_PAD src0_sel:WORD_0 src1_sel:DWORD
	s_waitcnt lgkmcnt(0)
	v_pk_fma_f16 v31, v64, v32, v31
	v_pk_fma_f16 v36, v65, v32, v36
	;; [unrolled: 1-line block ×4, first 2 shown]
	ds_read2_b64 v[64:67], v60 offset0:64 offset1:96
	s_waitcnt lgkmcnt(0)
	v_pk_fma_f16 v63, v64, v32, v63
	v_pk_fma_f16 v71, v65, v32, v71
	;; [unrolled: 1-line block ×4, first 2 shown]
	ds_read2_b64 v[64:67], v60 offset0:128 offset1:160
	s_waitcnt lgkmcnt(0)
	v_pk_fma_f16 v64, v64, v77, v31
	ds_read2_b64 v[30:33], v60 offset0:192 offset1:224
	v_pk_fma_f16 v36, v65, v77, v36
	v_pk_fma_f16 v37, v66, v77, v37
	;; [unrolled: 1-line block ×3, first 2 shown]
	s_waitcnt lgkmcnt(0)
	v_pk_fma_f16 v63, v30, v77, v63
	v_pk_fma_f16 v66, v31, v77, v71
	;; [unrolled: 1-line block ×4, first 2 shown]
	ds_read2_b64 v[30:33], v61 offset1:32
	v_mul_u32_u24_sdwa v71, v34, s27 dst_sel:DWORD dst_unused:UNUSED_PAD src0_sel:WORD_0 src1_sel:DWORD
	v_mul_u32_u24_sdwa v34, v34, s27 dst_sel:DWORD dst_unused:UNUSED_PAD src0_sel:WORD_1 src1_sel:DWORD
	v_mul_u32_u24_sdwa v76, v35, s27 dst_sel:DWORD dst_unused:UNUSED_PAD src0_sel:WORD_0 src1_sel:DWORD
	v_mul_u32_u24_sdwa v77, v35, s27 dst_sel:DWORD dst_unused:UNUSED_PAD src0_sel:WORD_1 src1_sel:DWORD
	s_waitcnt lgkmcnt(0)
	v_pk_fma_f16 v64, v30, v71, v64
	v_pk_fma_f16 v36, v31, v71, v36
	v_pk_fma_f16 v37, v32, v71, v37
	v_pk_fma_f16 v65, v33, v71, v65
	ds_read2_b64 v[30:33], v61 offset0:64 offset1:96
	s_waitcnt lgkmcnt(0)
	v_pk_fma_f16 v63, v30, v71, v63
	v_pk_fma_f16 v66, v31, v71, v66
	v_pk_fma_f16 v67, v32, v71, v67
	v_pk_fma_f16 v68, v33, v71, v68
	ds_read2_b64 v[30:33], v61 offset0:128 offset1:160
	;; [unrolled: 6-line block ×3, first 2 shown]
	s_waitcnt lgkmcnt(0)
	v_pk_fma_f16 v63, v30, v34, v63
	v_pk_fma_f16 v66, v31, v34, v66
	;; [unrolled: 1-line block ×4, first 2 shown]
	ds_read2_b64 v[34:37], v62 offset1:32
	v_lshl_add_u64 v[30:31], s[4:5], 0, v[18:19]
	s_mul_hi_i32 s5, s8, s10
	s_mul_i32 s4, s8, s10
	s_lshl_b64 s[4:5], s[4:5], 2
	s_waitcnt lgkmcnt(0)
	v_pk_fma_f16 v64, v34, v76, v64
	v_pk_fma_f16 v71, v35, v76, v71
	;; [unrolled: 1-line block ×4, first 2 shown]
	ds_read2_b64 v[34:37], v62 offset0:64 offset1:96
	s_add_u32 s4, s20, s4
	s_addc_u32 s5, s21, s5
	s_or_b32 s8, s2, 48
	v_lshl_add_u64 v[32:33], v[74:75], 0, v[14:15]
	s_waitcnt lgkmcnt(0)
	v_pk_fma_f16 v63, v34, v76, v63
	v_pk_fma_f16 v66, v35, v76, v66
	;; [unrolled: 1-line block ×4, first 2 shown]
	ds_read2_b64 v[34:37], v62 offset0:128 offset1:160
	v_lshl_add_u64 v[74:75], s[4:5], 0, v[16:17]
	v_lshl_add_u64 v[30:31], v[30:31], 0, v[14:15]
	s_waitcnt lgkmcnt(0)
	v_pk_fma_f16 v76, v34, v77, v64
	v_pk_fma_f16 v71, v35, v77, v71
	;; [unrolled: 1-line block ×4, first 2 shown]
	ds_read2_b64 v[34:37], v62 offset0:192 offset1:224
	s_waitcnt lgkmcnt(0)
	s_barrier
	v_pk_fma_f16 v63, v34, v77, v63
	v_pk_fma_f16 v79, v35, v77, v66
	;; [unrolled: 1-line block ×4, first 2 shown]
	global_load_dwordx4 v[34:37], v[24:25], off
	global_load_dwordx4 v[64:67], v[24:25], off offset:512
	s_waitcnt vmcnt(1)
	ds_write_b128 v55, v[34:37]
	global_load_dwordx4 v[34:37], v[22:23], off
	s_waitcnt vmcnt(1)
	ds_write_b128 v56, v[64:67]
	global_load_dwordx4 v[22:25], v[22:23], off offset:512
	s_waitcnt vmcnt(1)
	ds_write_b128 v57, v[34:37]
	s_waitcnt vmcnt(0)
	ds_write_b128 v58, v[22:25]
	s_waitcnt lgkmcnt(0)
	s_barrier
	ds_read_b128 v[34:37], v53 offset:32
	ds_read2_b64 v[22:25], v40 offset1:32
	s_waitcnt lgkmcnt(1)
	v_mul_u32_u24_sdwa v64, v34, s27 dst_sel:DWORD dst_unused:UNUSED_PAD src0_sel:WORD_0 src1_sel:DWORD
	s_waitcnt lgkmcnt(0)
	v_pk_fma_f16 v65, v22, v64, v76
	v_pk_fma_f16 v66, v23, v64, v71
	;; [unrolled: 1-line block ×4, first 2 shown]
	ds_read2_b64 v[22:25], v40 offset0:64 offset1:96
	v_mul_u32_u24_sdwa v34, v34, s27 dst_sel:DWORD dst_unused:UNUSED_PAD src0_sel:WORD_1 src1_sel:DWORD
	v_mul_u32_u24_sdwa v77, v37, s27 dst_sel:DWORD dst_unused:UNUSED_PAD src0_sel:WORD_1 src1_sel:DWORD
	s_waitcnt lgkmcnt(0)
	v_pk_fma_f16 v63, v22, v64, v63
	v_pk_fma_f16 v72, v23, v64, v79
	;; [unrolled: 1-line block ×4, first 2 shown]
	ds_read2_b64 v[22:25], v40 offset0:128 offset1:160
	s_waitcnt lgkmcnt(0)
	v_pk_fma_f16 v65, v22, v34, v65
	v_pk_fma_f16 v66, v23, v34, v66
	;; [unrolled: 1-line block ×4, first 2 shown]
	ds_read2_b64 v[22:25], v40 offset0:192 offset1:224
	s_waitcnt lgkmcnt(0)
	v_pk_fma_f16 v63, v22, v34, v63
	v_pk_fma_f16 v71, v23, v34, v72
	;; [unrolled: 1-line block ×4, first 2 shown]
	ds_read2_b64 v[22:25], v60 offset1:32
	v_mul_u32_u24_sdwa v64, v35, s27 dst_sel:DWORD dst_unused:UNUSED_PAD src0_sel:WORD_0 src1_sel:DWORD
	v_mul_u32_u24_sdwa v35, v35, s27 dst_sel:DWORD dst_unused:UNUSED_PAD src0_sel:WORD_1 src1_sel:DWORD
	v_mul_u32_u24_sdwa v76, v37, s27 dst_sel:DWORD dst_unused:UNUSED_PAD src0_sel:WORD_0 src1_sel:DWORD
	s_waitcnt lgkmcnt(0)
	v_pk_fma_f16 v65, v22, v64, v65
	v_pk_fma_f16 v66, v23, v64, v66
	v_pk_fma_f16 v67, v24, v64, v67
	v_pk_fma_f16 v68, v25, v64, v68
	ds_read2_b64 v[22:25], v60 offset0:64 offset1:96
	s_waitcnt lgkmcnt(0)
	v_pk_fma_f16 v63, v22, v64, v63
	v_pk_fma_f16 v71, v23, v64, v71
	v_pk_fma_f16 v72, v24, v64, v72
	v_pk_fma_f16 v34, v25, v64, v34
	ds_read2_b64 v[22:25], v60 offset0:128 offset1:160
	;; [unrolled: 6-line block ×3, first 2 shown]
	s_waitcnt lgkmcnt(0)
	v_pk_fma_f16 v63, v22, v35, v63
	v_pk_fma_f16 v68, v23, v35, v71
	;; [unrolled: 1-line block ×4, first 2 shown]
	ds_read2_b64 v[22:25], v61 offset1:32
	v_mul_u32_u24_sdwa v35, v36, s27 dst_sel:DWORD dst_unused:UNUSED_PAD src0_sel:WORD_0 src1_sel:DWORD
	s_waitcnt lgkmcnt(0)
	v_pk_fma_f16 v64, v22, v35, v64
	v_pk_fma_f16 v65, v23, v35, v65
	;; [unrolled: 1-line block ×4, first 2 shown]
	ds_read2_b64 v[22:25], v61 offset0:64 offset1:96
	s_waitcnt lgkmcnt(0)
	v_pk_fma_f16 v63, v22, v35, v63
	v_pk_fma_f16 v68, v23, v35, v68
	;; [unrolled: 1-line block ×4, first 2 shown]
	ds_read2_b64 v[22:25], v61 offset0:128 offset1:160
	v_mul_u32_u24_sdwa v35, v36, s27 dst_sel:DWORD dst_unused:UNUSED_PAD src0_sel:WORD_1 src1_sel:DWORD
	s_waitcnt lgkmcnt(0)
	v_pk_fma_f16 v64, v22, v35, v64
	v_pk_fma_f16 v65, v23, v35, v65
	;; [unrolled: 1-line block ×4, first 2 shown]
	ds_read2_b64 v[22:25], v61 offset0:192 offset1:224
	s_waitcnt lgkmcnt(0)
	v_pk_fma_f16 v63, v22, v35, v63
	v_pk_fma_f16 v68, v23, v35, v68
	v_pk_fma_f16 v71, v24, v35, v71
	v_pk_fma_f16 v72, v25, v35, v34
	ds_read2_b64 v[34:37], v62 offset1:32
	v_lshl_add_u64 v[22:23], s[4:5], 0, v[18:19]
	s_mul_hi_i32 s5, s8, s10
	s_mul_i32 s4, s8, s10
	s_lshl_b64 s[4:5], s[4:5], 2
	s_waitcnt lgkmcnt(0)
	v_pk_fma_f16 v64, v34, v76, v64
	v_pk_fma_f16 v65, v35, v76, v65
	;; [unrolled: 1-line block ×4, first 2 shown]
	ds_read2_b64 v[34:37], v62 offset0:64 offset1:96
	s_add_u32 s4, s20, s4
	s_addc_u32 s5, s21, s5
	s_or_b32 s8, s2, 56
	v_lshl_add_u64 v[24:25], v[74:75], 0, v[14:15]
	s_waitcnt lgkmcnt(0)
	v_pk_fma_f16 v63, v34, v76, v63
	v_pk_fma_f16 v68, v35, v76, v68
	;; [unrolled: 1-line block ×4, first 2 shown]
	ds_read2_b64 v[34:37], v62 offset0:128 offset1:160
	v_lshl_add_u64 v[74:75], s[4:5], 0, v[16:17]
	v_lshl_add_u64 v[22:23], v[22:23], 0, v[14:15]
	s_waitcnt lgkmcnt(0)
	v_pk_fma_f16 v76, v34, v77, v64
	v_pk_fma_f16 v78, v35, v77, v65
	;; [unrolled: 1-line block ×4, first 2 shown]
	ds_read2_b64 v[34:37], v62 offset0:192 offset1:224
	s_waitcnt lgkmcnt(0)
	s_barrier
	v_pk_fma_f16 v63, v34, v77, v63
	v_pk_fma_f16 v68, v35, v77, v68
	;; [unrolled: 1-line block ×4, first 2 shown]
	global_load_dwordx4 v[34:37], v[28:29], off
	global_load_dwordx4 v[64:67], v[28:29], off offset:512
	s_waitcnt vmcnt(1)
	ds_write_b128 v55, v[34:37]
	global_load_dwordx4 v[34:37], v[26:27], off
	s_waitcnt vmcnt(1)
	ds_write_b128 v56, v[64:67]
	global_load_dwordx4 v[26:29], v[26:27], off offset:512
	s_waitcnt vmcnt(1)
	ds_write_b128 v57, v[34:37]
	s_waitcnt vmcnt(0)
	ds_write_b128 v58, v[26:29]
	s_waitcnt lgkmcnt(0)
	s_barrier
	ds_read_b128 v[64:67], v53 offset:48
	ds_read2_b64 v[26:29], v40 offset1:32
	s_waitcnt lgkmcnt(1)
	v_mul_u32_u24_sdwa v34, v64, s27 dst_sel:DWORD dst_unused:UNUSED_PAD src0_sel:WORD_0 src1_sel:DWORD
	s_waitcnt lgkmcnt(0)
	v_pk_fma_f16 v35, v26, v34, v76
	v_pk_fma_f16 v36, v27, v34, v78
	;; [unrolled: 1-line block ×4, first 2 shown]
	ds_read2_b64 v[26:29], v40 offset0:64 offset1:96
	v_mul_u32_u24_sdwa v64, v64, s27 dst_sel:DWORD dst_unused:UNUSED_PAD src0_sel:WORD_1 src1_sel:DWORD
	s_waitcnt lgkmcnt(0)
	v_pk_fma_f16 v63, v26, v34, v63
	v_pk_fma_f16 v68, v27, v34, v68
	;; [unrolled: 1-line block ×4, first 2 shown]
	ds_read2_b64 v[26:29], v40 offset0:128 offset1:160
	s_waitcnt lgkmcnt(0)
	v_pk_fma_f16 v35, v26, v64, v35
	v_pk_fma_f16 v36, v27, v64, v36
	;; [unrolled: 1-line block ×4, first 2 shown]
	ds_read2_b64 v[26:29], v40 offset0:192 offset1:224
	s_waitcnt lgkmcnt(0)
	v_pk_fma_f16 v63, v26, v64, v63
	v_pk_fma_f16 v68, v27, v64, v68
	;; [unrolled: 1-line block ×4, first 2 shown]
	ds_read2_b64 v[26:29], v60 offset1:32
	v_mul_u32_u24_sdwa v64, v65, s27 dst_sel:DWORD dst_unused:UNUSED_PAD src0_sel:WORD_0 src1_sel:DWORD
	s_waitcnt lgkmcnt(0)
	v_pk_fma_f16 v35, v26, v64, v35
	v_pk_fma_f16 v36, v27, v64, v36
	;; [unrolled: 1-line block ×4, first 2 shown]
	ds_read2_b64 v[26:29], v60 offset0:64 offset1:96
	s_waitcnt lgkmcnt(0)
	v_pk_fma_f16 v63, v26, v64, v63
	v_pk_fma_f16 v68, v27, v64, v68
	;; [unrolled: 1-line block ×4, first 2 shown]
	ds_read2_b64 v[26:29], v60 offset0:128 offset1:160
	v_mul_u32_u24_sdwa v64, v65, s27 dst_sel:DWORD dst_unused:UNUSED_PAD src0_sel:WORD_1 src1_sel:DWORD
	s_waitcnt lgkmcnt(0)
	v_pk_fma_f16 v35, v26, v64, v35
	v_pk_fma_f16 v36, v27, v64, v36
	;; [unrolled: 1-line block ×4, first 2 shown]
	ds_read2_b64 v[26:29], v60 offset0:192 offset1:224
	v_add_f32_e32 v72, v21, v69
	v_fmac_f32_e32 v72, v73, v70
	v_mul_u32_u24_sdwa v21, v66, s27 dst_sel:DWORD dst_unused:UNUSED_PAD src0_sel:WORD_1 src1_sel:DWORD
	v_mul_u32_u24_sdwa v69, v67, s27 dst_sel:DWORD dst_unused:UNUSED_PAD src0_sel:WORD_0 src1_sel:DWORD
	s_waitcnt lgkmcnt(0)
	v_pk_fma_f16 v63, v26, v64, v63
	v_pk_fma_f16 v68, v27, v64, v68
	;; [unrolled: 1-line block ×4, first 2 shown]
	ds_read2_b64 v[26:29], v61 offset1:32
	v_mul_u32_u24_sdwa v64, v66, s27 dst_sel:DWORD dst_unused:UNUSED_PAD src0_sel:WORD_0 src1_sel:DWORD
	v_mul_u32_u24_sdwa v70, v67, s27 dst_sel:DWORD dst_unused:UNUSED_PAD src0_sel:WORD_1 src1_sel:DWORD
	s_waitcnt lgkmcnt(0)
	v_pk_fma_f16 v76, v26, v64, v35
	v_pk_fma_f16 v77, v27, v64, v36
	;; [unrolled: 1-line block ×4, first 2 shown]
	ds_read2_b64 v[26:29], v61 offset0:64 offset1:96
	v_lshl_add_u64 v[36:37], v[74:75], 0, v[14:15]
	s_waitcnt lgkmcnt(0)
	v_pk_fma_f16 v63, v26, v64, v63
	v_pk_fma_f16 v68, v27, v64, v68
	v_lshl_add_u64 v[26:27], s[4:5], 0, v[18:19]
	s_mul_hi_i32 s5, s8, s10
	s_mul_i32 s4, s8, s10
	s_lshl_b64 s[4:5], s[4:5], 2
	s_add_u32 s4, s20, s4
	s_addc_u32 s5, s21, s5
	v_pk_fma_f16 v71, v28, v64, v71
	v_pk_fma_f16 v80, v29, v64, v34
	v_lshl_add_u64 v[34:35], v[26:27], 0, v[14:15]
	v_lshl_add_u64 v[26:27], s[4:5], 0, v[16:17]
	;; [unrolled: 1-line block ×5, first 2 shown]
	ds_read2_b64 v[64:67], v61 offset0:128 offset1:160
	s_waitcnt lgkmcnt(0)
	v_pk_fma_f16 v73, v64, v21, v76
	v_pk_fma_f16 v74, v65, v21, v77
	;; [unrolled: 1-line block ×4, first 2 shown]
	ds_read2_b64 v[64:67], v61 offset0:192 offset1:224
	s_waitcnt lgkmcnt(0)
	v_pk_fma_f16 v63, v64, v21, v63
	v_pk_fma_f16 v68, v65, v21, v68
	;; [unrolled: 1-line block ×4, first 2 shown]
	ds_read2_b64 v[64:67], v62 offset1:32
	s_waitcnt lgkmcnt(0)
	v_pk_fma_f16 v73, v64, v69, v73
	v_pk_fma_f16 v74, v65, v69, v74
	v_pk_fma_f16 v75, v66, v69, v75
	v_pk_fma_f16 v76, v67, v69, v76
	ds_read2_b64 v[64:67], v62 offset0:64 offset1:96
	s_waitcnt lgkmcnt(0)
	v_pk_fma_f16 v63, v64, v69, v63
	v_pk_fma_f16 v68, v65, v69, v68
	v_pk_fma_f16 v71, v66, v69, v71
	v_pk_fma_f16 v21, v67, v69, v21
	ds_read2_b64 v[64:67], v62 offset0:128 offset1:160
	;; [unrolled: 6-line block ×3, first 2 shown]
	s_waitcnt lgkmcnt(0)
	s_barrier
	v_pk_fma_f16 v63, v64, v70, v63
	v_pk_fma_f16 v77, v65, v70, v68
	;; [unrolled: 1-line block ×4, first 2 shown]
	global_load_dwordx4 v[64:67], v[32:33], off
	global_load_dwordx4 v[68:71], v[32:33], off offset:512
	s_waitcnt vmcnt(1)
	ds_write_b128 v55, v[64:67]
	global_load_dwordx4 v[64:67], v[30:31], off
	s_waitcnt vmcnt(1)
	ds_write_b128 v56, v[68:71]
	global_load_dwordx4 v[30:33], v[30:31], off offset:512
	s_waitcnt vmcnt(1)
	ds_write_b128 v57, v[64:67]
	s_waitcnt vmcnt(0)
	ds_write_b128 v58, v[30:33]
	s_waitcnt lgkmcnt(0)
	s_barrier
	ds_read_b128 v[30:33], v53 offset:64
	ds_read2_b64 v[64:67], v40 offset1:32
	s_waitcnt lgkmcnt(1)
	v_mul_u32_u24_sdwa v68, v30, s27 dst_sel:DWORD dst_unused:UNUSED_PAD src0_sel:WORD_0 src1_sel:DWORD
	s_waitcnt lgkmcnt(0)
	v_pk_fma_f16 v69, v64, v68, v73
	v_pk_fma_f16 v70, v65, v68, v74
	;; [unrolled: 1-line block ×4, first 2 shown]
	ds_read2_b64 v[64:67], v40 offset0:64 offset1:96
	v_mul_u32_u24_sdwa v30, v30, s27 dst_sel:DWORD dst_unused:UNUSED_PAD src0_sel:WORD_1 src1_sel:DWORD
	v_mul_u32_u24_sdwa v76, v33, s27 dst_sel:DWORD dst_unused:UNUSED_PAD src0_sel:WORD_0 src1_sel:DWORD
	s_waitcnt lgkmcnt(0)
	v_pk_fma_f16 v63, v64, v68, v63
	v_pk_fma_f16 v74, v65, v68, v77
	;; [unrolled: 1-line block ×4, first 2 shown]
	ds_read2_b64 v[64:67], v40 offset0:128 offset1:160
	v_mul_u32_u24_sdwa v77, v33, s27 dst_sel:DWORD dst_unused:UNUSED_PAD src0_sel:WORD_1 src1_sel:DWORD
	s_waitcnt lgkmcnt(0)
	v_pk_fma_f16 v68, v64, v30, v69
	v_pk_fma_f16 v69, v65, v30, v70
	;; [unrolled: 1-line block ×4, first 2 shown]
	ds_read2_b64 v[64:67], v40 offset0:192 offset1:224
	s_waitcnt lgkmcnt(0)
	v_pk_fma_f16 v63, v64, v30, v63
	v_pk_fma_f16 v73, v65, v30, v74
	;; [unrolled: 1-line block ×4, first 2 shown]
	ds_read2_b64 v[64:67], v60 offset1:32
	v_mul_u32_u24_sdwa v30, v31, s27 dst_sel:DWORD dst_unused:UNUSED_PAD src0_sel:WORD_0 src1_sel:DWORD
	v_mul_u32_u24_sdwa v75, v32, s27 dst_sel:DWORD dst_unused:UNUSED_PAD src0_sel:WORD_1 src1_sel:DWORD
	s_waitcnt lgkmcnt(0)
	v_pk_fma_f16 v68, v64, v30, v68
	v_pk_fma_f16 v69, v65, v30, v69
	;; [unrolled: 1-line block ×4, first 2 shown]
	ds_read2_b64 v[64:67], v60 offset0:64 offset1:96
	s_waitcnt lgkmcnt(0)
	v_pk_fma_f16 v63, v64, v30, v63
	v_pk_fma_f16 v73, v65, v30, v73
	;; [unrolled: 1-line block ×4, first 2 shown]
	ds_read2_b64 v[64:67], v60 offset0:128 offset1:160
	v_mul_u32_u24_sdwa v30, v31, s27 dst_sel:DWORD dst_unused:UNUSED_PAD src0_sel:WORD_1 src1_sel:DWORD
	s_waitcnt lgkmcnt(0)
	v_pk_fma_f16 v31, v64, v30, v68
	v_pk_fma_f16 v68, v65, v30, v69
	;; [unrolled: 1-line block ×4, first 2 shown]
	ds_read2_b64 v[64:67], v60 offset0:192 offset1:224
	s_waitcnt lgkmcnt(0)
	v_pk_fma_f16 v63, v64, v30, v63
	v_pk_fma_f16 v71, v65, v30, v73
	;; [unrolled: 1-line block ×4, first 2 shown]
	ds_read2_b64 v[64:67], v61 offset1:32
	v_mul_u32_u24_sdwa v30, v32, s27 dst_sel:DWORD dst_unused:UNUSED_PAD src0_sel:WORD_0 src1_sel:DWORD
	s_waitcnt lgkmcnt(0)
	v_pk_fma_f16 v74, v64, v30, v31
	v_pk_fma_f16 v68, v65, v30, v68
	;; [unrolled: 1-line block ×4, first 2 shown]
	ds_read2_b64 v[64:67], v61 offset0:64 offset1:96
	s_waitcnt lgkmcnt(0)
	v_pk_fma_f16 v63, v64, v30, v63
	v_pk_fma_f16 v71, v65, v30, v71
	;; [unrolled: 1-line block ×4, first 2 shown]
	ds_read2_b64 v[64:67], v61 offset0:128 offset1:160
	ds_read2_b64 v[30:33], v61 offset0:192 offset1:224
	s_waitcnt lgkmcnt(1)
	v_pk_fma_f16 v74, v64, v75, v74
	v_pk_fma_f16 v68, v65, v75, v68
	;; [unrolled: 1-line block ×4, first 2 shown]
	ds_read2_b64 v[64:67], v62 offset1:32
	s_waitcnt lgkmcnt(1)
	v_pk_fma_f16 v63, v30, v75, v63
	v_pk_fma_f16 v71, v31, v75, v71
	v_pk_fma_f16 v73, v32, v75, v73
	v_pk_fma_f16 v21, v33, v75, v21
	ds_read2_b64 v[30:33], v62 offset0:64 offset1:96
	s_waitcnt lgkmcnt(1)
	v_pk_fma_f16 v74, v64, v76, v74
	v_pk_fma_f16 v68, v65, v76, v68
	v_pk_fma_f16 v69, v66, v76, v69
	v_pk_fma_f16 v70, v67, v76, v70
	ds_read2_b64 v[64:67], v62 offset0:128 offset1:160
	;; [unrolled: 6-line block ×3, first 2 shown]
	s_waitcnt lgkmcnt(0)
	s_barrier
	v_pk_fma_f16 v74, v64, v77, v74
	v_pk_fma_f16 v76, v65, v77, v68
	;; [unrolled: 1-line block ×4, first 2 shown]
	global_load_dwordx4 v[64:67], v[24:25], off
	global_load_dwordx4 v[68:71], v[24:25], off offset:512
	v_pk_fma_f16 v63, v30, v77, v63
	v_pk_fma_f16 v75, v31, v77, v75
	;; [unrolled: 1-line block ×4, first 2 shown]
	global_load_dwordx4 v[30:33], v[22:23], off
	s_waitcnt vmcnt(2)
	ds_write_b128 v55, v[64:67]
	global_load_dwordx4 v[22:25], v[22:23], off offset:512
	s_waitcnt vmcnt(2)
	ds_write_b128 v56, v[68:71]
	s_waitcnt vmcnt(1)
	ds_write_b128 v57, v[30:33]
	;; [unrolled: 2-line block ×3, first 2 shown]
	s_waitcnt lgkmcnt(0)
	s_barrier
	ds_read_b128 v[22:25], v53 offset:80
	ds_read2_b64 v[30:33], v40 offset1:32
	ds_read2_b64 v[64:67], v40 offset0:64 offset1:96
	s_waitcnt lgkmcnt(2)
	v_mul_u32_u24_sdwa v68, v22, s27 dst_sel:DWORD dst_unused:UNUSED_PAD src0_sel:WORD_0 src1_sel:DWORD
	s_waitcnt lgkmcnt(1)
	v_pk_fma_f16 v69, v30, v68, v74
	v_pk_fma_f16 v70, v31, v68, v76
	v_pk_fma_f16 v71, v32, v68, v78
	v_pk_fma_f16 v74, v33, v68, v79
	ds_read2_b64 v[30:33], v40 offset0:128 offset1:160
	s_waitcnt lgkmcnt(1)
	v_pk_fma_f16 v63, v64, v68, v63
	v_pk_fma_f16 v75, v65, v68, v75
	;; [unrolled: 1-line block ×4, first 2 shown]
	ds_read2_b64 v[64:67], v40 offset0:192 offset1:224
	v_mul_u32_u24_sdwa v22, v22, s27 dst_sel:DWORD dst_unused:UNUSED_PAD src0_sel:WORD_1 src1_sel:DWORD
	s_waitcnt lgkmcnt(1)
	v_pk_fma_f16 v68, v30, v22, v69
	v_pk_fma_f16 v69, v31, v22, v70
	;; [unrolled: 1-line block ×4, first 2 shown]
	ds_read2_b64 v[30:33], v60 offset1:32
	s_waitcnt lgkmcnt(1)
	v_pk_fma_f16 v63, v64, v22, v63
	v_pk_fma_f16 v74, v65, v22, v75
	;; [unrolled: 1-line block ×4, first 2 shown]
	ds_read2_b64 v[64:67], v60 offset0:64 offset1:96
	v_mul_u32_u24_sdwa v22, v23, s27 dst_sel:DWORD dst_unused:UNUSED_PAD src0_sel:WORD_0 src1_sel:DWORD
	s_waitcnt lgkmcnt(1)
	v_pk_fma_f16 v68, v30, v22, v68
	v_pk_fma_f16 v69, v31, v22, v69
	;; [unrolled: 1-line block ×4, first 2 shown]
	ds_read2_b64 v[30:33], v60 offset0:128 offset1:160
	s_waitcnt lgkmcnt(1)
	v_pk_fma_f16 v63, v64, v22, v63
	v_pk_fma_f16 v74, v65, v22, v74
	;; [unrolled: 1-line block ×4, first 2 shown]
	ds_read2_b64 v[64:67], v60 offset0:192 offset1:224
	v_mul_u32_u24_sdwa v22, v23, s27 dst_sel:DWORD dst_unused:UNUSED_PAD src0_sel:WORD_1 src1_sel:DWORD
	s_waitcnt lgkmcnt(1)
	v_pk_fma_f16 v23, v30, v22, v68
	v_pk_fma_f16 v68, v31, v22, v69
	;; [unrolled: 1-line block ×4, first 2 shown]
	ds_read2_b64 v[30:33], v61 offset1:32
	s_waitcnt lgkmcnt(1)
	v_pk_fma_f16 v63, v64, v22, v63
	v_pk_fma_f16 v71, v65, v22, v74
	;; [unrolled: 1-line block ×4, first 2 shown]
	ds_read2_b64 v[64:67], v61 offset0:64 offset1:96
	v_mul_u32_u24_sdwa v22, v24, s27 dst_sel:DWORD dst_unused:UNUSED_PAD src0_sel:WORD_0 src1_sel:DWORD
	s_waitcnt lgkmcnt(1)
	v_pk_fma_f16 v74, v30, v22, v23
	v_pk_fma_f16 v68, v31, v22, v68
	;; [unrolled: 1-line block ×4, first 2 shown]
	ds_read2_b64 v[30:33], v61 offset0:128 offset1:160
	s_waitcnt lgkmcnt(1)
	v_pk_fma_f16 v63, v64, v22, v63
	v_pk_fma_f16 v71, v65, v22, v71
	;; [unrolled: 1-line block ×4, first 2 shown]
	ds_read2_b64 v[64:67], v61 offset0:192 offset1:224
	v_mul_u32_u24_sdwa v75, v24, s27 dst_sel:DWORD dst_unused:UNUSED_PAD src0_sel:WORD_1 src1_sel:DWORD
	v_mul_u32_u24_sdwa v76, v25, s27 dst_sel:DWORD dst_unused:UNUSED_PAD src0_sel:WORD_0 src1_sel:DWORD
	v_mul_u32_u24_sdwa v77, v25, s27 dst_sel:DWORD dst_unused:UNUSED_PAD src0_sel:WORD_1 src1_sel:DWORD
	ds_read2_b64 v[22:25], v62 offset1:32
	s_waitcnt lgkmcnt(2)
	v_pk_fma_f16 v74, v30, v75, v74
	v_pk_fma_f16 v68, v31, v75, v68
	v_pk_fma_f16 v69, v32, v75, v69
	v_pk_fma_f16 v70, v33, v75, v70
	ds_read2_b64 v[30:33], v62 offset0:64 offset1:96
	s_waitcnt lgkmcnt(2)
	v_pk_fma_f16 v63, v64, v75, v63
	v_pk_fma_f16 v71, v65, v75, v71
	v_pk_fma_f16 v73, v66, v75, v73
	v_pk_fma_f16 v21, v67, v75, v21
	ds_read2_b64 v[64:67], v62 offset0:128 offset1:160
	;; [unrolled: 6-line block ×3, first 2 shown]
	s_waitcnt lgkmcnt(0)
	s_barrier
	v_pk_fma_f16 v63, v30, v76, v63
	v_pk_fma_f16 v80, v31, v76, v71
	;; [unrolled: 1-line block ×4, first 2 shown]
	global_load_dwordx4 v[30:33], v[36:37], off
	global_load_dwordx4 v[68:71], v[36:37], off offset:512
	v_pk_fma_f16 v74, v64, v77, v74
	v_pk_fma_f16 v75, v65, v77, v75
	;; [unrolled: 1-line block ×4, first 2 shown]
	global_load_dwordx4 v[64:67], v[34:35], off
	v_pk_fma_f16 v63, v22, v77, v63
	v_pk_fma_f16 v79, v23, v77, v80
	;; [unrolled: 1-line block ×4, first 2 shown]
	global_load_dwordx4 v[22:25], v[34:35], off offset:512
	s_waitcnt vmcnt(3)
	ds_write_b128 v55, v[30:33]
	s_waitcnt vmcnt(2)
	ds_write_b128 v56, v[68:71]
	;; [unrolled: 2-line block ×4, first 2 shown]
	s_waitcnt lgkmcnt(0)
	s_barrier
	ds_read_b128 v[22:25], v53 offset:96
	ds_read2_b64 v[30:33], v40 offset1:32
	ds_read2_b64 v[34:37], v40 offset0:64 offset1:96
	ds_read2_b64 v[64:67], v40 offset0:128 offset1:160
	s_waitcnt lgkmcnt(3)
	v_mul_u32_u24_sdwa v68, v22, s27 dst_sel:DWORD dst_unused:UNUSED_PAD src0_sel:WORD_0 src1_sel:DWORD
	s_waitcnt lgkmcnt(2)
	v_pk_fma_f16 v69, v30, v68, v74
	v_pk_fma_f16 v70, v31, v68, v75
	;; [unrolled: 1-line block ×4, first 2 shown]
	ds_read2_b64 v[30:33], v40 offset0:192 offset1:224
	s_waitcnt lgkmcnt(2)
	v_pk_fma_f16 v63, v34, v68, v63
	v_pk_fma_f16 v75, v35, v68, v79
	;; [unrolled: 1-line block ×4, first 2 shown]
	ds_read2_b64 v[34:37], v60 offset1:32
	v_mul_u32_u24_sdwa v22, v22, s27 dst_sel:DWORD dst_unused:UNUSED_PAD src0_sel:WORD_1 src1_sel:DWORD
	s_waitcnt lgkmcnt(2)
	v_pk_fma_f16 v68, v64, v22, v69
	v_pk_fma_f16 v69, v65, v22, v70
	;; [unrolled: 1-line block ×4, first 2 shown]
	ds_read2_b64 v[64:67], v60 offset0:64 offset1:96
	s_waitcnt lgkmcnt(2)
	v_pk_fma_f16 v63, v30, v22, v63
	v_pk_fma_f16 v74, v31, v22, v75
	;; [unrolled: 1-line block ×4, first 2 shown]
	ds_read2_b64 v[30:33], v60 offset0:128 offset1:160
	v_mul_u32_u24_sdwa v22, v23, s27 dst_sel:DWORD dst_unused:UNUSED_PAD src0_sel:WORD_0 src1_sel:DWORD
	s_waitcnt lgkmcnt(2)
	v_pk_fma_f16 v68, v34, v22, v68
	v_pk_fma_f16 v69, v35, v22, v69
	;; [unrolled: 1-line block ×4, first 2 shown]
	ds_read2_b64 v[34:37], v60 offset0:192 offset1:224
	s_waitcnt lgkmcnt(2)
	v_pk_fma_f16 v63, v64, v22, v63
	v_pk_fma_f16 v74, v65, v22, v74
	;; [unrolled: 1-line block ×4, first 2 shown]
	v_mul_u32_u24_sdwa v22, v23, s27 dst_sel:DWORD dst_unused:UNUSED_PAD src0_sel:WORD_1 src1_sel:DWORD
	ds_read2_b64 v[64:67], v61 offset1:32
	s_waitcnt lgkmcnt(2)
	v_pk_fma_f16 v23, v30, v22, v68
	v_pk_fma_f16 v68, v31, v22, v69
	;; [unrolled: 1-line block ×4, first 2 shown]
	ds_read2_b64 v[30:33], v61 offset0:64 offset1:96
	s_waitcnt lgkmcnt(2)
	v_pk_fma_f16 v63, v34, v22, v63
	v_pk_fma_f16 v71, v35, v22, v74
	;; [unrolled: 1-line block ×4, first 2 shown]
	ds_read2_b64 v[34:37], v61 offset0:128 offset1:160
	v_mul_u32_u24_sdwa v22, v24, s27 dst_sel:DWORD dst_unused:UNUSED_PAD src0_sel:WORD_0 src1_sel:DWORD
	s_waitcnt lgkmcnt(2)
	v_pk_fma_f16 v23, v64, v22, v23
	v_pk_fma_f16 v68, v65, v22, v68
	;; [unrolled: 1-line block ×4, first 2 shown]
	ds_read2_b64 v[64:67], v61 offset0:192 offset1:224
	s_waitcnt lgkmcnt(2)
	v_pk_fma_f16 v63, v30, v22, v63
	v_pk_fma_f16 v71, v31, v22, v71
	;; [unrolled: 1-line block ×4, first 2 shown]
	v_mul_u32_u24_sdwa v22, v24, s27 dst_sel:DWORD dst_unused:UNUSED_PAD src0_sel:WORD_1 src1_sel:DWORD
	ds_read2_b64 v[30:33], v62 offset1:32
	s_waitcnt lgkmcnt(2)
	v_pk_fma_f16 v23, v34, v22, v23
	v_pk_fma_f16 v24, v35, v22, v68
	;; [unrolled: 1-line block ×4, first 2 shown]
	ds_read2_b64 v[34:37], v62 offset0:64 offset1:96
	s_waitcnt lgkmcnt(2)
	v_pk_fma_f16 v63, v64, v22, v63
	v_pk_fma_f16 v70, v65, v22, v71
	;; [unrolled: 1-line block ×4, first 2 shown]
	v_mul_u32_u24_sdwa v22, v25, s27 dst_sel:DWORD dst_unused:UNUSED_PAD src0_sel:WORD_0 src1_sel:DWORD
	ds_read2_b64 v[64:67], v62 offset0:128 offset1:160
	s_waitcnt lgkmcnt(2)
	v_pk_fma_f16 v73, v30, v22, v23
	v_pk_fma_f16 v74, v31, v22, v24
	;; [unrolled: 1-line block ×4, first 2 shown]
	ds_read2_b64 v[30:33], v62 offset0:192 offset1:224
	s_waitcnt lgkmcnt(0)
	s_barrier
	v_pk_fma_f16 v63, v34, v22, v63
	v_pk_fma_f16 v77, v35, v22, v70
	;; [unrolled: 1-line block ×4, first 2 shown]
	global_load_dwordx4 v[34:37], v[28:29], off
	global_load_dwordx4 v[68:71], v[28:29], off offset:512
	v_mul_u32_u24_sdwa v79, v25, s27 dst_sel:DWORD dst_unused:UNUSED_PAD src0_sel:WORD_1 src1_sel:DWORD
	global_load_dwordx4 v[22:25], v[26:27], off
	v_pk_fma_f16 v73, v64, v79, v73
	global_load_dwordx4 v[26:29], v[26:27], off offset:512
	v_pk_fma_f16 v74, v65, v79, v74
	v_pk_fma_f16 v75, v66, v79, v75
	;; [unrolled: 1-line block ×7, first 2 shown]
	s_waitcnt vmcnt(3)
	ds_write_b128 v55, v[34:37]
	s_waitcnt vmcnt(2)
	ds_write_b128 v56, v[68:71]
	s_waitcnt vmcnt(1)
	ds_write_b128 v57, v[22:25]
	s_waitcnt vmcnt(0)
	ds_write_b128 v58, v[26:29]
	s_waitcnt lgkmcnt(0)
	s_barrier
	ds_read_b128 v[22:25], v53 offset:112
	ds_read2_b64 v[26:29], v40 offset1:32
	ds_read2_b64 v[30:33], v40 offset0:64 offset1:96
	ds_read2_b64 v[34:37], v40 offset0:128 offset1:160
	;; [unrolled: 1-line block ×3, first 2 shown]
	s_waitcnt lgkmcnt(4)
	v_mul_u32_u24_sdwa v68, v22, s27 dst_sel:DWORD dst_unused:UNUSED_PAD src0_sel:WORD_0 src1_sel:DWORD
	s_waitcnt lgkmcnt(3)
	v_pk_fma_f16 v69, v26, v68, v73
	v_pk_fma_f16 v70, v27, v68, v74
	;; [unrolled: 1-line block ×4, first 2 shown]
	ds_read2_b64 v[26:29], v60 offset1:32
	s_waitcnt lgkmcnt(3)
	v_pk_fma_f16 v63, v30, v68, v63
	v_pk_fma_f16 v74, v31, v68, v77
	;; [unrolled: 1-line block ×4, first 2 shown]
	ds_read2_b64 v[30:33], v60 offset0:64 offset1:96
	v_mul_u32_u24_sdwa v22, v22, s27 dst_sel:DWORD dst_unused:UNUSED_PAD src0_sel:WORD_1 src1_sel:DWORD
	s_waitcnt lgkmcnt(3)
	v_pk_fma_f16 v68, v34, v22, v69
	v_pk_fma_f16 v69, v35, v22, v70
	;; [unrolled: 1-line block ×4, first 2 shown]
	ds_read2_b64 v[34:37], v60 offset0:128 offset1:160
	s_waitcnt lgkmcnt(3)
	v_pk_fma_f16 v63, v64, v22, v63
	v_pk_fma_f16 v73, v65, v22, v74
	v_pk_fma_f16 v74, v66, v22, v75
	v_pk_fma_f16 v21, v67, v22, v21
	ds_read2_b64 v[64:67], v60 offset0:192 offset1:224
	v_mul_u32_u24_sdwa v22, v23, s27 dst_sel:DWORD dst_unused:UNUSED_PAD src0_sel:WORD_0 src1_sel:DWORD
	s_waitcnt lgkmcnt(3)
	v_pk_fma_f16 v68, v26, v22, v68
	v_pk_fma_f16 v69, v27, v22, v69
	;; [unrolled: 1-line block ×4, first 2 shown]
	ds_read2_b64 v[26:29], v61 offset1:32
	s_waitcnt lgkmcnt(3)
	v_pk_fma_f16 v63, v30, v22, v63
	v_pk_fma_f16 v73, v31, v22, v73
	;; [unrolled: 1-line block ×4, first 2 shown]
	v_mul_u32_u24_sdwa v22, v23, s27 dst_sel:DWORD dst_unused:UNUSED_PAD src0_sel:WORD_1 src1_sel:DWORD
	ds_read2_b64 v[30:33], v61 offset0:64 offset1:96
	s_waitcnt lgkmcnt(3)
	v_pk_fma_f16 v23, v34, v22, v68
	v_pk_fma_f16 v68, v35, v22, v69
	;; [unrolled: 1-line block ×4, first 2 shown]
	ds_read2_b64 v[34:37], v61 offset0:128 offset1:160
	s_waitcnt lgkmcnt(3)
	v_pk_fma_f16 v63, v64, v22, v63
	v_pk_fma_f16 v71, v65, v22, v73
	;; [unrolled: 1-line block ×4, first 2 shown]
	v_mul_u32_u24_sdwa v22, v24, s27 dst_sel:DWORD dst_unused:UNUSED_PAD src0_sel:WORD_0 src1_sel:DWORD
	s_waitcnt lgkmcnt(2)
	v_pk_fma_f16 v74, v26, v22, v23
	v_mul_u32_u24_sdwa v78, v24, s27 dst_sel:DWORD dst_unused:UNUSED_PAD src0_sel:WORD_1 src1_sel:DWORD
	ds_read2_b64 v[64:67], v61 offset0:192 offset1:224
	v_pk_fma_f16 v68, v27, v22, v68
	v_pk_fma_f16 v69, v28, v22, v69
	;; [unrolled: 1-line block ×3, first 2 shown]
	ds_read2_b64 v[26:29], v62 offset1:32
	s_waitcnt lgkmcnt(3)
	v_pk_fma_f16 v63, v30, v22, v63
	v_pk_fma_f16 v71, v31, v22, v71
	;; [unrolled: 1-line block ×4, first 2 shown]
	ds_read2_b64 v[30:33], v62 offset0:64 offset1:96
	v_mul_u32_u24_sdwa v79, v25, s27 dst_sel:DWORD dst_unused:UNUSED_PAD src0_sel:WORD_0 src1_sel:DWORD
	v_mul_u32_u24_sdwa v80, v25, s27 dst_sel:DWORD dst_unused:UNUSED_PAD src0_sel:WORD_1 src1_sel:DWORD
	ds_read2_b64 v[22:25], v62 offset0:128 offset1:160
	s_waitcnt lgkmcnt(4)
	v_pk_fma_f16 v34, v34, v78, v74
	ds_read2_b64 v[74:77], v62 offset0:192 offset1:224
	s_waitcnt lgkmcnt(0)
	s_barrier
	s_load_dword s4, s[6:7], 0x4
	v_pk_fma_f16 v35, v35, v78, v68
	v_pk_fma_f16 v36, v36, v78, v69
	;; [unrolled: 1-line block ×4, first 2 shown]
	s_waitcnt lgkmcnt(0)
	s_lshl_b32 s4, s4, 6
	v_pk_fma_f16 v64, v65, v78, v71
	v_pk_fma_f16 v65, v66, v78, v73
	;; [unrolled: 1-line block ×3, first 2 shown]
	s_add_i32 s2, s4, s2
	v_pk_fma_f16 v26, v26, v79, v34
	v_pk_fma_f16 v27, v27, v79, v35
	v_pk_fma_f16 v28, v28, v79, v36
	v_pk_fma_f16 v29, v29, v79, v37
	v_pk_fma_f16 v30, v30, v79, v63
	v_pk_fma_f16 v31, v31, v79, v64
	v_pk_fma_f16 v32, v32, v79, v65
	v_pk_fma_f16 v21, v33, v79, v21
	s_cmp_ge_i32 s2, s28
	v_pk_fma_f16 v67, v22, v80, v26
	v_pk_fma_f16 v66, v23, v80, v27
	;; [unrolled: 1-line block ×8, first 2 shown]
	s_cbranch_scc0 .LBB23_9
.LBB23_10:
	v_cmp_lt_i32_e32 vcc, v47, v42
	s_cmp_lg_u64 s[12:13], 0
	s_cselect_b64 s[4:5], -1, 0
	v_cndmask_b32_e32 v0, v13, v47, vcc
	v_lshlrev_b32_e32 v0, 2, v0
	ds_bpermute_b32 v0, v0, v72
	v_cmp_lt_i32_e32 vcc, v46, v42
	s_cmp_eq_u32 s3, 0
	s_cselect_b64 s[6:7], -1, 0
	v_cndmask_b32_e32 v1, v13, v46, vcc
	v_lshlrev_b32_e32 v1, 2, v1
	s_waitcnt lgkmcnt(0)
	v_add_f32_e32 v0, v72, v0
	ds_bpermute_b32 v1, v1, v0
	v_cmp_lt_i32_e32 vcc, v45, v42
	s_and_b64 s[4:5], s[6:7], s[4:5]
	s_waitcnt lgkmcnt(0)
	v_add_f32_e32 v0, v0, v1
	v_cndmask_b32_e32 v4, v13, v45, vcc
	v_lshlrev_b32_e32 v4, 2, v4
	ds_bpermute_b32 v1, v4, v0
	v_cmp_lt_i32_e32 vcc, v43, v42
	s_waitcnt lgkmcnt(0)
	v_add_f32_e32 v1, v0, v1
	v_cndmask_b32_e32 v4, v13, v43, vcc
	v_lshlrev_b32_e32 v4, 2, v4
	ds_bpermute_b32 v4, v4, v1
	v_cmp_lt_i32_e32 vcc, v44, v42
	v_add_u32_e32 v0, s29, v38
	s_waitcnt lgkmcnt(0)
	v_add_f32_e32 v1, v1, v4
	v_cndmask_b32_e32 v5, v13, v44, vcc
	v_lshlrev_b32_e32 v5, 2, v5
	ds_bpermute_b32 v4, v5, v1
	s_and_b64 vcc, exec, s[4:5]
	s_waitcnt lgkmcnt(0)
	v_add_f32_e32 v21, v1, v4
	s_cbranch_vccz .LBB23_12
; %bb.11:
	v_ashrrev_i32_e32 v1, 31, v0
	v_lshl_add_u64 v[4:5], v[0:1], 2, s[12:13]
	global_load_dword v1, v[4:5], off
	v_max_f32_e32 v4, v20, v20
	s_mov_b32 s2, 0x3fb8aa3b
	s_mov_b32 s4, 0xc2ce8ed0
	s_waitcnt vmcnt(0)
	v_max_f32_e32 v5, v1, v1
	v_max_f32_e32 v4, v4, v5
	v_sub_f32_e32 v5, v20, v4
	v_sub_f32_e32 v1, v1, v4
	v_mul_f32_e32 v6, 0x3fb8aa3b, v5
	v_mul_f32_e32 v7, 0x3fb8aa3b, v1
	v_fma_f32 v8, v5, s2, -v6
	v_rndne_f32_e32 v9, v6
	v_fma_f32 v10, v1, s2, -v7
	v_rndne_f32_e32 v11, v7
	v_fmac_f32_e32 v8, 0x32a5705f, v5
	v_sub_f32_e32 v6, v6, v9
	v_fmac_f32_e32 v10, 0x32a5705f, v1
	v_sub_f32_e32 v7, v7, v11
	v_add_f32_e32 v6, v6, v8
	v_cvt_i32_f32_e32 v9, v9
	v_add_f32_e32 v7, v7, v10
	v_exp_f32_e32 v6, v6
	v_cvt_i32_f32_e32 v11, v11
	v_exp_f32_e32 v7, v7
	v_cmp_ngt_f32_e32 vcc, s4, v5
	v_ldexp_f32 v6, v6, v9
	s_mov_b32 s2, 0x42b17218
	v_ldexp_f32 v7, v7, v11
	v_cndmask_b32_e32 v6, 0, v6, vcc
	v_cmp_ngt_f32_e32 vcc, s4, v1
	v_mov_b32_e32 v8, 0x7f800000
	s_nop 0
	v_cndmask_b32_e32 v7, 0, v7, vcc
	v_cmp_nlt_f32_e32 vcc, s2, v5
	s_nop 1
	v_cndmask_b32_e32 v6, v8, v6, vcc
	v_cvt_f16_f32_e32 v9, v6
	v_cmp_nlt_f32_e32 vcc, s2, v1
	v_mul_u32_u24_e32 v1, 0x10001, v9
	s_nop 0
	v_cndmask_b32_e32 v5, v8, v7, vcc
	v_fmac_f32_e32 v5, v21, v6
	v_pk_mul_f16 v67, v67, v1
	v_pk_mul_f16 v66, v66, v1
	;; [unrolled: 1-line block ×8, first 2 shown]
	v_mov_b64_e32 v[20:21], v[4:5]
	s_branch .LBB23_13
.LBB23_12:
	v_mov_b32_e32 v5, v21
.LBB23_13:
	s_load_dword s2, s[0:1], 0xd4
	v_div_scale_f32 v1, s[0:1], v5, v5, 1.0
	v_rcp_f32_e32 v4, v1
	s_mul_i32 s33, s33, s22
	s_waitcnt lgkmcnt(0)
	s_cmp_lg_u32 s2, 1
	s_cselect_b64 s[0:1], -1, 0
	v_fma_f32 v6, -v1, v4, 1.0
	v_fmac_f32_e32 v4, v6, v4
	v_div_scale_f32 v6, vcc, 1.0, v5, 1.0
	v_mul_f32_e32 v7, v6, v4
	v_fma_f32 v8, -v1, v7, v6
	v_fmac_f32_e32 v7, v8, v4
	v_fma_f32 v1, -v1, v7, v6
	v_div_fmas_f32 v1, v1, v4, v7
	v_div_fixup_f32 v1, v1, v5, 1.0
	v_cndmask_b32_e64 v6, v1, 1.0, s[0:1]
	v_add_u32_e32 v1, s33, v3
	v_mad_u64_u32 v[0:1], s[4:5], v1, s23, v[0:1]
	v_cmp_eq_u32_e32 vcc, 0, v2
	v_cvt_f32_f16_sdwa v3, v67 dst_sel:DWORD dst_unused:UNUSED_PAD src0_sel:WORD_1
	v_cvt_f32_f16_e32 v2, v67
	v_cvt_f32_f16_sdwa v5, v66 dst_sel:DWORD dst_unused:UNUSED_PAD src0_sel:WORD_1
	v_cvt_f32_f16_e32 v4, v66
	v_mul_lo_u32 v0, s2, v0
	v_add_u32_e32 v0, s3, v0
	v_lshl_add_u32 v8, v0, 9, v39
	v_mov_b32_e32 v9, 0
	v_lshl_add_u64 v[10:11], v[8:9], 2, s[16:17]
	v_pk_mul_f32 v[2:3], v[6:7], v[2:3] op_sel_hi:[0,1]
	v_pk_mul_f32 v[4:5], v[6:7], v[4:5] op_sel_hi:[0,1]
	global_store_dwordx4 v[10:11], v[2:5], off
	v_cvt_f32_f16_sdwa v11, v65 dst_sel:DWORD dst_unused:UNUSED_PAD src0_sel:WORD_1
	v_cvt_f32_f16_e32 v10, v65
	v_cvt_f32_f16_sdwa v5, v68 dst_sel:DWORD dst_unused:UNUSED_PAD src0_sel:WORD_1
	v_cvt_f32_f16_e32 v4, v68
	v_add_u32_e32 v2, 0x80, v8
	v_mov_b32_e32 v3, v9
	v_lshl_add_u64 v[12:13], v[2:3], 2, s[16:17]
	v_pk_mul_f32 v[2:3], v[6:7], v[4:5] op_sel_hi:[0,1]
	v_pk_mul_f32 v[4:5], v[6:7], v[10:11] op_sel_hi:[0,1]
	global_store_dwordx4 v[12:13], v[2:5], off
	v_cvt_f32_f16_sdwa v11, v63 dst_sel:DWORD dst_unused:UNUSED_PAD src0_sel:WORD_1
	v_cvt_f32_f16_e32 v10, v63
	v_cvt_f32_f16_sdwa v5, v64 dst_sel:DWORD dst_unused:UNUSED_PAD src0_sel:WORD_1
	v_cvt_f32_f16_e32 v4, v64
	v_add_u32_e32 v2, 0x100, v8
	v_mov_b32_e32 v3, v9
	v_lshl_add_u64 v[12:13], v[2:3], 2, s[16:17]
	v_pk_mul_f32 v[2:3], v[6:7], v[4:5] op_sel_hi:[0,1]
	v_pk_mul_f32 v[4:5], v[6:7], v[10:11] op_sel_hi:[0,1]
	global_store_dwordx4 v[12:13], v[2:5], off
	v_add_u32_e32 v8, 0x180, v8
	v_lshl_add_u64 v[8:9], v[8:9], 2, s[16:17]
	v_cvt_f32_f16_sdwa v3, v37 dst_sel:DWORD dst_unused:UNUSED_PAD src0_sel:WORD_1
	v_cvt_f32_f16_e32 v2, v37
	v_cvt_f32_f16_sdwa v5, v36 dst_sel:DWORD dst_unused:UNUSED_PAD src0_sel:WORD_1
	v_cvt_f32_f16_e32 v4, v36
	s_and_b64 s[0:1], vcc, s[0:1]
	v_pk_mul_f32 v[2:3], v[6:7], v[2:3] op_sel_hi:[0,1]
	v_pk_mul_f32 v[4:5], v[6:7], v[4:5] op_sel_hi:[0,1]
	global_store_dwordx4 v[8:9], v[2:5], off
	s_and_saveexec_b64 s[2:3], s[0:1]
	s_cbranch_execz .LBB23_15
; %bb.14:
	v_mov_b32_e32 v2, s18
	v_mov_b32_e32 v3, s19
	v_ashrrev_i32_e32 v1, 31, v0
	v_lshl_add_u64 v[0:1], v[0:1], 3, v[2:3]
	global_store_dwordx2 v[0:1], v[20:21], off
.LBB23_15:
	s_endpgm
	.section	.rodata,"a",@progbits
	.p2align	6, 0x0
	.amdhsa_kernel _ZL15flash_attn_tileILi512ELi512ELi1ELi4ELb0EEvPKcS1_S1_S1_S1_PKiPfP15HIP_vector_typeIfLj2EEffffjfiS5_IjLj3EEiiiiiiiiiiiliiliiiiil
		.amdhsa_group_segment_fixed_size 13824
		.amdhsa_private_segment_fixed_size 0
		.amdhsa_kernarg_size 464
		.amdhsa_user_sgpr_count 2
		.amdhsa_user_sgpr_dispatch_ptr 0
		.amdhsa_user_sgpr_queue_ptr 0
		.amdhsa_user_sgpr_kernarg_segment_ptr 1
		.amdhsa_user_sgpr_dispatch_id 0
		.amdhsa_user_sgpr_kernarg_preload_length 0
		.amdhsa_user_sgpr_kernarg_preload_offset 0
		.amdhsa_user_sgpr_private_segment_size 0
		.amdhsa_uses_dynamic_stack 0
		.amdhsa_enable_private_segment 0
		.amdhsa_system_sgpr_workgroup_id_x 1
		.amdhsa_system_sgpr_workgroup_id_y 1
		.amdhsa_system_sgpr_workgroup_id_z 1
		.amdhsa_system_sgpr_workgroup_info 0
		.amdhsa_system_vgpr_workitem_id 1
		.amdhsa_next_free_vgpr 82
		.amdhsa_next_free_sgpr 91
		.amdhsa_accum_offset 84
		.amdhsa_reserve_vcc 1
		.amdhsa_float_round_mode_32 0
		.amdhsa_float_round_mode_16_64 0
		.amdhsa_float_denorm_mode_32 3
		.amdhsa_float_denorm_mode_16_64 3
		.amdhsa_dx10_clamp 1
		.amdhsa_ieee_mode 1
		.amdhsa_fp16_overflow 0
		.amdhsa_tg_split 0
		.amdhsa_exception_fp_ieee_invalid_op 0
		.amdhsa_exception_fp_denorm_src 0
		.amdhsa_exception_fp_ieee_div_zero 0
		.amdhsa_exception_fp_ieee_overflow 0
		.amdhsa_exception_fp_ieee_underflow 0
		.amdhsa_exception_fp_ieee_inexact 0
		.amdhsa_exception_int_div_zero 0
	.end_amdhsa_kernel
	.section	.text._ZL15flash_attn_tileILi512ELi512ELi1ELi4ELb0EEvPKcS1_S1_S1_S1_PKiPfP15HIP_vector_typeIfLj2EEffffjfiS5_IjLj3EEiiiiiiiiiiiliiliiiiil,"axG",@progbits,_ZL15flash_attn_tileILi512ELi512ELi1ELi4ELb0EEvPKcS1_S1_S1_S1_PKiPfP15HIP_vector_typeIfLj2EEffffjfiS5_IjLj3EEiiiiiiiiiiiliiliiiiil,comdat
.Lfunc_end23:
	.size	_ZL15flash_attn_tileILi512ELi512ELi1ELi4ELb0EEvPKcS1_S1_S1_S1_PKiPfP15HIP_vector_typeIfLj2EEffffjfiS5_IjLj3EEiiiiiiiiiiiliiliiiiil, .Lfunc_end23-_ZL15flash_attn_tileILi512ELi512ELi1ELi4ELb0EEvPKcS1_S1_S1_S1_PKiPfP15HIP_vector_typeIfLj2EEffffjfiS5_IjLj3EEiiiiiiiiiiiliiliiiiil
                                        ; -- End function
	.set _ZL15flash_attn_tileILi512ELi512ELi1ELi4ELb0EEvPKcS1_S1_S1_S1_PKiPfP15HIP_vector_typeIfLj2EEffffjfiS5_IjLj3EEiiiiiiiiiiiliiliiiiil.num_vgpr, 82
	.set _ZL15flash_attn_tileILi512ELi512ELi1ELi4ELb0EEvPKcS1_S1_S1_S1_PKiPfP15HIP_vector_typeIfLj2EEffffjfiS5_IjLj3EEiiiiiiiiiiiliiliiiiil.num_agpr, 0
	.set _ZL15flash_attn_tileILi512ELi512ELi1ELi4ELb0EEvPKcS1_S1_S1_S1_PKiPfP15HIP_vector_typeIfLj2EEffffjfiS5_IjLj3EEiiiiiiiiiiiliiliiiiil.numbered_sgpr, 40
	.set _ZL15flash_attn_tileILi512ELi512ELi1ELi4ELb0EEvPKcS1_S1_S1_S1_PKiPfP15HIP_vector_typeIfLj2EEffffjfiS5_IjLj3EEiiiiiiiiiiiliiliiiiil.num_named_barrier, 0
	.set _ZL15flash_attn_tileILi512ELi512ELi1ELi4ELb0EEvPKcS1_S1_S1_S1_PKiPfP15HIP_vector_typeIfLj2EEffffjfiS5_IjLj3EEiiiiiiiiiiiliiliiiiil.private_seg_size, 0
	.set _ZL15flash_attn_tileILi512ELi512ELi1ELi4ELb0EEvPKcS1_S1_S1_S1_PKiPfP15HIP_vector_typeIfLj2EEffffjfiS5_IjLj3EEiiiiiiiiiiiliiliiiiil.uses_vcc, 1
	.set _ZL15flash_attn_tileILi512ELi512ELi1ELi4ELb0EEvPKcS1_S1_S1_S1_PKiPfP15HIP_vector_typeIfLj2EEffffjfiS5_IjLj3EEiiiiiiiiiiiliiliiiiil.uses_flat_scratch, 0
	.set _ZL15flash_attn_tileILi512ELi512ELi1ELi4ELb0EEvPKcS1_S1_S1_S1_PKiPfP15HIP_vector_typeIfLj2EEffffjfiS5_IjLj3EEiiiiiiiiiiiliiliiiiil.has_dyn_sized_stack, 0
	.set _ZL15flash_attn_tileILi512ELi512ELi1ELi4ELb0EEvPKcS1_S1_S1_S1_PKiPfP15HIP_vector_typeIfLj2EEffffjfiS5_IjLj3EEiiiiiiiiiiiliiliiiiil.has_recursion, 0
	.set _ZL15flash_attn_tileILi512ELi512ELi1ELi4ELb0EEvPKcS1_S1_S1_S1_PKiPfP15HIP_vector_typeIfLj2EEffffjfiS5_IjLj3EEiiiiiiiiiiiliiliiiiil.has_indirect_call, 0
	.section	.AMDGPU.csdata,"",@progbits
; Kernel info:
; codeLenInByte = 23364
; TotalNumSgprs: 46
; NumVgprs: 82
; NumAgprs: 0
; TotalNumVgprs: 82
; ScratchSize: 0
; MemoryBound: 0
; FloatMode: 240
; IeeeMode: 1
; LDSByteSize: 13824 bytes/workgroup (compile time only)
; SGPRBlocks: 12
; VGPRBlocks: 10
; NumSGPRsForWavesPerEU: 97
; NumVGPRsForWavesPerEU: 82
; AccumOffset: 84
; Occupancy: 5
; WaveLimiterHint : 1
; COMPUTE_PGM_RSRC2:SCRATCH_EN: 0
; COMPUTE_PGM_RSRC2:USER_SGPR: 2
; COMPUTE_PGM_RSRC2:TRAP_HANDLER: 0
; COMPUTE_PGM_RSRC2:TGID_X_EN: 1
; COMPUTE_PGM_RSRC2:TGID_Y_EN: 1
; COMPUTE_PGM_RSRC2:TGID_Z_EN: 1
; COMPUTE_PGM_RSRC2:TIDIG_COMP_CNT: 1
; COMPUTE_PGM_RSRC3_GFX90A:ACCUM_OFFSET: 20
; COMPUTE_PGM_RSRC3_GFX90A:TG_SPLIT: 0
	.section	.text._ZL33flash_attn_stream_k_fixup_uniformILi512ELi1ELi4EEvPfPK15HIP_vector_typeIfLj2EEiiiiiiS1_IjLj3EES5_S5_,"axG",@progbits,_ZL33flash_attn_stream_k_fixup_uniformILi512ELi1ELi4EEvPfPK15HIP_vector_typeIfLj2EEiiiiiiS1_IjLj3EES5_S5_,comdat
	.globl	_ZL33flash_attn_stream_k_fixup_uniformILi512ELi1ELi4EEvPfPK15HIP_vector_typeIfLj2EEiiiiiiS1_IjLj3EES5_S5_ ; -- Begin function _ZL33flash_attn_stream_k_fixup_uniformILi512ELi1ELi4EEvPfPK15HIP_vector_typeIfLj2EEiiiiiiS1_IjLj3EES5_S5_
	.p2align	8
	.type	_ZL33flash_attn_stream_k_fixup_uniformILi512ELi1ELi4EEvPfPK15HIP_vector_typeIfLj2EEiiiiiiS1_IjLj3EES5_S5_,@function
_ZL33flash_attn_stream_k_fixup_uniformILi512ELi1ELi4EEvPfPK15HIP_vector_typeIfLj2EEiiiiiiS1_IjLj3EES5_S5_: ; @_ZL33flash_attn_stream_k_fixup_uniformILi512ELi1ELi4EEvPfPK15HIP_vector_typeIfLj2EEiiiiiiS1_IjLj3EES5_S5_
; %bb.0:
	s_load_dwordx8 s[8:15], s[0:1], 0x1c
	s_load_dwordx2 s[6:7], s[0:1], 0x10
	s_load_dwordx4 s[16:19], s[0:1], 0x3c
	s_waitcnt lgkmcnt(0)
	s_mul_hi_u32 s5, s11, s2
	s_add_i32 s5, s2, s5
	s_lshr_b32 s5, s5, s12
	s_mul_i32 s11, s5, s13
	s_sub_i32 s12, s2, s11
	s_mul_hi_u32 s11, s12, s14
	s_add_i32 s11, s12, s11
	s_lshr_b32 s11, s11, s15
	s_mul_i32 s13, s11, s16
	s_sub_i32 s12, s12, s13
	;; [unrolled: 5-line block ×3, first 2 shown]
	s_lshl_b32 s16, s13, 2
	s_add_i32 s17, s17, s3
	s_cmp_lt_i32 s17, s6
	s_cselect_b64 s[12:13], -1, 0
	s_add_i32 s16, s16, s4
	s_cmp_lt_i32 s16, s9
	s_cselect_b64 s[14:15], -1, 0
	s_and_b64 s[12:13], s[12:13], s[14:15]
	s_andn2_b64 vcc, exec, s[12:13]
	s_cbranch_vccnz .LBB24_6
; %bb.1:
	s_load_dwordx4 s[12:15], s[0:1], 0x0
	s_mul_i32 s5, s5, s6
	s_mul_i32 s11, s11, s9
	s_add_i32 s0, s17, s5
	s_mul_i32 s0, s0, s7
	s_add_i32 s1, s16, s11
	s_add_i32 s1, s1, s0
	v_lshl_or_b32 v4, s1, 9, v0
	s_waitcnt lgkmcnt(0)
	v_mov_b32_e32 v2, s12
	v_mov_b32_e32 v3, s13
	v_ashrrev_i32_e32 v5, 31, v4
	v_lshl_add_u64 v[2:3], v[4:5], 2, v[2:3]
	global_load_dword v5, v[2:3], off
	s_mul_i32 s9, s10, s2
	s_add_i32 s5, s9, s10
	s_add_i32 s0, s3, s5
	s_lshl_b32 s0, s0, 2
	s_add_i32 s0, s0, s4
	s_add_i32 s0, s0, -4
	s_ashr_i32 s1, s0, 31
	s_lshl_b64 s[0:1], s[0:1], 3
	s_add_u32 s0, s14, s0
	s_addc_u32 s1, s15, s1
	s_load_dword s12, s[0:1], 0x4
	s_add_i32 s6, s5, -2
	s_cmp_lt_i32 s6, s9
	s_cbranch_scc1 .LBB24_4
; %bb.2:
	s_lshl_b32 s6, s8, 4
	s_ashr_i32 s7, s6, 31
	s_lshl_b64 s[6:7], s[6:7], 2
	s_add_u32 s6, s14, s6
	s_addc_u32 s7, s15, s7
	s_load_dword s0, s[0:1], 0x0
	s_add_i32 s2, s2, 1
	s_lshl_b32 s1, s4, 9
	s_add_i32 s8, s3, s8
	s_mul_i32 s2, s10, s2
	s_lshl_b32 s3, s3, 11
	s_add_i32 s8, s8, s5
	s_lshl_b32 s2, s2, 11
	s_add_i32 s1, s1, s3
	s_add_i32 s11, s5, -1
	s_lshl_b32 s5, s8, 2
	s_add_i32 s1, s1, s2
	s_add_i32 s4, s4, s5
	v_or_b32_e32 v0, s1, v0
	s_add_i32 s4, s4, -8
	v_add_u32_e32 v0, 0xfffff000, v0
	s_waitcnt lgkmcnt(0)
	v_mov_b32_e32 v7, s0
	v_mov_b32_e32 v4, s12
	s_mov_b32 s2, 0x3fb8aa3b
	s_mov_b32 s3, 0xc2ce8ed0
	;; [unrolled: 1-line block ×3, first 2 shown]
	v_mov_b32_e32 v6, 0x7f800000
	s_mov_b32 s10, 0xc1a00000
.LBB24_3:                               ; =>This Inner Loop Header: Depth=1
	v_ashrrev_i32_e32 v1, 31, v0
	v_lshl_add_u64 v[8:9], v[0:1], 2, s[6:7]
	global_load_dword v9, v[8:9], off
	s_ashr_i32 s5, s4, 31
	s_lshl_b64 s[0:1], s[4:5], 3
	s_add_u32 s0, s14, s0
	s_addc_u32 s1, s15, s1
	s_load_dwordx2 s[0:1], s[0:1], 0x0
	v_max_f32_e32 v1, v7, v7
	s_add_i32 s11, s11, -1
	s_add_i32 s4, s4, -4
	v_add_u32_e32 v0, 0xfffff800, v0
	s_waitcnt lgkmcnt(0)
	v_max_f32_e64 v10, s0, s0
	v_max_f32_e32 v1, v1, v10
	v_sub_f32_e32 v11, s0, v1
	v_sub_f32_e32 v10, v7, v1
	v_mul_f32_e32 v12, 0x3fb8aa3b, v11
	v_mov_b32_e32 v7, v1
	v_mul_f32_e32 v1, 0x3fb8aa3b, v10
	v_fma_f32 v15, v11, s2, -v12
	v_rndne_f32_e32 v16, v12
	v_fma_f32 v13, v10, s2, -v1
	v_rndne_f32_e32 v14, v1
	v_fmac_f32_e32 v15, 0x32a5705f, v11
	v_sub_f32_e32 v12, v12, v16
	v_fmac_f32_e32 v13, 0x32a5705f, v10
	v_sub_f32_e32 v1, v1, v14
	v_add_f32_e32 v12, v12, v15
	v_cvt_i32_f32_e32 v16, v16
	v_add_f32_e32 v1, v1, v13
	v_exp_f32_e32 v12, v12
	v_cvt_i32_f32_e32 v14, v14
	v_exp_f32_e32 v1, v1
	v_cmp_ngt_f32_e32 vcc, s3, v11
	v_ldexp_f32 v12, v12, v16
	v_mov_b32_e32 v8, s1
	v_ldexp_f32 v1, v1, v14
	v_cmp_ngt_f32_e64 s[0:1], s3, v10
	v_cndmask_b32_e32 v12, 0, v12, vcc
	v_cmp_nlt_f32_e32 vcc, s8, v11
	v_cndmask_b32_e64 v1, 0, v1, s[0:1]
	v_cmp_nlt_f32_e64 s[0:1], s8, v10
	v_cndmask_b32_e32 v12, v6, v12, vcc
	v_cmp_le_f32_e32 vcc, s10, v11
	v_cndmask_b32_e64 v1, v6, v1, s[0:1]
	v_cmp_le_f32_e64 s[0:1], s10, v10
	v_cndmask_b32_e32 v12, 0, v12, vcc
	s_cmp_le_i32 s11, s9
	v_cndmask_b32_e64 v10, 0, v1, s[0:1]
	s_waitcnt vmcnt(0)
	v_pk_mul_f32 v[8:9], v[8:9], v[12:13] op_sel_hi:[1,0]
	s_nop 0
	v_pk_fma_f32 v[4:5], v[4:5], v[10:11], v[8:9] op_sel_hi:[1,0,1]
	s_cbranch_scc0 .LBB24_3
	s_branch .LBB24_5
.LBB24_4:
	s_waitcnt lgkmcnt(0)
	v_mov_b32_e32 v4, s12
.LBB24_5:
	s_waitcnt vmcnt(0)
	v_div_scale_f32 v0, s[0:1], v4, v4, v5
	v_rcp_f32_e32 v1, v0
	v_div_scale_f32 v6, vcc, v5, v4, v5
	v_fma_f32 v7, -v0, v1, 1.0
	v_fmac_f32_e32 v1, v7, v1
	v_mul_f32_e32 v7, v6, v1
	v_fma_f32 v8, -v0, v7, v6
	v_fmac_f32_e32 v7, v8, v1
	v_fma_f32 v0, -v0, v7, v6
	v_div_fmas_f32 v0, v0, v1, v7
	v_div_fixup_f32 v0, v0, v4, v5
	global_store_dword v[2:3], v0, off
.LBB24_6:
	s_endpgm
	.section	.rodata,"a",@progbits
	.p2align	6, 0x0
	.amdhsa_kernel _ZL33flash_attn_stream_k_fixup_uniformILi512ELi1ELi4EEvPfPK15HIP_vector_typeIfLj2EEiiiiiiS1_IjLj3EES5_S5_
		.amdhsa_group_segment_fixed_size 0
		.amdhsa_private_segment_fixed_size 0
		.amdhsa_kernarg_size 76
		.amdhsa_user_sgpr_count 2
		.amdhsa_user_sgpr_dispatch_ptr 0
		.amdhsa_user_sgpr_queue_ptr 0
		.amdhsa_user_sgpr_kernarg_segment_ptr 1
		.amdhsa_user_sgpr_dispatch_id 0
		.amdhsa_user_sgpr_kernarg_preload_length 0
		.amdhsa_user_sgpr_kernarg_preload_offset 0
		.amdhsa_user_sgpr_private_segment_size 0
		.amdhsa_uses_dynamic_stack 0
		.amdhsa_enable_private_segment 0
		.amdhsa_system_sgpr_workgroup_id_x 1
		.amdhsa_system_sgpr_workgroup_id_y 1
		.amdhsa_system_sgpr_workgroup_id_z 1
		.amdhsa_system_sgpr_workgroup_info 0
		.amdhsa_system_vgpr_workitem_id 0
		.amdhsa_next_free_vgpr 17
		.amdhsa_next_free_sgpr 20
		.amdhsa_accum_offset 20
		.amdhsa_reserve_vcc 1
		.amdhsa_float_round_mode_32 0
		.amdhsa_float_round_mode_16_64 0
		.amdhsa_float_denorm_mode_32 3
		.amdhsa_float_denorm_mode_16_64 3
		.amdhsa_dx10_clamp 1
		.amdhsa_ieee_mode 1
		.amdhsa_fp16_overflow 0
		.amdhsa_tg_split 0
		.amdhsa_exception_fp_ieee_invalid_op 0
		.amdhsa_exception_fp_denorm_src 0
		.amdhsa_exception_fp_ieee_div_zero 0
		.amdhsa_exception_fp_ieee_overflow 0
		.amdhsa_exception_fp_ieee_underflow 0
		.amdhsa_exception_fp_ieee_inexact 0
		.amdhsa_exception_int_div_zero 0
	.end_amdhsa_kernel
	.section	.text._ZL33flash_attn_stream_k_fixup_uniformILi512ELi1ELi4EEvPfPK15HIP_vector_typeIfLj2EEiiiiiiS1_IjLj3EES5_S5_,"axG",@progbits,_ZL33flash_attn_stream_k_fixup_uniformILi512ELi1ELi4EEvPfPK15HIP_vector_typeIfLj2EEiiiiiiS1_IjLj3EES5_S5_,comdat
.Lfunc_end24:
	.size	_ZL33flash_attn_stream_k_fixup_uniformILi512ELi1ELi4EEvPfPK15HIP_vector_typeIfLj2EEiiiiiiS1_IjLj3EES5_S5_, .Lfunc_end24-_ZL33flash_attn_stream_k_fixup_uniformILi512ELi1ELi4EEvPfPK15HIP_vector_typeIfLj2EEiiiiiiS1_IjLj3EES5_S5_
                                        ; -- End function
	.set _ZL33flash_attn_stream_k_fixup_uniformILi512ELi1ELi4EEvPfPK15HIP_vector_typeIfLj2EEiiiiiiS1_IjLj3EES5_S5_.num_vgpr, 17
	.set _ZL33flash_attn_stream_k_fixup_uniformILi512ELi1ELi4EEvPfPK15HIP_vector_typeIfLj2EEiiiiiiS1_IjLj3EES5_S5_.num_agpr, 0
	.set _ZL33flash_attn_stream_k_fixup_uniformILi512ELi1ELi4EEvPfPK15HIP_vector_typeIfLj2EEiiiiiiS1_IjLj3EES5_S5_.numbered_sgpr, 20
	.set _ZL33flash_attn_stream_k_fixup_uniformILi512ELi1ELi4EEvPfPK15HIP_vector_typeIfLj2EEiiiiiiS1_IjLj3EES5_S5_.num_named_barrier, 0
	.set _ZL33flash_attn_stream_k_fixup_uniformILi512ELi1ELi4EEvPfPK15HIP_vector_typeIfLj2EEiiiiiiS1_IjLj3EES5_S5_.private_seg_size, 0
	.set _ZL33flash_attn_stream_k_fixup_uniformILi512ELi1ELi4EEvPfPK15HIP_vector_typeIfLj2EEiiiiiiS1_IjLj3EES5_S5_.uses_vcc, 1
	.set _ZL33flash_attn_stream_k_fixup_uniformILi512ELi1ELi4EEvPfPK15HIP_vector_typeIfLj2EEiiiiiiS1_IjLj3EES5_S5_.uses_flat_scratch, 0
	.set _ZL33flash_attn_stream_k_fixup_uniformILi512ELi1ELi4EEvPfPK15HIP_vector_typeIfLj2EEiiiiiiS1_IjLj3EES5_S5_.has_dyn_sized_stack, 0
	.set _ZL33flash_attn_stream_k_fixup_uniformILi512ELi1ELi4EEvPfPK15HIP_vector_typeIfLj2EEiiiiiiS1_IjLj3EES5_S5_.has_recursion, 0
	.set _ZL33flash_attn_stream_k_fixup_uniformILi512ELi1ELi4EEvPfPK15HIP_vector_typeIfLj2EEiiiiiiS1_IjLj3EES5_S5_.has_indirect_call, 0
	.section	.AMDGPU.csdata,"",@progbits
; Kernel info:
; codeLenInByte = 808
; TotalNumSgprs: 26
; NumVgprs: 17
; NumAgprs: 0
; TotalNumVgprs: 17
; ScratchSize: 0
; MemoryBound: 0
; FloatMode: 240
; IeeeMode: 1
; LDSByteSize: 0 bytes/workgroup (compile time only)
; SGPRBlocks: 3
; VGPRBlocks: 2
; NumSGPRsForWavesPerEU: 26
; NumVGPRsForWavesPerEU: 17
; AccumOffset: 20
; Occupancy: 8
; WaveLimiterHint : 0
; COMPUTE_PGM_RSRC2:SCRATCH_EN: 0
; COMPUTE_PGM_RSRC2:USER_SGPR: 2
; COMPUTE_PGM_RSRC2:TRAP_HANDLER: 0
; COMPUTE_PGM_RSRC2:TGID_X_EN: 1
; COMPUTE_PGM_RSRC2:TGID_Y_EN: 1
; COMPUTE_PGM_RSRC2:TGID_Z_EN: 1
; COMPUTE_PGM_RSRC2:TIDIG_COMP_CNT: 0
; COMPUTE_PGM_RSRC3_GFX90A:ACCUM_OFFSET: 4
; COMPUTE_PGM_RSRC3_GFX90A:TG_SPLIT: 0
	.section	.text._ZL33flash_attn_stream_k_fixup_generalILi512ELi1ELi4EEvPfPK15HIP_vector_typeIfLj2EEiiiiS1_IjLj3EES5_S5_S5_,"axG",@progbits,_ZL33flash_attn_stream_k_fixup_generalILi512ELi1ELi4EEvPfPK15HIP_vector_typeIfLj2EEiiiiS1_IjLj3EES5_S5_S5_,comdat
	.globl	_ZL33flash_attn_stream_k_fixup_generalILi512ELi1ELi4EEvPfPK15HIP_vector_typeIfLj2EEiiiiS1_IjLj3EES5_S5_S5_ ; -- Begin function _ZL33flash_attn_stream_k_fixup_generalILi512ELi1ELi4EEvPfPK15HIP_vector_typeIfLj2EEiiiiS1_IjLj3EES5_S5_S5_
	.p2align	8
	.type	_ZL33flash_attn_stream_k_fixup_generalILi512ELi1ELi4EEvPfPK15HIP_vector_typeIfLj2EEiiiiS1_IjLj3EES5_S5_S5_,@function
_ZL33flash_attn_stream_k_fixup_generalILi512ELi1ELi4EEvPfPK15HIP_vector_typeIfLj2EEiiiiS1_IjLj3EES5_S5_S5_: ; @_ZL33flash_attn_stream_k_fixup_generalILi512ELi1ELi4EEvPfPK15HIP_vector_typeIfLj2EEiiiiS1_IjLj3EES5_S5_S5_
; %bb.0:
	s_load_dwordx4 s[8:11], s[0:1], 0x10
	s_load_dword s5, s[0:1], 0x50
	s_mov_b32 s12, 0
	s_waitcnt lgkmcnt(0)
	s_mul_hi_i32 s13, s11, s2
	s_cmp_lg_u64 s[12:13], 0
	s_mul_i32 s18, s11, s2
	s_cbranch_scc0 .LBB25_20
; %bb.1:
	s_add_u32 s6, s5, 0
	s_addc_u32 s7, 0, 0
	s_xor_b64 s[6:7], s[6:7], 0
	v_cvt_f32_u32_e32 v1, s6
	v_cvt_f32_u32_e32 v2, s7
	s_sub_u32 s12, 0, s6
	s_subb_u32 s19, 0, s7
	v_fmamk_f32 v1, v2, 0x4f800000, v1
	v_rcp_f32_e32 v1, v1
	s_nop 0
	v_mul_f32_e32 v1, 0x5f7ffffc, v1
	v_mul_f32_e32 v2, 0x2f800000, v1
	v_trunc_f32_e32 v2, v2
	v_fmamk_f32 v1, v2, 0xcf800000, v1
	v_cvt_u32_f32_e32 v2, v2
	v_cvt_u32_f32_e32 v1, v1
	v_readfirstlane_b32 s20, v2
	v_readfirstlane_b32 s14, v1
	s_mul_i32 s15, s12, s20
	s_mul_hi_u32 s22, s12, s14
	s_mul_i32 s21, s19, s14
	s_add_i32 s15, s22, s15
	s_add_i32 s15, s15, s21
	s_mul_i32 s23, s12, s14
	s_mul_i32 s22, s14, s15
	s_mul_hi_u32 s24, s14, s23
	s_mul_hi_u32 s21, s14, s15
	s_add_u32 s22, s24, s22
	s_addc_u32 s21, 0, s21
	s_mul_hi_u32 s25, s20, s23
	s_mul_i32 s23, s20, s23
	s_add_u32 s22, s22, s23
	s_mul_hi_u32 s24, s20, s15
	s_addc_u32 s21, s21, s25
	s_addc_u32 s22, s24, 0
	s_mul_i32 s15, s20, s15
	s_add_u32 s15, s21, s15
	s_addc_u32 s21, 0, s22
	s_add_u32 s22, s14, s15
	s_cselect_b64 s[14:15], -1, 0
	s_cmp_lg_u64 s[14:15], 0
	s_addc_u32 s20, s20, s21
	s_mul_i32 s14, s12, s20
	s_mul_hi_u32 s15, s12, s22
	s_add_i32 s14, s15, s14
	s_mul_i32 s19, s19, s22
	s_add_i32 s14, s14, s19
	s_mul_i32 s12, s12, s22
	s_mul_hi_u32 s19, s20, s12
	s_mul_i32 s21, s20, s12
	s_mul_i32 s24, s22, s14
	s_mul_hi_u32 s12, s22, s12
	s_mul_hi_u32 s23, s22, s14
	s_add_u32 s12, s12, s24
	s_addc_u32 s23, 0, s23
	s_add_u32 s12, s12, s21
	s_mul_hi_u32 s15, s20, s14
	s_addc_u32 s12, s23, s19
	s_addc_u32 s15, s15, 0
	s_mul_i32 s14, s20, s14
	s_add_u32 s12, s12, s14
	s_addc_u32 s19, 0, s15
	s_add_u32 s21, s22, s12
	s_cselect_b64 s[14:15], -1, 0
	s_cmp_lg_u64 s[14:15], 0
	s_addc_u32 s19, s20, s19
	s_ashr_i32 s14, s13, 31
	s_add_u32 s12, s18, s14
	s_mov_b32 s15, s14
	s_addc_u32 s13, s13, s14
	s_xor_b64 s[12:13], s[12:13], s[14:15]
	s_mul_i32 s22, s12, s19
	s_mul_hi_u32 s23, s12, s21
	s_mul_hi_u32 s20, s12, s19
	s_add_u32 s22, s23, s22
	s_addc_u32 s20, 0, s20
	s_mul_hi_u32 s24, s13, s21
	s_mul_i32 s21, s13, s21
	s_add_u32 s21, s22, s21
	s_mul_hi_u32 s23, s13, s19
	s_addc_u32 s20, s20, s24
	s_addc_u32 s21, s23, 0
	s_mul_i32 s19, s13, s19
	s_add_u32 s19, s20, s19
	s_addc_u32 s24, 0, s21
	s_mul_i32 s20, s6, s24
	s_mul_hi_u32 s21, s6, s19
	s_add_i32 s20, s21, s20
	s_mul_i32 s21, s7, s19
	s_add_i32 s25, s20, s21
	s_sub_i32 s22, s13, s25
	s_mul_i32 s20, s6, s19
	s_sub_u32 s12, s12, s20
	s_cselect_b64 s[20:21], -1, 0
	s_cmp_lg_u64 s[20:21], 0
	s_subb_u32 s26, s22, s7
	s_sub_u32 s27, s12, s6
	s_cselect_b64 s[22:23], -1, 0
	s_cmp_lg_u64 s[22:23], 0
	s_subb_u32 s22, s26, 0
	s_cmp_ge_u32 s22, s7
	s_cselect_b32 s23, -1, 0
	s_cmp_ge_u32 s27, s6
	s_cselect_b32 s26, -1, 0
	s_cmp_eq_u32 s22, s7
	s_cselect_b32 s22, s26, s23
	s_add_u32 s23, s19, 1
	s_addc_u32 s26, s24, 0
	s_add_u32 s27, s19, 2
	s_addc_u32 s28, s24, 0
	s_cmp_lg_u32 s22, 0
	s_cselect_b32 s22, s27, s23
	s_cselect_b32 s23, s28, s26
	s_cmp_lg_u64 s[20:21], 0
	s_subb_u32 s13, s13, s25
	s_cmp_ge_u32 s13, s7
	s_cselect_b32 s20, -1, 0
	s_cmp_ge_u32 s12, s6
	s_cselect_b32 s6, -1, 0
	s_cmp_eq_u32 s13, s7
	s_cselect_b32 s6, s6, s20
	s_cmp_lg_u32 s6, 0
	s_cselect_b32 s7, s23, s24
	s_cselect_b32 s6, s22, s19
	s_xor_b64 s[12:13], s[14:15], 0
	s_xor_b64 s[6:7], s[6:7], s[12:13]
	s_sub_u32 s6, s6, s12
	s_load_dwordx4 s[12:15], s[0:1], 0x44
	s_cbranch_execnz .LBB25_3
.LBB25_2:
	v_cvt_f32_u32_e32 v1, s5
	s_sub_i32 s6, 0, s5
	v_rcp_iflag_f32_e32 v1, v1
	s_nop 0
	v_mul_f32_e32 v1, 0x4f7ffffe, v1
	v_cvt_u32_f32_e32 v1, v1
	s_nop 0
	v_readfirstlane_b32 s7, v1
	s_mul_i32 s6, s6, s7
	s_mul_hi_u32 s6, s7, s6
	s_add_i32 s7, s7, s6
	s_mul_hi_u32 s6, s18, s7
	s_waitcnt lgkmcnt(0)
	s_mul_i32 s15, s6, s5
	s_sub_i32 s15, s18, s15
	s_add_i32 s7, s6, 1
	s_sub_i32 s16, s15, s5
	s_cmp_ge_u32 s15, s5
	s_cselect_b32 s6, s7, s6
	s_cselect_b32 s15, s16, s15
	s_add_i32 s7, s6, 1
	s_cmp_ge_u32 s15, s5
	s_cselect_b32 s6, s7, s6
.LBB25_3:
	s_add_i32 s7, s2, 1
	s_mul_hi_i32 s21, s11, s7
	s_mov_b32 s20, 0
	s_cmp_lg_u64 s[20:21], 0
	s_mul_i32 s7, s11, s7
	s_cbranch_scc0 .LBB25_21
; %bb.4:
	s_add_u32 s16, s5, 0
	s_addc_u32 s17, 0, 0
	s_xor_b64 s[18:19], s[16:17], 0
	v_cvt_f32_u32_e32 v1, s18
	v_cvt_f32_u32_e32 v2, s19
	s_waitcnt lgkmcnt(0)
	s_sub_u32 s15, 0, s18
	s_subb_u32 s20, 0, s19
	v_fmamk_f32 v1, v2, 0x4f800000, v1
	v_rcp_f32_e32 v1, v1
	s_nop 0
	v_mul_f32_e32 v1, 0x5f7ffffc, v1
	v_mul_f32_e32 v2, 0x2f800000, v1
	v_trunc_f32_e32 v2, v2
	v_fmamk_f32 v1, v2, 0xcf800000, v1
	v_cvt_u32_f32_e32 v2, v2
	v_cvt_u32_f32_e32 v1, v1
	v_readfirstlane_b32 s24, v2
	v_readfirstlane_b32 s22, v1
	s_mul_i32 s23, s15, s24
	s_mul_hi_u32 s26, s15, s22
	s_mul_i32 s25, s20, s22
	s_add_i32 s23, s26, s23
	s_add_i32 s23, s23, s25
	s_mul_i32 s27, s15, s22
	s_mul_i32 s26, s22, s23
	s_mul_hi_u32 s28, s22, s27
	s_mul_hi_u32 s25, s22, s23
	s_add_u32 s26, s28, s26
	s_addc_u32 s25, 0, s25
	s_mul_hi_u32 s29, s24, s27
	s_mul_i32 s27, s24, s27
	s_add_u32 s26, s26, s27
	s_mul_hi_u32 s28, s24, s23
	s_addc_u32 s25, s25, s29
	s_addc_u32 s26, s28, 0
	s_mul_i32 s23, s24, s23
	s_add_u32 s23, s25, s23
	s_addc_u32 s25, 0, s26
	s_add_u32 s26, s22, s23
	s_cselect_b64 s[22:23], -1, 0
	s_cmp_lg_u64 s[22:23], 0
	s_addc_u32 s24, s24, s25
	s_mul_i32 s22, s15, s24
	s_mul_hi_u32 s23, s15, s26
	s_add_i32 s22, s23, s22
	s_mul_i32 s20, s20, s26
	s_add_i32 s22, s22, s20
	s_mul_i32 s15, s15, s26
	s_mul_hi_u32 s23, s24, s15
	s_mul_i32 s25, s24, s15
	s_mul_i32 s28, s26, s22
	s_mul_hi_u32 s15, s26, s15
	s_mul_hi_u32 s27, s26, s22
	s_add_u32 s15, s15, s28
	s_addc_u32 s27, 0, s27
	s_add_u32 s15, s15, s25
	s_mul_hi_u32 s20, s24, s22
	s_addc_u32 s15, s27, s23
	s_addc_u32 s20, s20, 0
	s_mul_i32 s22, s24, s22
	s_add_u32 s15, s15, s22
	s_addc_u32 s20, 0, s20
	s_add_u32 s15, s26, s15
	s_cselect_b64 s[22:23], -1, 0
	s_cmp_lg_u64 s[22:23], 0
	s_addc_u32 s24, s24, s20
	s_ashr_i32 s22, s21, 31
	s_add_u32 s20, s7, s22
	s_mov_b32 s23, s22
	s_addc_u32 s21, s21, s22
	s_xor_b64 s[20:21], s[20:21], s[22:23]
	s_mul_i32 s26, s20, s24
	s_mul_hi_u32 s27, s20, s15
	s_mul_hi_u32 s25, s20, s24
	s_add_u32 s26, s27, s26
	s_addc_u32 s25, 0, s25
	s_mul_hi_u32 s28, s21, s15
	s_mul_i32 s15, s21, s15
	s_add_u32 s15, s26, s15
	s_mul_hi_u32 s27, s21, s24
	s_addc_u32 s15, s25, s28
	s_addc_u32 s25, s27, 0
	s_mul_i32 s24, s21, s24
	s_add_u32 s15, s15, s24
	s_addc_u32 s28, 0, s25
	s_mul_i32 s24, s18, s28
	s_mul_hi_u32 s25, s18, s15
	s_add_i32 s24, s25, s24
	s_mul_i32 s25, s19, s15
	s_add_i32 s29, s24, s25
	s_sub_i32 s26, s21, s29
	s_mul_i32 s24, s18, s15
	s_sub_u32 s20, s20, s24
	s_cselect_b64 s[24:25], -1, 0
	s_cmp_lg_u64 s[24:25], 0
	s_subb_u32 s30, s26, s19
	s_sub_u32 s31, s20, s18
	s_cselect_b64 s[26:27], -1, 0
	s_cmp_lg_u64 s[26:27], 0
	s_subb_u32 s26, s30, 0
	s_cmp_ge_u32 s26, s19
	s_cselect_b32 s27, -1, 0
	s_cmp_ge_u32 s31, s18
	s_cselect_b32 s30, -1, 0
	s_cmp_eq_u32 s26, s19
	s_cselect_b32 s26, s30, s27
	s_add_u32 s27, s15, 1
	s_addc_u32 s30, s28, 0
	s_add_u32 s31, s15, 2
	s_addc_u32 s33, s28, 0
	s_cmp_lg_u32 s26, 0
	s_cselect_b32 s26, s31, s27
	s_cselect_b32 s27, s33, s30
	s_cmp_lg_u64 s[24:25], 0
	s_subb_u32 s21, s21, s29
	s_cmp_ge_u32 s21, s19
	s_cselect_b32 s24, -1, 0
	s_cmp_ge_u32 s20, s18
	s_cselect_b32 s18, -1, 0
	s_cmp_eq_u32 s21, s19
	s_cselect_b32 s18, s18, s24
	s_cmp_lg_u32 s18, 0
	s_cselect_b32 s19, s27, s28
	s_cselect_b32 s18, s26, s15
	s_xor_b64 s[20:21], s[22:23], 0
	s_xor_b64 s[18:19], s[18:19], s[20:21]
	s_sub_u32 s18, s18, s20
	s_cbranch_execnz .LBB25_6
.LBB25_5:
	v_cvt_f32_u32_e32 v1, s5
	s_waitcnt lgkmcnt(0)
	s_sub_i32 s15, 0, s5
	v_rcp_iflag_f32_e32 v1, v1
	s_nop 0
	v_mul_f32_e32 v1, 0x4f7ffffe, v1
	v_cvt_u32_f32_e32 v1, v1
	s_nop 0
	v_readfirstlane_b32 s16, v1
	s_mul_i32 s15, s15, s16
	s_mul_hi_u32 s15, s16, s15
	s_add_i32 s16, s16, s15
	s_mul_hi_u32 s15, s7, s16
	s_mul_i32 s17, s15, s5
	s_sub_i32 s7, s7, s17
	s_add_i32 s16, s15, 1
	s_sub_i32 s17, s7, s5
	s_cmp_ge_u32 s7, s5
	s_cselect_b32 s15, s16, s15
	s_cselect_b32 s7, s17, s7
	s_add_i32 s16, s15, 1
	s_cmp_ge_u32 s7, s5
	s_cselect_b32 s18, s16, s15
.LBB25_6:
	s_cmp_eq_u32 s6, s18
	s_waitcnt lgkmcnt(0)
	s_mul_hi_u32 s7, s6, s12
	s_cselect_b64 s[16:17], -1, 0
	s_add_i32 s7, s7, s6
	s_lshr_b32 s7, s7, s13
	s_mul_i32 s15, s7, s14
	s_cmp_eq_u32 s15, s6
	s_mul_hi_u32 s15, s18, s12
	s_cselect_b64 s[20:21], -1, 0
	s_add_i32 s15, s15, s18
	s_lshr_b32 s15, s15, s13
	s_cmp_eq_u32 s7, s15
	s_mul_i32 s15, s15, s14
	s_cselect_b64 s[22:23], -1, 0
	s_cmp_lg_u32 s15, s18
	s_cselect_b64 s[18:19], -1, 0
	s_and_b64 s[18:19], s[22:23], s[18:19]
	s_or_b64 s[16:17], s[16:17], s[20:21]
	s_or_b64 s[16:17], s[16:17], s[18:19]
	s_and_b64 vcc, exec, s[16:17]
	s_cbranch_vccnz .LBB25_23
; %bb.7:
	s_load_dwordx8 s[16:23], s[0:1], 0x20
	s_load_dword s24, s[0:1], 0x40
	s_waitcnt lgkmcnt(0)
	s_mul_hi_u32 s15, s6, s16
	s_add_i32 s15, s15, s6
	s_lshr_b32 s15, s15, s17
	s_mul_i32 s16, s15, s18
	s_sub_i32 s16, s6, s16
	s_mul_hi_u32 s17, s16, s19
	s_add_i32 s17, s16, s17
	s_lshr_b32 s20, s17, s20
	s_mul_i32 s17, s20, s21
	s_sub_i32 s16, s16, s17
	s_mul_hi_u32 s17, s16, s22
	s_add_i32 s17, s16, s17
	s_lshr_b32 s17, s17, s23
	s_mul_i32 s18, s17, s24
	s_sub_i32 s16, s16, s18
	s_lshl_b32 s22, s17, 2
	s_mul_hi_u32 s17, s16, s12
	s_add_i32 s16, s16, s17
	s_lshr_b32 s21, s16, s13
	s_add_i32 s21, s21, s3
	s_cmp_lt_i32 s21, s8
	s_cselect_b64 s[16:17], -1, 0
	s_add_i32 s22, s22, s4
	s_cmp_lt_i32 s22, s10
	s_cselect_b64 s[18:19], -1, 0
	s_and_b64 s[16:17], s[16:17], s[18:19]
	s_andn2_b64 vcc, exec, s[16:17]
	s_cbranch_vccnz .LBB25_23
; %bb.8:
	s_load_dwordx4 s[16:19], s[0:1], 0x0
	s_mov_b32 s0, 0
	s_lshl_b32 s24, s5, 4
	s_mov_b32 s25, s0
	s_mul_i32 s15, s15, s8
	s_waitcnt lgkmcnt(0)
	v_mov_b32_e32 v2, s16
	v_mov_b32_e32 v3, s17
	s_lshl_b64 s[16:17], s[24:25], 2
	s_add_u32 s16, s18, s16
	s_addc_u32 s17, s19, s17
	s_mul_i32 s20, s20, s10
	s_add_i32 s1, s21, s15
	s_mul_i32 s1, s1, s9
	s_add_i32 s8, s22, s20
	s_add_i32 s8, s8, s1
	v_lshl_or_b32 v4, s8, 9, v0
	v_ashrrev_i32_e32 v5, 31, v4
	v_lshl_add_u64 v[2:3], v[4:5], 2, v[2:3]
	global_load_dword v1, v[2:3], off
	s_add_i32 s1, s3, s2
	v_cvt_f32_u32_e32 v4, s5
	s_lshl_b32 s1, s1, 2
	s_add_i32 s8, s1, s4
	s_ashr_i32 s9, s8, 31
	s_lshl_b64 s[8:9], s[8:9], 3
	v_rcp_iflag_f32_e32 v4, v4
	s_add_u32 s8, s18, s8
	s_addc_u32 s9, s19, s9
	s_load_dwordx2 s[8:9], s[8:9], 0x0
	v_mul_f32_e32 v4, 0x4f7ffffe, v4
	v_cvt_u32_f32_e32 v7, v4
	s_add_i32 s25, s2, -1
	v_lshl_or_b32 v6, s4, 9, v0
	s_waitcnt lgkmcnt(0)
	v_mov_b32_e32 v0, s9
	v_mov_b32_e32 v9, s8
	s_mov_b32 s2, 0x3fb8aa3b
	s_mov_b32 s10, 0xc2ce8ed0
	s_mov_b32 s15, 0x42b17218
	s_mov_b32 s24, 0xc1a00000
	v_mov_b32_e32 v8, 0x7f800000
	s_mul_hi_i32 s1, s25, s11
	s_cmp_lg_u64 s[0:1], 0
	s_mul_i32 s22, s25, s11
	s_cbranch_scc0 .LBB25_19
.LBB25_9:
	s_add_u32 s8, s5, 0
	s_addc_u32 s9, 0, 0
	s_xor_b64 s[8:9], s[8:9], 0
	v_cvt_f32_u32_e32 v4, s8
	v_cvt_f32_u32_e32 v5, s9
	s_sub_u32 s23, 0, s8
	s_subb_u32 s26, 0, s9
	v_fmac_f32_e32 v4, 0x4f800000, v5
	v_rcp_f32_e32 v4, v4
	s_nop 0
	v_mul_f32_e32 v4, 0x5f7ffffc, v4
	v_mul_f32_e32 v5, 0x2f800000, v4
	v_trunc_f32_e32 v5, v5
	v_fmac_f32_e32 v4, 0xcf800000, v5
	v_cvt_u32_f32_e32 v5, v5
	v_cvt_u32_f32_e32 v4, v4
	v_readfirstlane_b32 s27, v5
	v_readfirstlane_b32 s20, v4
	s_mul_i32 s21, s23, s27
	s_mul_hi_u32 s29, s23, s20
	s_mul_i32 s28, s26, s20
	s_add_i32 s21, s29, s21
	s_mul_i32 s30, s23, s20
	s_add_i32 s21, s21, s28
	s_mul_i32 s29, s20, s21
	s_mul_hi_u32 s31, s20, s30
	s_mul_hi_u32 s28, s20, s21
	s_add_u32 s29, s31, s29
	s_addc_u32 s28, 0, s28
	s_mul_hi_u32 s33, s27, s30
	s_mul_i32 s30, s27, s30
	s_add_u32 s29, s29, s30
	s_mul_hi_u32 s31, s27, s21
	s_addc_u32 s28, s28, s33
	s_addc_u32 s29, s31, 0
	s_mul_i32 s21, s27, s21
	s_add_u32 s21, s28, s21
	s_addc_u32 s28, 0, s29
	s_add_u32 s29, s20, s21
	s_cselect_b64 s[20:21], -1, 0
	s_cmp_lg_u64 s[20:21], 0
	s_addc_u32 s27, s27, s28
	s_mul_i32 s20, s23, s27
	s_mul_hi_u32 s21, s23, s29
	s_add_i32 s20, s21, s20
	s_mul_i32 s26, s26, s29
	s_add_i32 s20, s20, s26
	s_mul_i32 s23, s23, s29
	s_mul_hi_u32 s26, s27, s23
	s_mul_i32 s28, s27, s23
	s_mul_i32 s31, s29, s20
	s_mul_hi_u32 s23, s29, s23
	s_mul_hi_u32 s30, s29, s20
	s_add_u32 s23, s23, s31
	s_addc_u32 s30, 0, s30
	s_add_u32 s23, s23, s28
	s_mul_hi_u32 s21, s27, s20
	s_addc_u32 s23, s30, s26
	s_addc_u32 s21, s21, 0
	s_mul_i32 s20, s27, s20
	s_add_u32 s20, s23, s20
	s_addc_u32 s23, 0, s21
	s_add_u32 s28, s29, s20
	s_cselect_b64 s[20:21], -1, 0
	s_cmp_lg_u64 s[20:21], 0
	s_addc_u32 s23, s27, s23
	s_ashr_i32 s20, s1, 31
	s_add_u32 s26, s22, s20
	s_mov_b32 s21, s20
	s_addc_u32 s27, s1, s20
	s_xor_b64 s[26:27], s[26:27], s[20:21]
	s_mul_i32 s29, s26, s23
	s_mul_hi_u32 s30, s26, s28
	s_mul_hi_u32 s1, s26, s23
	s_add_u32 s29, s30, s29
	s_addc_u32 s1, 0, s1
	s_mul_hi_u32 s31, s27, s28
	s_mul_i32 s28, s27, s28
	s_add_u32 s28, s29, s28
	s_mul_hi_u32 s30, s27, s23
	s_addc_u32 s1, s1, s31
	s_addc_u32 s28, s30, 0
	s_mul_i32 s23, s27, s23
	s_add_u32 s1, s1, s23
	s_addc_u32 s23, 0, s28
	s_mul_i32 s28, s8, s23
	s_mul_hi_u32 s29, s8, s1
	s_add_i32 s28, s29, s28
	s_mul_i32 s29, s9, s1
	s_add_i32 s33, s28, s29
	s_sub_i32 s30, s27, s33
	s_mul_i32 s28, s8, s1
	s_sub_u32 s26, s26, s28
	s_cselect_b64 s[28:29], -1, 0
	s_cmp_lg_u64 s[28:29], 0
	s_subb_u32 s34, s30, s9
	s_sub_u32 s35, s26, s8
	s_cselect_b64 s[30:31], -1, 0
	s_cmp_lg_u64 s[30:31], 0
	s_subb_u32 s30, s34, 0
	s_cmp_ge_u32 s30, s9
	s_cselect_b32 s31, -1, 0
	s_cmp_ge_u32 s35, s8
	s_cselect_b32 s34, -1, 0
	s_cmp_eq_u32 s30, s9
	s_cselect_b32 s30, s34, s31
	s_add_u32 s31, s1, 1
	s_addc_u32 s34, s23, 0
	s_add_u32 s35, s1, 2
	s_addc_u32 s36, s23, 0
	s_cmp_lg_u32 s30, 0
	s_cselect_b32 s30, s35, s31
	s_cselect_b32 s31, s36, s34
	s_cmp_lg_u64 s[28:29], 0
	s_subb_u32 s27, s27, s33
	s_cmp_ge_u32 s27, s9
	s_cselect_b32 s28, -1, 0
	s_cmp_ge_u32 s26, s8
	s_cselect_b32 s8, -1, 0
	s_cmp_eq_u32 s27, s9
	s_cselect_b32 s8, s8, s28
	s_cmp_lg_u32 s8, 0
	s_cselect_b32 s9, s31, s23
	s_cselect_b32 s8, s30, s1
	s_xor_b64 s[20:21], s[20:21], 0
	s_xor_b64 s[8:9], s[8:9], s[20:21]
	s_sub_u32 s20, s8, s20
	s_cbranch_execnz .LBB25_11
.LBB25_10:
	s_sub_i32 s1, 0, s5
	v_readfirstlane_b32 s8, v7
	s_mul_i32 s1, s1, s8
	s_mul_hi_u32 s1, s8, s1
	s_add_i32 s8, s8, s1
	s_mul_hi_u32 s1, s22, s8
	s_mul_i32 s9, s1, s5
	s_sub_i32 s9, s22, s9
	s_add_i32 s8, s1, 1
	s_sub_i32 s20, s9, s5
	s_cmp_ge_u32 s9, s5
	s_cselect_b32 s1, s8, s1
	s_cselect_b32 s9, s20, s9
	s_add_i32 s8, s1, 1
	s_cmp_ge_u32 s9, s5
	s_cselect_b32 s20, s8, s1
.LBB25_11:
	s_cmp_lg_u32 s6, s20
	s_cbranch_scc0 .LBB25_15
; %bb.12:
	s_add_i32 s21, s25, s3
	s_add_i32 s1, s21, s5
	s_lshl_b32 s1, s1, 2
	s_add_i32 s8, s1, s4
	s_mov_b32 s9, s0
	s_lshl_b64 s[8:9], s[8:9], 3
	s_add_u32 s22, s18, s8
	s_mul_hi_u32 s1, s20, s12
	s_addc_u32 s23, s19, s9
	s_add_i32 s1, s1, s20
	s_lshr_b32 s1, s1, s13
	s_mul_i32 s8, s1, s14
	s_cmp_eq_u32 s8, s20
	s_cselect_b64 s[8:9], -1, 0
	s_cmp_lt_u32 s1, s7
	s_cselect_b64 s[26:27], -1, 0
	s_or_b64 s[26:27], s[26:27], s[8:9]
	s_mov_b64 s[8:9], -1
	s_and_b64 vcc, exec, s[26:27]
	s_mov_b32 s1, s25
	s_mov_b32 s26, s6
	s_cbranch_vccnz .LBB25_14
; %bb.13:
	s_add_i32 s1, s25, -1
	s_mov_b64 s[8:9], 0
	s_mov_b32 s26, s20
.LBB25_14:
	v_lshl_add_u32 v4, s21, 11, v6
	v_ashrrev_i32_e32 v5, 31, v4
	v_lshl_add_u64 v[4:5], v[4:5], 2, s[16:17]
	global_load_dword v5, v[4:5], off
	s_load_dwordx2 s[20:21], s[22:23], 0x0
	v_max_f32_e32 v4, v9, v9
	s_waitcnt lgkmcnt(0)
	v_max_f32_e64 v10, s20, s20
	v_max_f32_e32 v10, v4, v10
	v_sub_f32_e32 v11, v9, v10
	v_sub_f32_e32 v13, s20, v10
	v_mul_f32_e32 v4, 0x3fb8aa3b, v11
	v_mul_f32_e32 v12, 0x3fb8aa3b, v13
	v_fma_f32 v14, v11, s2, -v4
	v_rndne_f32_e32 v15, v4
	v_fma_f32 v16, v13, s2, -v12
	v_rndne_f32_e32 v17, v12
	v_fmac_f32_e32 v14, 0x32a5705f, v11
	v_sub_f32_e32 v4, v4, v15
	v_fmac_f32_e32 v16, 0x32a5705f, v13
	v_sub_f32_e32 v12, v12, v17
	v_add_f32_e32 v4, v4, v14
	v_cvt_i32_f32_e32 v15, v15
	v_add_f32_e32 v12, v12, v16
	v_exp_f32_e32 v14, v4
	v_cvt_i32_f32_e32 v17, v17
	v_exp_f32_e32 v12, v12
	v_cmp_ngt_f32_e32 vcc, s10, v11
	v_ldexp_f32 v14, v14, v15
	v_mov_b32_e32 v4, s21
	v_ldexp_f32 v12, v12, v17
	v_cndmask_b32_e32 v14, 0, v14, vcc
	v_cmp_ngt_f32_e32 vcc, s10, v13
	s_nop 1
	v_cndmask_b32_e32 v12, 0, v12, vcc
	v_cmp_nlt_f32_e32 vcc, s15, v11
	s_nop 1
	v_cndmask_b32_e32 v14, v8, v14, vcc
	v_cmp_nlt_f32_e32 vcc, s15, v13
	s_nop 1
	v_cndmask_b32_e32 v15, v8, v12, vcc
	v_cmp_le_f32_e32 vcc, s24, v11
	s_nop 1
	v_cndmask_b32_e32 v12, 0, v14, vcc
	v_cmp_le_f32_e32 vcc, s24, v13
	s_nop 1
	v_cndmask_b32_e32 v14, 0, v15, vcc
	s_waitcnt vmcnt(0)
	v_pk_mul_f32 v[4:5], v[4:5], v[14:15] op_sel_hi:[1,0]
	s_nop 0
	v_pk_fma_f32 v[4:5], v[0:1], v[12:13], v[4:5] op_sel_hi:[1,0,1]
	s_cbranch_execz .LBB25_16
	s_branch .LBB25_17
.LBB25_15:
                                        ; implicit-def: $vgpr4_vgpr5
                                        ; implicit-def: $sgpr8_sgpr9
                                        ; implicit-def: $vgpr10
                                        ; implicit-def: $sgpr1
                                        ; implicit-def: $sgpr26
.LBB25_16:
	s_add_i32 s1, s25, -1
	s_mov_b64 s[8:9], 0
	s_mov_b32 s26, s6
	v_mov_b32_e32 v10, v9
	s_waitcnt vmcnt(0)
	v_mov_b64_e32 v[4:5], v[0:1]
.LBB25_17:
	s_andn2_b64 vcc, exec, s[8:9]
	s_cbranch_vccz .LBB25_22
; %bb.18:
	s_mov_b32 s6, s26
	s_mov_b32 s25, s1
	v_mov_b32_e32 v9, v10
	s_waitcnt vmcnt(0)
	v_mov_b64_e32 v[0:1], v[4:5]
	s_mul_hi_i32 s1, s25, s11
	s_cmp_lg_u64 s[0:1], 0
	s_mul_i32 s22, s25, s11
	s_cbranch_scc1 .LBB25_9
.LBB25_19:
                                        ; implicit-def: $sgpr20_sgpr21
	s_branch .LBB25_10
.LBB25_20:
                                        ; implicit-def: $sgpr6_sgpr7
	s_load_dwordx4 s[12:15], s[0:1], 0x44
	s_branch .LBB25_2
.LBB25_21:
                                        ; implicit-def: $sgpr18_sgpr19
	s_branch .LBB25_5
.LBB25_22:
	v_div_scale_f32 v0, s[0:1], v4, v4, v5
	s_waitcnt vmcnt(0)
	v_rcp_f32_e32 v1, v0
	v_div_scale_f32 v6, vcc, v5, v4, v5
	v_fma_f32 v7, -v0, v1, 1.0
	v_fmac_f32_e32 v1, v7, v1
	v_mul_f32_e32 v7, v6, v1
	v_fma_f32 v8, -v0, v7, v6
	v_fmac_f32_e32 v7, v8, v1
	v_fma_f32 v0, -v0, v7, v6
	v_div_fmas_f32 v0, v0, v1, v7
	v_div_fixup_f32 v0, v0, v4, v5
	global_store_dword v[2:3], v0, off
.LBB25_23:
	s_endpgm
	.section	.rodata,"a",@progbits
	.p2align	6, 0x0
	.amdhsa_kernel _ZL33flash_attn_stream_k_fixup_generalILi512ELi1ELi4EEvPfPK15HIP_vector_typeIfLj2EEiiiiS1_IjLj3EES5_S5_S5_
		.amdhsa_group_segment_fixed_size 0
		.amdhsa_private_segment_fixed_size 0
		.amdhsa_kernarg_size 336
		.amdhsa_user_sgpr_count 2
		.amdhsa_user_sgpr_dispatch_ptr 0
		.amdhsa_user_sgpr_queue_ptr 0
		.amdhsa_user_sgpr_kernarg_segment_ptr 1
		.amdhsa_user_sgpr_dispatch_id 0
		.amdhsa_user_sgpr_kernarg_preload_length 0
		.amdhsa_user_sgpr_kernarg_preload_offset 0
		.amdhsa_user_sgpr_private_segment_size 0
		.amdhsa_uses_dynamic_stack 0
		.amdhsa_enable_private_segment 0
		.amdhsa_system_sgpr_workgroup_id_x 1
		.amdhsa_system_sgpr_workgroup_id_y 1
		.amdhsa_system_sgpr_workgroup_id_z 1
		.amdhsa_system_sgpr_workgroup_info 0
		.amdhsa_system_vgpr_workitem_id 0
		.amdhsa_next_free_vgpr 18
		.amdhsa_next_free_sgpr 37
		.amdhsa_accum_offset 20
		.amdhsa_reserve_vcc 1
		.amdhsa_float_round_mode_32 0
		.amdhsa_float_round_mode_16_64 0
		.amdhsa_float_denorm_mode_32 3
		.amdhsa_float_denorm_mode_16_64 3
		.amdhsa_dx10_clamp 1
		.amdhsa_ieee_mode 1
		.amdhsa_fp16_overflow 0
		.amdhsa_tg_split 0
		.amdhsa_exception_fp_ieee_invalid_op 0
		.amdhsa_exception_fp_denorm_src 0
		.amdhsa_exception_fp_ieee_div_zero 0
		.amdhsa_exception_fp_ieee_overflow 0
		.amdhsa_exception_fp_ieee_underflow 0
		.amdhsa_exception_fp_ieee_inexact 0
		.amdhsa_exception_int_div_zero 0
	.end_amdhsa_kernel
	.section	.text._ZL33flash_attn_stream_k_fixup_generalILi512ELi1ELi4EEvPfPK15HIP_vector_typeIfLj2EEiiiiS1_IjLj3EES5_S5_S5_,"axG",@progbits,_ZL33flash_attn_stream_k_fixup_generalILi512ELi1ELi4EEvPfPK15HIP_vector_typeIfLj2EEiiiiS1_IjLj3EES5_S5_S5_,comdat
.Lfunc_end25:
	.size	_ZL33flash_attn_stream_k_fixup_generalILi512ELi1ELi4EEvPfPK15HIP_vector_typeIfLj2EEiiiiS1_IjLj3EES5_S5_S5_, .Lfunc_end25-_ZL33flash_attn_stream_k_fixup_generalILi512ELi1ELi4EEvPfPK15HIP_vector_typeIfLj2EEiiiiS1_IjLj3EES5_S5_S5_
                                        ; -- End function
	.set _ZL33flash_attn_stream_k_fixup_generalILi512ELi1ELi4EEvPfPK15HIP_vector_typeIfLj2EEiiiiS1_IjLj3EES5_S5_S5_.num_vgpr, 18
	.set _ZL33flash_attn_stream_k_fixup_generalILi512ELi1ELi4EEvPfPK15HIP_vector_typeIfLj2EEiiiiS1_IjLj3EES5_S5_S5_.num_agpr, 0
	.set _ZL33flash_attn_stream_k_fixup_generalILi512ELi1ELi4EEvPfPK15HIP_vector_typeIfLj2EEiiiiS1_IjLj3EES5_S5_S5_.numbered_sgpr, 37
	.set _ZL33flash_attn_stream_k_fixup_generalILi512ELi1ELi4EEvPfPK15HIP_vector_typeIfLj2EEiiiiS1_IjLj3EES5_S5_S5_.num_named_barrier, 0
	.set _ZL33flash_attn_stream_k_fixup_generalILi512ELi1ELi4EEvPfPK15HIP_vector_typeIfLj2EEiiiiS1_IjLj3EES5_S5_S5_.private_seg_size, 0
	.set _ZL33flash_attn_stream_k_fixup_generalILi512ELi1ELi4EEvPfPK15HIP_vector_typeIfLj2EEiiiiS1_IjLj3EES5_S5_S5_.uses_vcc, 1
	.set _ZL33flash_attn_stream_k_fixup_generalILi512ELi1ELi4EEvPfPK15HIP_vector_typeIfLj2EEiiiiS1_IjLj3EES5_S5_S5_.uses_flat_scratch, 0
	.set _ZL33flash_attn_stream_k_fixup_generalILi512ELi1ELi4EEvPfPK15HIP_vector_typeIfLj2EEiiiiS1_IjLj3EES5_S5_S5_.has_dyn_sized_stack, 0
	.set _ZL33flash_attn_stream_k_fixup_generalILi512ELi1ELi4EEvPfPK15HIP_vector_typeIfLj2EEiiiiS1_IjLj3EES5_S5_S5_.has_recursion, 0
	.set _ZL33flash_attn_stream_k_fixup_generalILi512ELi1ELi4EEvPfPK15HIP_vector_typeIfLj2EEiiiiS1_IjLj3EES5_S5_S5_.has_indirect_call, 0
	.section	.AMDGPU.csdata,"",@progbits
; Kernel info:
; codeLenInByte = 2924
; TotalNumSgprs: 43
; NumVgprs: 18
; NumAgprs: 0
; TotalNumVgprs: 18
; ScratchSize: 0
; MemoryBound: 0
; FloatMode: 240
; IeeeMode: 1
; LDSByteSize: 0 bytes/workgroup (compile time only)
; SGPRBlocks: 5
; VGPRBlocks: 2
; NumSGPRsForWavesPerEU: 43
; NumVGPRsForWavesPerEU: 18
; AccumOffset: 20
; Occupancy: 8
; WaveLimiterHint : 0
; COMPUTE_PGM_RSRC2:SCRATCH_EN: 0
; COMPUTE_PGM_RSRC2:USER_SGPR: 2
; COMPUTE_PGM_RSRC2:TRAP_HANDLER: 0
; COMPUTE_PGM_RSRC2:TGID_X_EN: 1
; COMPUTE_PGM_RSRC2:TGID_Y_EN: 1
; COMPUTE_PGM_RSRC2:TGID_Z_EN: 1
; COMPUTE_PGM_RSRC2:TIDIG_COMP_CNT: 0
; COMPUTE_PGM_RSRC3_GFX90A:ACCUM_OFFSET: 4
; COMPUTE_PGM_RSRC3_GFX90A:TG_SPLIT: 0
	.section	.text._ZL15flash_attn_tileILi512ELi512ELi4ELi8ELb1EEvPKcS1_S1_S1_S1_PKiPfP15HIP_vector_typeIfLj2EEffffjfiS5_IjLj3EEiiiiiiiiiiiliiliiiiil,"axG",@progbits,_ZL15flash_attn_tileILi512ELi512ELi4ELi8ELb1EEvPKcS1_S1_S1_S1_PKiPfP15HIP_vector_typeIfLj2EEffffjfiS5_IjLj3EEiiiiiiiiiiiliiliiiiil,comdat
	.globl	_ZL15flash_attn_tileILi512ELi512ELi4ELi8ELb1EEvPKcS1_S1_S1_S1_PKiPfP15HIP_vector_typeIfLj2EEffffjfiS5_IjLj3EEiiiiiiiiiiiliiliiiiil ; -- Begin function _ZL15flash_attn_tileILi512ELi512ELi4ELi8ELb1EEvPKcS1_S1_S1_S1_PKiPfP15HIP_vector_typeIfLj2EEffffjfiS5_IjLj3EEiiiiiiiiiiiliiliiiiil
	.p2align	8
	.type	_ZL15flash_attn_tileILi512ELi512ELi4ELi8ELb1EEvPKcS1_S1_S1_S1_PKiPfP15HIP_vector_typeIfLj2EEffffjfiS5_IjLj3EEiiiiiiiiiiiliiliiiiil,@function
_ZL15flash_attn_tileILi512ELi512ELi4ELi8ELb1EEvPKcS1_S1_S1_S1_PKiPfP15HIP_vector_typeIfLj2EEffffjfiS5_IjLj3EEiiiiiiiiiiiliiliiiiil: ; @_ZL15flash_attn_tileILi512ELi512ELi4ELi8ELb1EEvPKcS1_S1_S1_S1_PKiPfP15HIP_vector_typeIfLj2EEffffjfiS5_IjLj3EEiiiiiiiiiiiliiliiiiil
; %bb.0:
	s_load_dwordx4 s[20:23], s[0:1], 0x5c
	s_load_dwordx2 s[24:25], s[0:1], 0x80
	s_load_dwordx2 s[28:29], s[0:1], 0xb8
	s_mov_b64 s[26:27], 0
	s_waitcnt lgkmcnt(0)
	s_ashr_i32 s5, s23, 31
	s_lshr_b32 s5, s5, 29
	s_add_i32 s5, s23, s5
	s_ashr_i32 s5, s5, 3
	v_cvt_f32_u32_e32 v1, s5
	s_sub_i32 s6, 0, s5
	v_rcp_iflag_f32_e32 v1, v1
	s_nop 0
	v_mul_f32_e32 v1, 0x4f7ffffe, v1
	v_cvt_u32_f32_e32 v1, v1
	s_nop 0
	v_readfirstlane_b32 s7, v1
	s_mul_i32 s6, s6, s7
	s_mul_hi_u32 s6, s7, s6
	s_add_i32 s7, s7, s6
	s_mul_hi_u32 s6, s4, s7
	s_mul_i32 s7, s6, s5
	s_sub_i32 s7, s4, s7
	s_add_i32 s8, s6, 1
	s_sub_i32 s9, s7, s5
	s_cmp_ge_u32 s7, s5
	s_cselect_b32 s6, s8, s6
	s_cselect_b32 s7, s9, s7
	s_add_i32 s8, s6, 1
	s_cmp_ge_u32 s7, s5
	s_cselect_b32 s30, s8, s6
	s_abs_i32 s5, s25
	v_cvt_f32_u32_e32 v1, s5
	s_lshl_b32 s4, s4, 3
	s_mul_i32 s8, s30, s23
	s_xor_b32 s6, s23, s25
	v_rcp_iflag_f32_e32 v1, v1
	s_sub_i32 s9, 0, s5
	s_sub_i32 s25, s4, s8
	s_abs_i32 s7, s23
	v_mul_f32_e32 v1, 0x4f7ffffe, v1
	v_cvt_u32_f32_e32 v1, v1
	s_ashr_i32 s6, s6, 31
	v_readfirstlane_b32 s4, v1
	s_mul_i32 s9, s9, s4
	s_mul_hi_u32 s8, s4, s9
	s_add_i32 s4, s4, s8
	s_mul_hi_u32 s4, s7, s4
	s_mul_i32 s8, s4, s5
	s_sub_i32 s7, s7, s8
	s_add_i32 s9, s4, 1
	s_sub_i32 s8, s7, s5
	s_cmp_ge_u32 s7, s5
	s_cselect_b32 s4, s9, s4
	s_cselect_b32 s7, s8, s7
	s_add_i32 s8, s4, 1
	s_cmp_ge_u32 s7, s5
	s_cselect_b32 s4, s8, s4
	s_xor_b32 s4, s4, s6
	s_sub_i32 s33, s4, s6
	s_abs_i32 s31, s33
	v_cvt_f32_u32_e32 v1, s31
	s_load_dwordx16 s[4:19], s[0:1], 0x0
	v_rcp_iflag_f32_e32 v1, v1
	s_waitcnt lgkmcnt(0)
	s_cmp_eq_u64 s[10:11], 0
	v_mul_f32_e32 v1, 0x4f7ffffe, v1
	v_cvt_u32_f32_e32 v1, v1
	s_nop 0
	v_readfirstlane_b32 s34, v1
	s_cbranch_scc1 .LBB26_2
; %bb.1:
	s_abs_i32 s28, s28
	v_cvt_f32_u32_e32 v1, s28
	s_sub_i32 s37, 0, s28
	s_abs_i32 s36, s30
	s_ashr_i32 s35, s30, 31
	v_rcp_iflag_f32_e32 v1, v1
	s_load_dwordx2 s[26:27], s[0:1], 0xc8
	v_mul_f32_e32 v1, 0x4f7ffffe, v1
	v_cvt_u32_f32_e32 v1, v1
	s_nop 0
	v_readfirstlane_b32 s38, v1
	s_mul_i32 s37, s37, s38
	s_mul_hi_u32 s37, s38, s37
	s_add_i32 s38, s38, s37
	s_mul_hi_u32 s37, s36, s38
	s_mul_i32 s37, s37, s28
	s_sub_i32 s36, s36, s37
	s_sub_i32 s37, s36, s28
	s_cmp_ge_u32 s36, s28
	s_cselect_b32 s36, s37, s36
	s_sub_i32 s37, s36, s28
	s_cmp_ge_u32 s36, s28
	s_cselect_b32 s28, s37, s36
	s_xor_b32 s28, s28, s35
	s_sub_i32 s28, s28, s35
	s_ashr_i32 s35, s28, 31
	s_waitcnt lgkmcnt(0)
	s_mul_hi_u32 s36, s26, s28
	s_mul_i32 s35, s26, s35
	s_mul_i32 s27, s27, s28
	s_add_i32 s35, s36, s35
	s_add_i32 s35, s35, s27
	s_mul_i32 s26, s26, s28
	s_add_u32 s26, s10, s26
	s_addc_u32 s27, s11, s35
.LBB26_2:
	s_load_dwordx4 s[36:39], s[0:1], 0x70
	v_lshrrev_b32_e32 v2, 10, v0
	v_bfe_u32 v2, v2, 2, 8
	v_lshl_add_u32 v9, s2, 2, v2
	v_mul_hi_u32 v2, s20, v9
	s_waitcnt lgkmcnt(0)
	s_mul_i32 s10, s30, s38
	s_ashr_i32 s28, s10, 31
	s_mul_i32 s11, s25, s37
	s_add_u32 s4, s4, s10
	s_addc_u32 s5, s5, s28
	s_ashr_i32 s10, s11, 31
	v_add_u32_e32 v2, v9, v2
	s_add_u32 s4, s4, s11
	v_lshrrev_b32_e32 v2, s21, v2
	s_addc_u32 s5, s5, s10
	s_ashr_i32 s11, s37, 31
	s_mov_b32 s10, s37
	v_mul_lo_u32 v2, v2, s22
	s_ashr_i32 s37, s36, 31
	v_sub_u32_e32 v2, v9, v2
	s_lshr_b64 s[20:21], s[36:37], 2
	v_mad_u64_u32 v[4:5], s[20:21], s20, v2, 0
	s_lshr_b64 s[38:39], s[10:11], 2
	v_mov_b32_e32 v6, v5
	s_lshr_b32 s10, s37, 2
	v_bfe_u32 v1, v0, 10, 10
	v_mad_u64_u32 v[6:7], s[20:21], s10, v2, v[6:7]
	v_lshlrev_b32_e32 v3, 1, v1
	v_mov_b32_e32 v5, v6
	v_and_b32_e32 v8, 0x3ff, v0
	v_mov_b32_e32 v7, 0
	v_lshl_add_u64 v[4:5], v[4:5], 2, s[4:5]
	v_lshlrev_b32_e32 v6, 4, v8
	v_and_b32_e32 v24, 6, v3
	v_lshl_add_u64 v[22:23], v[4:5], 0, v[6:7]
	v_mad_u64_u32 v[4:5], s[4:5], s38, v24, 0
	v_mov_b32_e32 v0, v5
	s_lshr_b32 s10, s11, 2
	v_mad_u64_u32 v[6:7], s[4:5], s10, v24, v[0:1]
	v_mov_b32_e32 v5, v6
	v_lshl_add_u64 v[26:27], v[4:5], 2, v[22:23]
	global_load_dwordx4 v[4:7], v[26:27], off
	global_load_dwordx4 v[10:13], v[26:27], off offset:512
	global_load_dwordx4 v[14:17], v[26:27], off offset:1024
	global_load_dwordx4 v[18:21], v[26:27], off offset:1536
	v_bitop3_b32 v25, v3, 7, 1 bitop3:0xc8
	v_mad_u64_u32 v[26:27], s[4:5], s38, v25, 0
	v_mov_b32_e32 v0, v27
	v_mad_u64_u32 v[28:29], s[4:5], s10, v25, v[0:1]
	v_mov_b32_e32 v27, v28
	v_lshl_add_u64 v[22:23], v[26:27], 2, v[22:23]
	global_load_dwordx4 v[28:31], v[22:23], off
	global_load_dwordx4 v[32:35], v[22:23], off offset:512
	global_load_dwordx4 v[36:39], v[22:23], off offset:1024
	;; [unrolled: 1-line block ×3, first 2 shown]
	s_load_dword s4, s[0:1], 0x40
	v_lshlrev_b32_e32 v0, 3, v8
	v_lshlrev_b32_e32 v26, 11, v1
	v_add_u32_e32 v25, v0, v26
	v_or_b32_e32 v3, 1, v3
	v_lshl_add_u32 v3, v3, 10, v0
	s_cmp_eq_u64 s[14:15], 0
	s_waitcnt vmcnt(7) lgkmcnt(0)
	v_fma_mixlo_f16 v4, s4, v4, 0
	v_fma_mixlo_f16 v5, s4, v5, 0
	;; [unrolled: 1-line block ×4, first 2 shown]
	s_waitcnt vmcnt(6)
	v_fma_mixlo_f16 v10, s4, v10, 0
	v_fma_mixlo_f16 v11, s4, v11, 0
	;; [unrolled: 1-line block ×4, first 2 shown]
	v_lshlrev_b32_e32 v5, 16, v5
	v_and_b32_e32 v4, 0xffff, v4
	v_lshlrev_b32_e32 v7, 16, v7
	v_and_b32_e32 v6, 0xffff, v6
	;; [unrolled: 2-line block ×4, first 2 shown]
	v_or_b32_e32 v4, v5, v4
	v_or3_b32 v5, v7, v6, 0
	v_or_b32_e32 v6, v11, v10
	s_waitcnt vmcnt(5)
	v_fma_mixlo_f16 v14, s4, v14, 0
	v_fma_mixlo_f16 v15, s4, v15, 0
	s_waitcnt vmcnt(4)
	v_fma_mixlo_f16 v18, s4, v18, 0
	v_fma_mixlo_f16 v19, s4, v19, 0
	v_or3_b32 v7, v13, v12, 0
	v_or3_b32 v4, 0, 0, v4
	;; [unrolled: 1-line block ×3, first 2 shown]
	v_fma_mixlo_f16 v16, s4, v16, 0
	v_fma_mixlo_f16 v17, s4, v17, 0
	v_lshlrev_b32_e32 v15, 16, v15
	v_and_b32_e32 v14, 0xffff, v14
	v_lshlrev_b32_e32 v19, 16, v19
	v_and_b32_e32 v18, 0xffff, v18
	ds_write2_b64 v25, v[4:5], v[6:7] offset1:32
	v_fma_mixlo_f16 v4, s4, v20, 0
	v_fma_mixlo_f16 v5, s4, v21, 0
	v_lshlrev_b32_e32 v17, 16, v17
	v_and_b32_e32 v16, 0xffff, v16
	v_or_b32_e32 v10, v15, v14
	v_or_b32_e32 v12, v19, v18
	v_lshlrev_b32_e32 v5, 16, v5
	v_and_b32_e32 v4, 0xffff, v4
	v_or3_b32 v11, v17, v16, 0
	v_or3_b32 v10, 0, 0, v10
	;; [unrolled: 1-line block ×4, first 2 shown]
	ds_write2_b64 v25, v[10:11], v[4:5] offset0:64 offset1:96
	s_waitcnt vmcnt(3)
	v_fma_mixlo_f16 v4, s4, v28, 0
	v_fma_mixlo_f16 v5, s4, v29, 0
	v_lshlrev_b32_e32 v5, 16, v5
	v_and_b32_e32 v4, 0xffff, v4
	v_or_b32_e32 v4, v5, v4
	v_fma_mixlo_f16 v5, s4, v30, 0
	v_fma_mixlo_f16 v6, s4, v31, 0
	v_lshlrev_b32_e32 v6, 16, v6
	v_and_b32_e32 v5, 0xffff, v5
	v_or3_b32 v5, v6, v5, 0
	s_waitcnt vmcnt(2)
	v_fma_mixlo_f16 v6, s4, v32, 0
	v_fma_mixlo_f16 v7, s4, v33, 0
	v_lshlrev_b32_e32 v7, 16, v7
	v_and_b32_e32 v6, 0xffff, v6
	v_or_b32_e32 v6, v7, v6
	v_fma_mixlo_f16 v7, s4, v34, 0
	v_fma_mixlo_f16 v10, s4, v35, 0
	v_lshlrev_b32_e32 v10, 16, v10
	v_and_b32_e32 v7, 0xffff, v7
	v_or3_b32 v4, 0, 0, v4
	v_or3_b32 v7, v10, v7, 0
	;; [unrolled: 1-line block ×3, first 2 shown]
	ds_write2_b64 v3, v[4:5], v[6:7] offset1:32
	s_waitcnt vmcnt(1)
	v_fma_mixlo_f16 v4, s4, v36, 0
	v_fma_mixlo_f16 v5, s4, v37, 0
	v_lshlrev_b32_e32 v5, 16, v5
	v_and_b32_e32 v4, 0xffff, v4
	v_or_b32_e32 v4, v5, v4
	v_fma_mixlo_f16 v5, s4, v38, 0
	v_fma_mixlo_f16 v6, s4, v39, 0
	v_lshlrev_b32_e32 v6, 16, v6
	v_and_b32_e32 v5, 0xffff, v5
	v_or3_b32 v5, v6, v5, 0
	s_waitcnt vmcnt(0)
	v_fma_mixlo_f16 v6, s4, v40, 0
	v_fma_mixlo_f16 v7, s4, v41, 0
	v_lshlrev_b32_e32 v7, 16, v7
	v_and_b32_e32 v6, 0xffff, v6
	v_or_b32_e32 v6, v7, v6
	v_fma_mixlo_f16 v7, s4, v42, 0
	v_fma_mixlo_f16 v10, s4, v43, 0
	v_lshlrev_b32_e32 v10, 16, v10
	v_and_b32_e32 v7, 0xffff, v7
	v_or3_b32 v4, 0, 0, v4
	v_or3_b32 v7, v10, v7, 0
	;; [unrolled: 1-line block ×3, first 2 shown]
	ds_write2_b64 v3, v[4:5], v[6:7] offset0:64 offset1:96
	s_waitcnt lgkmcnt(0)
	s_barrier
	s_cbranch_scc1 .LBB26_4
; %bb.3:
	s_load_dword s4, s[0:1], 0xd0
	s_mov_b32 s5, 0
	s_waitcnt lgkmcnt(0)
	s_mul_i32 s4, s4, s30
	s_add_i32 s4, s4, s2
	s_lshl_b64 s[4:5], s[4:5], 2
	s_add_u32 s4, s14, s4
	s_addc_u32 s5, s15, s5
	s_load_dword s24, s[4:5], 0x0
.LBB26_4:
	s_lshl_b32 s2, s3, 7
	v_lshlrev_b32_e32 v25, 2, v8
	s_waitcnt lgkmcnt(0)
	s_cmp_lt_i32 s2, s24
	v_mbcnt_lo_u32_b32 v3, -1, 0
	s_cbranch_scc1 .LBB26_19
; %bb.5:
	v_mbcnt_hi_u32_b32 v19, -1, v3
	v_and_b32_e32 v4, 0x60, v19
	v_add_u32_e32 v52, 32, v4
	v_xor_b32_e32 v57, 16, v19
	v_xor_b32_e32 v53, 8, v19
	;; [unrolled: 1-line block ×5, first 2 shown]
	s_cbranch_execz .LBB26_20
; %bb.6:
	v_mov_b32_e32 v11, 0
	v_mov_b32_e32 v23, 0xfeffffff
	;; [unrolled: 1-line block ×20, first 2 shown]
.LBB26_7:
	v_cmp_lt_i32_e32 vcc, v57, v52
	s_cmp_lg_u64 s[12:13], 0
	s_cselect_b64 s[4:5], -1, 0
	v_cndmask_b32_e32 v0, v19, v57, vcc
	v_lshlrev_b32_e32 v1, 2, v0
	ds_bpermute_b32 v0, v1, v10
	ds_bpermute_b32 v1, v1, v11
	v_cmp_lt_i32_e32 vcc, v53, v52
	s_cmp_eq_u32 s3, 0
	s_cselect_b64 s[6:7], -1, 0
	v_cndmask_b32_e32 v2, v19, v53, vcc
	v_lshlrev_b32_e32 v3, 2, v2
	s_waitcnt lgkmcnt(0)
	v_pk_add_f32 v[0:1], v[10:11], v[0:1]
	ds_bpermute_b32 v2, v3, v0
	ds_bpermute_b32 v3, v3, v1
	v_cmp_lt_i32_e32 vcc, v54, v52
	s_and_b64 s[4:5], s[6:7], s[4:5]
	s_waitcnt lgkmcnt(0)
	v_pk_add_f32 v[0:1], v[0:1], v[2:3]
	v_cndmask_b32_e32 v4, v19, v54, vcc
	v_lshlrev_b32_e32 v4, 2, v4
	ds_bpermute_b32 v2, v4, v0
	ds_bpermute_b32 v3, v4, v1
	v_cmp_lt_i32_e32 vcc, v55, v52
	s_waitcnt lgkmcnt(0)
	v_pk_add_f32 v[0:1], v[0:1], v[2:3]
	v_cndmask_b32_e32 v4, v19, v55, vcc
	v_lshlrev_b32_e32 v4, 2, v4
	ds_bpermute_b32 v2, v4, v0
	ds_bpermute_b32 v3, v4, v1
	v_cmp_lt_i32_e32 vcc, v56, v52
	s_waitcnt lgkmcnt(0)
	v_pk_add_f32 v[0:1], v[0:1], v[2:3]
	v_cndmask_b32_e32 v4, v19, v56, vcc
	v_lshlrev_b32_e32 v4, 2, v4
	ds_bpermute_b32 v2, v4, v0
	ds_bpermute_b32 v3, v4, v1
	s_and_b64 vcc, exec, s[4:5]
	s_waitcnt lgkmcnt(0)
	v_pk_add_f32 v[0:1], v[0:1], v[2:3]
	s_cbranch_vccz .LBB26_9
; %bb.8:
	v_add_u32_e32 v2, s25, v24
	v_ashrrev_i32_e32 v3, 31, v2
	v_lshl_add_u64 v[2:3], v[2:3], 2, s[12:13]
	global_load_dwordx2 v[2:3], v[2:3], off
	v_max_f32_e32 v4, v22, v22
	v_max_f32_e32 v11, v23, v23
	s_mov_b32 s2, 0x3fb8aa3b
	s_mov_b32 s4, 0xc2ce8ed0
	;; [unrolled: 1-line block ×3, first 2 shown]
	v_mov_b32_e32 v13, 0x7f800000
	s_waitcnt vmcnt(0)
	v_max_f32_e32 v10, v2, v2
	v_max_f32_e32 v10, v4, v10
	v_max_f32_e32 v12, v3, v3
	v_sub_f32_e32 v4, v22, v10
	v_max_f32_e32 v11, v11, v12
	v_sub_f32_e32 v12, v2, v10
	v_mul_f32_e32 v2, 0x3fb8aa3b, v4
	v_sub_f32_e32 v14, v23, v11
	v_sub_f32_e32 v15, v3, v11
	v_mul_f32_e32 v3, 0x3fb8aa3b, v12
	v_fma_f32 v18, v4, s2, -v2
	v_rndne_f32_e32 v19, v2
	v_mul_f32_e32 v16, 0x3fb8aa3b, v14
	v_fma_f32 v20, v12, s2, -v3
	v_rndne_f32_e32 v21, v3
	v_fmac_f32_e32 v18, 0x32a5705f, v4
	v_sub_f32_e32 v2, v2, v19
	v_mul_f32_e32 v17, 0x3fb8aa3b, v15
	v_fma_f32 v22, v14, s2, -v16
	v_rndne_f32_e32 v23, v16
	v_fmac_f32_e32 v20, 0x32a5705f, v12
	v_sub_f32_e32 v3, v3, v21
	v_add_f32_e32 v2, v2, v18
	v_fma_f32 v26, v15, s2, -v17
	v_rndne_f32_e32 v27, v17
	v_cvt_i32_f32_e32 v19, v19
	v_fmac_f32_e32 v22, 0x32a5705f, v14
	v_sub_f32_e32 v16, v16, v23
	v_add_f32_e32 v3, v3, v20
	v_exp_f32_e32 v2, v2
	v_cvt_i32_f32_e32 v21, v21
	v_fmac_f32_e32 v26, 0x32a5705f, v15
	v_sub_f32_e32 v17, v17, v27
	v_add_f32_e32 v16, v16, v22
	v_exp_f32_e32 v3, v3
	v_cvt_i32_f32_e32 v23, v23
	v_add_f32_e32 v17, v17, v26
	v_exp_f32_e32 v16, v16
	v_cvt_i32_f32_e32 v27, v27
	v_exp_f32_e32 v17, v17
	v_ldexp_f32 v2, v2, v19
	v_cmp_ngt_f32_e32 vcc, s4, v4
	v_ldexp_f32 v3, v3, v21
	v_ldexp_f32 v16, v16, v23
	v_cndmask_b32_e32 v2, 0, v2, vcc
	v_cmp_ngt_f32_e32 vcc, s4, v12
	v_ldexp_f32 v17, v17, v27
	v_mov_b64_e32 v[22:23], v[10:11]
	v_cndmask_b32_e32 v3, 0, v3, vcc
	v_cmp_ngt_f32_e32 vcc, s4, v14
	s_nop 1
	v_cndmask_b32_e32 v16, 0, v16, vcc
	v_cmp_ngt_f32_e32 vcc, s4, v15
	s_nop 1
	v_cndmask_b32_e32 v17, 0, v17, vcc
	v_cmp_nlt_f32_e32 vcc, s5, v4
	s_nop 1
	v_cndmask_b32_e32 v2, v13, v2, vcc
	v_cmp_nlt_f32_e32 vcc, s5, v12
	v_cvt_f16_f32_e32 v4, v2
	s_nop 0
	v_cndmask_b32_e32 v12, v13, v3, vcc
	v_cmp_nlt_f32_e32 vcc, s5, v14
	s_nop 1
	v_cndmask_b32_e32 v3, v13, v16, vcc
	v_cvt_f16_f32_e32 v14, v3
	v_cmp_nlt_f32_e32 vcc, s5, v15
	s_nop 1
	v_cndmask_b32_e32 v13, v13, v17, vcc
	v_pk_fma_f32 v[0:1], v[0:1], v[2:3], v[12:13]
	v_mul_u32_u24_e32 v2, 0x10001, v4
	v_mul_u32_u24_e32 v3, 0x10001, v14
	v_pk_mul_f16 v41, v41, v2
	v_pk_mul_f16 v48, v48, v2
	;; [unrolled: 1-line block ×16, first 2 shown]
.LBB26_9:
	v_cmp_gt_i32_e32 vcc, s22, v9
	s_and_saveexec_b64 s[4:5], vcc
	s_cbranch_execz .LBB26_18
; %bb.10:
	s_load_dword s6, s[0:1], 0xd4
	v_mov_b32_e32 v4, 1.0
	s_waitcnt lgkmcnt(0)
	s_cmp_lg_u32 s6, 1
	s_cselect_b64 s[0:1], -1, 0
	s_cmp_eq_u32 s6, 1
	s_cselect_b64 s[4:5], -1, 0
	s_and_b64 vcc, exec, s[0:1]
	s_cbranch_vccnz .LBB26_12
; %bb.11:
	v_div_scale_f32 v2, s[8:9], v0, v0, 1.0
	v_rcp_f32_e32 v3, v2
	v_div_scale_f32 v4, vcc, 1.0, v0, 1.0
	v_fma_f32 v10, -v2, v3, 1.0
	v_fmac_f32_e32 v3, v10, v3
	v_mul_f32_e32 v10, v4, v3
	v_fma_f32 v11, -v2, v10, v4
	v_fmac_f32_e32 v10, v11, v3
	v_fma_f32 v2, -v2, v10, v4
	v_div_fmas_f32 v2, v2, v3, v10
	v_div_fixup_f32 v4, v2, v0, 1.0
.LBB26_12:
	s_mul_i32 s30, s30, s22
	v_add_u32_e32 v2, s30, v9
	v_mul_lo_u32 v2, v2, s23
	v_add3_u32 v2, s25, v24, v2
	v_cmp_eq_u32_e32 vcc, 0, v8
	v_cvt_f32_f16_sdwa v9, v41 dst_sel:DWORD dst_unused:UNUSED_PAD src0_sel:WORD_1
	v_cvt_f32_f16_e32 v8, v41
	v_cvt_f32_f16_sdwa v11, v48 dst_sel:DWORD dst_unused:UNUSED_PAD src0_sel:WORD_1
	v_cvt_f32_f16_e32 v10, v48
	v_mul_lo_u32 v2, s6, v2
	v_add_u32_e32 v2, s3, v2
	v_lshl_add_u32 v12, v2, 9, v25
	v_mov_b32_e32 v13, 0
	v_lshl_add_u64 v[14:15], v[12:13], 2, s[16:17]
	v_pk_mul_f32 v[8:9], v[4:5], v[8:9] op_sel_hi:[0,1]
	v_pk_mul_f32 v[10:11], v[4:5], v[10:11] op_sel_hi:[0,1]
	global_store_dwordx4 v[14:15], v[8:11], off
	v_cvt_f32_f16_sdwa v15, v46 dst_sel:DWORD dst_unused:UNUSED_PAD src0_sel:WORD_1
	v_cvt_f32_f16_e32 v14, v46
	v_cvt_f32_f16_sdwa v11, v47 dst_sel:DWORD dst_unused:UNUSED_PAD src0_sel:WORD_1
	v_cvt_f32_f16_e32 v10, v47
	v_add_u32_e32 v8, 0x80, v12
	v_mov_b32_e32 v9, v13
	v_lshl_add_u64 v[16:17], v[8:9], 2, s[16:17]
	v_pk_mul_f32 v[8:9], v[4:5], v[10:11] op_sel_hi:[0,1]
	v_pk_mul_f32 v[10:11], v[4:5], v[14:15] op_sel_hi:[0,1]
	global_store_dwordx4 v[16:17], v[8:11], off
	v_cvt_f32_f16_sdwa v15, v44 dst_sel:DWORD dst_unused:UNUSED_PAD src0_sel:WORD_1
	v_cvt_f32_f16_e32 v14, v44
	v_cvt_f32_f16_sdwa v11, v45 dst_sel:DWORD dst_unused:UNUSED_PAD src0_sel:WORD_1
	v_cvt_f32_f16_e32 v10, v45
	v_add_u32_e32 v8, 0x100, v12
	v_mov_b32_e32 v9, v13
	v_lshl_add_u64 v[16:17], v[8:9], 2, s[16:17]
	v_pk_mul_f32 v[8:9], v[4:5], v[10:11] op_sel_hi:[0,1]
	v_pk_mul_f32 v[10:11], v[4:5], v[14:15] op_sel_hi:[0,1]
	global_store_dwordx4 v[16:17], v[8:11], off
	v_add_u32_e32 v12, 0x180, v12
	s_and_b64 s[0:1], vcc, s[0:1]
	v_cvt_f32_f16_sdwa v9, v43 dst_sel:DWORD dst_unused:UNUSED_PAD src0_sel:WORD_1
	v_cvt_f32_f16_e32 v8, v43
	v_cvt_f32_f16_sdwa v11, v42 dst_sel:DWORD dst_unused:UNUSED_PAD src0_sel:WORD_1
	v_cvt_f32_f16_e32 v10, v42
	v_lshl_add_u64 v[12:13], v[12:13], 2, s[16:17]
	v_pk_mul_f32 v[8:9], v[4:5], v[8:9] op_sel_hi:[0,1]
	v_pk_mul_f32 v[10:11], v[4:5], v[10:11] op_sel_hi:[0,1]
	global_store_dwordx4 v[12:13], v[8:11], off
	s_and_saveexec_b64 s[2:3], s[0:1]
	s_cbranch_execz .LBB26_14
; %bb.13:
	v_ashrrev_i32_e32 v3, 31, v2
	v_lshl_add_u64 v[8:9], v[2:3], 3, s[18:19]
	v_mov_b32_e32 v10, v22
	v_mov_b32_e32 v11, v0
	global_store_dwordx2 v[8:9], v[10:11], off
.LBB26_14:
	s_or_b64 exec, exec, s[2:3]
	s_andn2_b64 vcc, exec, s[4:5]
	v_mov_b32_e32 v0, 1.0
	s_cbranch_vccnz .LBB26_16
; %bb.15:
	v_div_scale_f32 v0, s[2:3], v1, v1, 1.0
	v_rcp_f32_e32 v3, v0
	v_div_scale_f32 v4, vcc, 1.0, v1, 1.0
	v_fma_f32 v8, -v0, v3, 1.0
	v_fmac_f32_e32 v3, v8, v3
	v_mul_f32_e32 v8, v4, v3
	v_fma_f32 v9, -v0, v8, v4
	v_fmac_f32_e32 v8, v9, v3
	v_fma_f32 v0, -v0, v8, v4
	v_div_fmas_f32 v0, v0, v3, v8
	v_div_fixup_f32 v0, v0, v1, 1.0
.LBB26_16:
	v_cvt_f32_f16_sdwa v9, v37 dst_sel:DWORD dst_unused:UNUSED_PAD src0_sel:WORD_1
	v_cvt_f32_f16_e32 v8, v37
	v_cvt_f32_f16_sdwa v11, v40 dst_sel:DWORD dst_unused:UNUSED_PAD src0_sel:WORD_1
	v_cvt_f32_f16_e32 v10, v40
	v_add_u32_e32 v2, s6, v2
	v_lshl_add_u32 v12, v2, 9, v25
	v_mov_b32_e32 v13, 0
	v_lshl_add_u64 v[14:15], v[12:13], 2, s[16:17]
	v_pk_mul_f32 v[8:9], v[0:1], v[8:9] op_sel_hi:[0,1]
	v_pk_mul_f32 v[10:11], v[0:1], v[10:11] op_sel_hi:[0,1]
	global_store_dwordx4 v[14:15], v[8:11], off
	v_cvt_f32_f16_sdwa v15, v38 dst_sel:DWORD dst_unused:UNUSED_PAD src0_sel:WORD_1
	v_cvt_f32_f16_e32 v14, v38
	v_cvt_f32_f16_sdwa v11, v39 dst_sel:DWORD dst_unused:UNUSED_PAD src0_sel:WORD_1
	v_cvt_f32_f16_e32 v10, v39
	v_add_u32_e32 v8, 0x80, v12
	v_mov_b32_e32 v9, v13
	v_lshl_add_u64 v[16:17], v[8:9], 2, s[16:17]
	v_pk_mul_f32 v[8:9], v[0:1], v[10:11] op_sel_hi:[0,1]
	v_pk_mul_f32 v[10:11], v[0:1], v[14:15] op_sel_hi:[0,1]
	global_store_dwordx4 v[16:17], v[8:11], off
	v_cvt_f32_f16_sdwa v15, v36 dst_sel:DWORD dst_unused:UNUSED_PAD src0_sel:WORD_1
	v_cvt_f32_f16_e32 v14, v36
	v_cvt_f32_f16_sdwa v11, v7 dst_sel:DWORD dst_unused:UNUSED_PAD src0_sel:WORD_1
	v_cvt_f32_f16_e32 v10, v7
	v_add_u32_e32 v8, 0x100, v12
	;; [unrolled: 10-line block ×3, first 2 shown]
	v_lshl_add_u64 v[10:11], v[12:13], 2, s[16:17]
	v_pk_mul_f32 v[4:5], v[0:1], v[6:7] op_sel_hi:[0,1]
	v_pk_mul_f32 v[6:7], v[0:1], v[8:9] op_sel_hi:[0,1]
	global_store_dwordx4 v[10:11], v[4:7], off
	s_and_b64 exec, exec, s[0:1]
	s_cbranch_execz .LBB26_18
; %bb.17:
	v_ashrrev_i32_e32 v3, 31, v2
	v_lshl_add_u64 v[2:3], v[2:3], 3, s[18:19]
	v_mov_b32_e32 v0, v23
	global_store_dwordx2 v[2:3], v[0:1], off
.LBB26_18:
	s_endpgm
.LBB26_19:
                                        ; implicit-def: $vgpr19
                                        ; implicit-def: $vgpr52
                                        ; implicit-def: $vgpr57
                                        ; implicit-def: $vgpr53
                                        ; implicit-def: $vgpr54
                                        ; implicit-def: $vgpr55
                                        ; implicit-def: $vgpr56
.LBB26_20:
	s_sub_i32 s4, 0, s31
	s_mul_i32 s4, s4, s34
	s_mul_hi_u32 s4, s34, s4
	s_add_i32 s34, s34, s4
	s_load_dwordx4 s[36:39], s[0:1], 0x98
	s_load_dword s10, s[0:1], 0x54
	s_load_dwordx2 s[4:5], s[0:1], 0x8c
	s_ashr_i32 s28, s33, 31
	s_abs_i32 s15, s25
	s_waitcnt lgkmcnt(0)
	s_ashr_i32 s11, s38, 2
	s_mul_hi_u32 s33, s36, s30
	s_ashr_i32 s14, s4, 2
	s_ashr_i32 s4, s30, 31
	s_mul_i32 s38, s36, s4
	s_add_i32 s33, s33, s38
	s_mul_i32 s37, s37, s30
	s_ashr_i32 s21, s25, 31
	s_ashr_i32 s29, s29, 1
	s_add_i32 s33, s33, s37
	s_mul_i32 s36, s36, s30
	s_mul_hi_u32 s20, s15, s34
	s_add_u32 s6, s6, s36
	s_addc_u32 s7, s7, s33
	s_xor_b32 s21, s21, s28
	s_mul_i32 s28, s20, s31
	s_sub_i32 s15, s15, s28
	s_add_i32 s28, s20, 1
	s_sub_i32 s33, s15, s31
	s_cmp_ge_u32 s15, s31
	s_cselect_b32 s20, s28, s20
	s_cselect_b32 s15, s33, s15
	s_add_i32 s28, s20, 1
	s_cmp_ge_u32 s15, s31
	s_load_dwordx2 s[34:35], s[0:1], 0xa8
	s_cselect_b32 s15, s28, s20
	s_xor_b32 s15, s15, s21
	s_sub_i32 s21, s15, s21
	s_mul_i32 s5, s21, s5
	s_ashr_i32 s20, s5, 31
	s_add_u32 s15, s6, s5
	s_waitcnt lgkmcnt(0)
	s_mul_hi_u32 s5, s34, s30
	s_mul_i32 s4, s34, s4
	s_addc_u32 s20, s7, s20
	s_add_i32 s4, s5, s4
	s_mul_i32 s5, s35, s30
	s_add_i32 s4, s4, s5
	s_mul_i32 s5, s34, s30
	s_add_u32 s5, s8, s5
	s_mul_i32 s21, s21, s39
	s_addc_u32 s6, s9, s4
	s_ashr_i32 s7, s21, 31
	v_lshrrev_b32_e32 v4, 3, v8
	s_add_u32 s4, s5, s21
	v_lshl_add_u32 v5, v1, 2, v4
	v_and_b32_e32 v4, 28, v25
	s_addc_u32 s5, s6, s7
	v_lshlrev_b32_e32 v6, 2, v4
	s_movk_i32 s6, 0x90
	v_mad_u32_u24 v6, v5, s6, v6
	v_add_u32_e32 v27, 0x8000, v6
	v_mul_lo_u32 v14, s14, v5
	v_add_u32_e32 v28, 0xa400, v6
	v_mov_b32_e32 v5, 0x8000
	v_mul_lo_u32 v6, s11, v1
	v_mad_u32_u24 v29, v8, s6, v5
	v_mad_u64_u32 v[18:19], s[6:7], v2, s29, v[8:9]
	v_mov_b32_e32 v2, 0xc800
	v_lshlrev_b32_e32 v12, 2, v25
	v_ashrrev_i32_e32 v7, 31, v6
	v_mov_b32_e32 v13, 0
	v_lshl_add_u32 v16, s14, 6, v14
	v_lshl_add_u32 v30, v1, 9, v2
	v_lshl_add_u32 v2, v1, 10, v12
	v_lshl_add_u64 v[6:7], v[6:7], 2, s[4:5]
	s_add_u32 s4, s0, 0xd0
	v_ashrrev_i32_e32 v15, 31, v14
	v_ashrrev_i32_e32 v17, 31, v16
	v_add_u32_e32 v31, 0x8000, v2
	v_add_u32_e32 v32, 0x8200, v2
	v_or_b32_e32 v33, 0x8000, v0
	s_addc_u32 s5, s1, 0
	v_lshl_add_u64 v[20:21], v[6:7], 0, v[12:13]
	v_mov_b32_e32 v49, 0xfeffffff
	v_lshlrev_b32_e32 v12, 2, v4
	s_mov_b32 s8, 0x3f200000
	s_mov_b32 s9, 0x3fb8aa3b
	;; [unrolled: 1-line block ×4, first 2 shown]
	v_mov_b32_e32 v34, 0x3ca908c9
	s_brev_b32 s29, -2
	s_mov_b32 s31, 0x10001
	v_mov_b32_e32 v35, 0x7f800000
	v_mbcnt_hi_u32_b32 v19, -1, v3
	v_mov_b32_e32 v5, v13
	v_mov_b32_e32 v6, v13
	;; [unrolled: 1-line block ×19, first 2 shown]
                                        ; implicit-def: $vgpr0
                                        ; implicit-def: $vgpr0
	;; [unrolled: 1-line block ×3, first 2 shown]
.LBB26_21:                              ; =>This Inner Loop Header: Depth=1
	s_mul_hi_i32 s7, s2, s14
	s_mul_i32 s6, s2, s14
	s_lshl_b64 s[6:7], s[6:7], 2
	s_add_u32 s6, s15, s6
	s_addc_u32 s7, s20, s7
	v_lshl_add_u64 v[0:1], v[14:15], 2, s[6:7]
	v_lshl_add_u64 v[0:1], v[0:1], 0, v[12:13]
	;; [unrolled: 1-line block ×4, first 2 shown]
	global_load_dwordx4 v[56:59], v[0:1], off
	global_load_dwordx4 v[60:63], v[2:3], off
	v_mov_b32_e32 v52, 0
	v_mov_b32_e32 v22, 0
	;; [unrolled: 1-line block ×8, first 2 shown]
	s_waitcnt vmcnt(1)
	ds_write_b128 v27, v[56:59]
	s_waitcnt vmcnt(0)
	ds_write_b128 v28, v[60:63]
	s_waitcnt lgkmcnt(0)
	s_barrier
	ds_read_b128 v[56:59], v26
	ds_read_b128 v[60:63], v29
	ds_read_b128 v[64:67], v29 offset:4608
	ds_read_b128 v[68:71], v29 offset:9216
	;; [unrolled: 1-line block ×4, first 2 shown]
	s_waitcnt lgkmcnt(4)
	;;#ASMSTART
	v_dot2_f32_f16 v52, v60, v56, v52
	;;#ASMEND
	s_nop 0
	;;#ASMSTART
	v_dot2_f32_f16 v52, v61, v57, v52
	;;#ASMEND
	s_nop 0
	;;#ASMSTART
	v_dot2_f32_f16 v52, v62, v58, v52
	;;#ASMEND
	s_nop 0
	;;#ASMSTART
	v_dot2_f32_f16 v52, v63, v59, v52
	;;#ASMEND
	s_waitcnt lgkmcnt(0)
	;;#ASMSTART
	v_dot2_f32_f16 v22, v60, v76, v22
	;;#ASMEND
	s_nop 0
	;;#ASMSTART
	v_dot2_f32_f16 v22, v61, v77, v22
	;;#ASMEND
	s_nop 0
	;;#ASMSTART
	v_dot2_f32_f16 v22, v62, v78, v22
	;;#ASMEND
	s_nop 0
	;;#ASMSTART
	v_dot2_f32_f16 v22, v63, v79, v22
	;;#ASMEND
	;;#ASMSTART
	v_dot2_f32_f16 v53, v64, v56, v53
	;;#ASMEND
	s_nop 0
	;;#ASMSTART
	v_dot2_f32_f16 v53, v65, v57, v53
	;;#ASMEND
	s_nop 0
	;;#ASMSTART
	v_dot2_f32_f16 v53, v66, v58, v53
	;;#ASMEND
	s_nop 0
	;;#ASMSTART
	v_dot2_f32_f16 v53, v67, v59, v53
	;;#ASMEND
	;; [unrolled: 15-line block ×7, first 2 shown]
	ds_read_b128 v[56:59], v26 offset:16
	ds_read_b128 v[60:63], v29 offset:16
	ds_read_b128 v[64:67], v29 offset:4624
	ds_read_b128 v[68:71], v29 offset:9232
	ds_read_b128 v[72:75], v29 offset:13840
	ds_read_b128 v[76:79], v26 offset:1040
	s_waitcnt lgkmcnt(4)
	;;#ASMSTART
	v_dot2_f32_f16 v52, v60, v56, v52
	;;#ASMEND
	s_nop 0
	;;#ASMSTART
	v_dot2_f32_f16 v52, v61, v57, v52
	;;#ASMEND
	s_nop 0
	;; [unrolled: 4-line block ×3, first 2 shown]
	;;#ASMSTART
	v_dot2_f32_f16 v52, v63, v59, v52
	;;#ASMEND
	s_waitcnt lgkmcnt(0)
	;;#ASMSTART
	v_dot2_f32_f16 v22, v60, v76, v22
	;;#ASMEND
	s_nop 0
	;;#ASMSTART
	v_dot2_f32_f16 v22, v61, v77, v22
	;;#ASMEND
	s_nop 0
	;;#ASMSTART
	v_dot2_f32_f16 v22, v62, v78, v22
	;;#ASMEND
	s_nop 0
	;;#ASMSTART
	v_dot2_f32_f16 v22, v63, v79, v22
	;;#ASMEND
	;;#ASMSTART
	v_dot2_f32_f16 v53, v64, v56, v53
	;;#ASMEND
	s_nop 0
	;;#ASMSTART
	v_dot2_f32_f16 v53, v65, v57, v53
	;;#ASMEND
	s_nop 0
	;;#ASMSTART
	v_dot2_f32_f16 v53, v66, v58, v53
	;;#ASMEND
	s_nop 0
	;;#ASMSTART
	v_dot2_f32_f16 v53, v67, v59, v53
	;;#ASMEND
	;; [unrolled: 15-line block ×7, first 2 shown]
	ds_read_b128 v[56:59], v26 offset:32
	ds_read_b128 v[60:63], v29 offset:32
	;; [unrolled: 1-line block ×6, first 2 shown]
	s_waitcnt lgkmcnt(4)
	;;#ASMSTART
	v_dot2_f32_f16 v52, v60, v56, v52
	;;#ASMEND
	s_nop 0
	;;#ASMSTART
	v_dot2_f32_f16 v52, v61, v57, v52
	;;#ASMEND
	s_nop 0
	;; [unrolled: 4-line block ×3, first 2 shown]
	;;#ASMSTART
	v_dot2_f32_f16 v52, v63, v59, v52
	;;#ASMEND
	s_waitcnt lgkmcnt(0)
	;;#ASMSTART
	v_dot2_f32_f16 v22, v60, v76, v22
	;;#ASMEND
	s_nop 0
	;;#ASMSTART
	v_dot2_f32_f16 v22, v61, v77, v22
	;;#ASMEND
	s_nop 0
	;;#ASMSTART
	v_dot2_f32_f16 v22, v62, v78, v22
	;;#ASMEND
	s_nop 0
	;;#ASMSTART
	v_dot2_f32_f16 v22, v63, v79, v22
	;;#ASMEND
	;;#ASMSTART
	v_dot2_f32_f16 v53, v64, v56, v53
	;;#ASMEND
	s_nop 0
	;;#ASMSTART
	v_dot2_f32_f16 v53, v65, v57, v53
	;;#ASMEND
	s_nop 0
	;;#ASMSTART
	v_dot2_f32_f16 v53, v66, v58, v53
	;;#ASMEND
	s_nop 0
	;;#ASMSTART
	v_dot2_f32_f16 v53, v67, v59, v53
	;;#ASMEND
	;; [unrolled: 15-line block ×7, first 2 shown]
	ds_read_b128 v[56:59], v26 offset:48
	ds_read_b128 v[60:63], v29 offset:48
	ds_read_b128 v[64:67], v29 offset:4656
	ds_read_b128 v[68:71], v29 offset:9264
	ds_read_b128 v[72:75], v29 offset:13872
	ds_read_b128 v[76:79], v26 offset:1072
	s_waitcnt lgkmcnt(4)
	;;#ASMSTART
	v_dot2_f32_f16 v52, v60, v56, v52
	;;#ASMEND
	s_nop 0
	;;#ASMSTART
	v_dot2_f32_f16 v52, v61, v57, v52
	;;#ASMEND
	s_nop 0
	;; [unrolled: 4-line block ×3, first 2 shown]
	;;#ASMSTART
	v_dot2_f32_f16 v52, v63, v59, v52
	;;#ASMEND
	s_waitcnt lgkmcnt(0)
	;;#ASMSTART
	v_dot2_f32_f16 v22, v60, v76, v22
	;;#ASMEND
	s_nop 0
	;;#ASMSTART
	v_dot2_f32_f16 v22, v61, v77, v22
	;;#ASMEND
	s_nop 0
	;;#ASMSTART
	v_dot2_f32_f16 v22, v62, v78, v22
	;;#ASMEND
	s_nop 0
	;;#ASMSTART
	v_dot2_f32_f16 v22, v63, v79, v22
	;;#ASMEND
	;;#ASMSTART
	v_dot2_f32_f16 v53, v64, v56, v53
	;;#ASMEND
	s_nop 0
	;;#ASMSTART
	v_dot2_f32_f16 v53, v65, v57, v53
	;;#ASMEND
	s_nop 0
	;;#ASMSTART
	v_dot2_f32_f16 v53, v66, v58, v53
	;;#ASMEND
	s_nop 0
	;;#ASMSTART
	v_dot2_f32_f16 v53, v67, v59, v53
	;;#ASMEND
	;; [unrolled: 15-line block ×7, first 2 shown]
	ds_read_b128 v[56:59], v26 offset:64
	ds_read_b128 v[60:63], v29 offset:64
	;; [unrolled: 1-line block ×6, first 2 shown]
	s_waitcnt lgkmcnt(4)
	;;#ASMSTART
	v_dot2_f32_f16 v52, v60, v56, v52
	;;#ASMEND
	s_nop 0
	;;#ASMSTART
	v_dot2_f32_f16 v52, v61, v57, v52
	;;#ASMEND
	s_nop 0
	;;#ASMSTART
	v_dot2_f32_f16 v52, v62, v58, v52
	;;#ASMEND
	s_nop 0
	;;#ASMSTART
	v_dot2_f32_f16 v52, v63, v59, v52
	;;#ASMEND
	s_waitcnt lgkmcnt(0)
	;;#ASMSTART
	v_dot2_f32_f16 v22, v60, v76, v22
	;;#ASMEND
	s_nop 0
	;;#ASMSTART
	v_dot2_f32_f16 v22, v61, v77, v22
	;;#ASMEND
	s_nop 0
	;;#ASMSTART
	v_dot2_f32_f16 v22, v62, v78, v22
	;;#ASMEND
	s_nop 0
	;;#ASMSTART
	v_dot2_f32_f16 v22, v63, v79, v22
	;;#ASMEND
	;;#ASMSTART
	v_dot2_f32_f16 v53, v64, v56, v53
	;;#ASMEND
	s_nop 0
	;;#ASMSTART
	v_dot2_f32_f16 v53, v65, v57, v53
	;;#ASMEND
	s_nop 0
	;;#ASMSTART
	v_dot2_f32_f16 v53, v66, v58, v53
	;;#ASMEND
	s_nop 0
	;;#ASMSTART
	v_dot2_f32_f16 v53, v67, v59, v53
	;;#ASMEND
	;; [unrolled: 15-line block ×7, first 2 shown]
	ds_read_b128 v[56:59], v26 offset:80
	ds_read_b128 v[60:63], v29 offset:80
	;; [unrolled: 1-line block ×6, first 2 shown]
	s_waitcnt lgkmcnt(4)
	;;#ASMSTART
	v_dot2_f32_f16 v52, v60, v56, v52
	;;#ASMEND
	s_nop 0
	;;#ASMSTART
	v_dot2_f32_f16 v52, v61, v57, v52
	;;#ASMEND
	s_nop 0
	;; [unrolled: 4-line block ×3, first 2 shown]
	;;#ASMSTART
	v_dot2_f32_f16 v52, v63, v59, v52
	;;#ASMEND
	s_waitcnt lgkmcnt(0)
	;;#ASMSTART
	v_dot2_f32_f16 v22, v60, v76, v22
	;;#ASMEND
	s_nop 0
	;;#ASMSTART
	v_dot2_f32_f16 v22, v61, v77, v22
	;;#ASMEND
	s_nop 0
	;;#ASMSTART
	v_dot2_f32_f16 v22, v62, v78, v22
	;;#ASMEND
	s_nop 0
	;;#ASMSTART
	v_dot2_f32_f16 v22, v63, v79, v22
	;;#ASMEND
	;;#ASMSTART
	v_dot2_f32_f16 v53, v64, v56, v53
	;;#ASMEND
	s_nop 0
	;;#ASMSTART
	v_dot2_f32_f16 v53, v65, v57, v53
	;;#ASMEND
	s_nop 0
	;;#ASMSTART
	v_dot2_f32_f16 v53, v66, v58, v53
	;;#ASMEND
	s_nop 0
	;;#ASMSTART
	v_dot2_f32_f16 v53, v67, v59, v53
	;;#ASMEND
	;; [unrolled: 15-line block ×7, first 2 shown]
	ds_read_b128 v[56:59], v26 offset:96
	ds_read_b128 v[60:63], v29 offset:96
	;; [unrolled: 1-line block ×6, first 2 shown]
	s_waitcnt lgkmcnt(4)
	;;#ASMSTART
	v_dot2_f32_f16 v52, v60, v56, v52
	;;#ASMEND
	s_nop 0
	;;#ASMSTART
	v_dot2_f32_f16 v52, v61, v57, v52
	;;#ASMEND
	s_nop 0
	;; [unrolled: 4-line block ×3, first 2 shown]
	;;#ASMSTART
	v_dot2_f32_f16 v52, v63, v59, v52
	;;#ASMEND
	s_waitcnt lgkmcnt(0)
	;;#ASMSTART
	v_dot2_f32_f16 v22, v60, v76, v22
	;;#ASMEND
	s_nop 0
	;;#ASMSTART
	v_dot2_f32_f16 v22, v61, v77, v22
	;;#ASMEND
	s_nop 0
	;;#ASMSTART
	v_dot2_f32_f16 v22, v62, v78, v22
	;;#ASMEND
	s_nop 0
	;;#ASMSTART
	v_dot2_f32_f16 v22, v63, v79, v22
	;;#ASMEND
	;;#ASMSTART
	v_dot2_f32_f16 v53, v64, v56, v53
	;;#ASMEND
	s_nop 0
	;;#ASMSTART
	v_dot2_f32_f16 v53, v65, v57, v53
	;;#ASMEND
	s_nop 0
	;;#ASMSTART
	v_dot2_f32_f16 v53, v66, v58, v53
	;;#ASMEND
	s_nop 0
	;;#ASMSTART
	v_dot2_f32_f16 v53, v67, v59, v53
	;;#ASMEND
	;; [unrolled: 15-line block ×7, first 2 shown]
	ds_read_b128 v[56:59], v26 offset:112
	ds_read_b128 v[60:63], v29 offset:112
	;; [unrolled: 1-line block ×6, first 2 shown]
	s_waitcnt lgkmcnt(4)
	;;#ASMSTART
	v_dot2_f32_f16 v52, v60, v56, v52
	;;#ASMEND
	s_nop 0
	;;#ASMSTART
	v_dot2_f32_f16 v52, v61, v57, v52
	;;#ASMEND
	s_nop 0
	;; [unrolled: 4-line block ×3, first 2 shown]
	;;#ASMSTART
	v_dot2_f32_f16 v52, v63, v59, v52
	;;#ASMEND
	s_waitcnt lgkmcnt(0)
	;;#ASMSTART
	v_dot2_f32_f16 v22, v60, v76, v22
	;;#ASMEND
	s_nop 0
	;;#ASMSTART
	v_dot2_f32_f16 v22, v61, v77, v22
	;;#ASMEND
	s_nop 0
	;;#ASMSTART
	v_dot2_f32_f16 v22, v62, v78, v22
	;;#ASMEND
	s_nop 0
	;;#ASMSTART
	v_dot2_f32_f16 v22, v63, v79, v22
	;;#ASMEND
	;;#ASMSTART
	v_dot2_f32_f16 v53, v64, v56, v53
	;;#ASMEND
	s_nop 0
	;;#ASMSTART
	v_dot2_f32_f16 v53, v65, v57, v53
	;;#ASMEND
	s_nop 0
	;;#ASMSTART
	v_dot2_f32_f16 v53, v66, v58, v53
	;;#ASMEND
	s_nop 0
	;;#ASMSTART
	v_dot2_f32_f16 v53, v67, v59, v53
	;;#ASMEND
	;; [unrolled: 15-line block ×7, first 2 shown]
	s_barrier
	global_load_dwordx4 v[56:59], v[0:1], off offset:128
	global_load_dwordx4 v[60:63], v[2:3], off offset:128
	s_waitcnt vmcnt(1)
	ds_write_b128 v27, v[56:59]
	s_waitcnt vmcnt(0)
	ds_write_b128 v28, v[60:63]
	s_waitcnt lgkmcnt(0)
	s_barrier
	ds_read_b128 v[56:59], v26 offset:128
	ds_read_b128 v[60:63], v29
	ds_read_b128 v[64:67], v29 offset:4608
	ds_read_b128 v[68:71], v29 offset:9216
	;; [unrolled: 1-line block ×4, first 2 shown]
	s_waitcnt lgkmcnt(4)
	;;#ASMSTART
	v_dot2_f32_f16 v52, v60, v56, v52
	;;#ASMEND
	s_nop 0
	;;#ASMSTART
	v_dot2_f32_f16 v52, v61, v57, v52
	;;#ASMEND
	s_nop 0
	;; [unrolled: 4-line block ×3, first 2 shown]
	;;#ASMSTART
	v_dot2_f32_f16 v52, v63, v59, v52
	;;#ASMEND
	s_waitcnt lgkmcnt(0)
	;;#ASMSTART
	v_dot2_f32_f16 v22, v60, v76, v22
	;;#ASMEND
	s_nop 0
	;;#ASMSTART
	v_dot2_f32_f16 v22, v61, v77, v22
	;;#ASMEND
	s_nop 0
	;;#ASMSTART
	v_dot2_f32_f16 v22, v62, v78, v22
	;;#ASMEND
	s_nop 0
	;;#ASMSTART
	v_dot2_f32_f16 v22, v63, v79, v22
	;;#ASMEND
	;;#ASMSTART
	v_dot2_f32_f16 v53, v64, v56, v53
	;;#ASMEND
	s_nop 0
	;;#ASMSTART
	v_dot2_f32_f16 v53, v65, v57, v53
	;;#ASMEND
	s_nop 0
	;;#ASMSTART
	v_dot2_f32_f16 v53, v66, v58, v53
	;;#ASMEND
	s_nop 0
	;;#ASMSTART
	v_dot2_f32_f16 v53, v67, v59, v53
	;;#ASMEND
	;;#ASMSTART
	v_dot2_f32_f16 v23, v64, v76, v23
	;;#ASMEND
	s_nop 0
	;;#ASMSTART
	v_dot2_f32_f16 v23, v65, v77, v23
	;;#ASMEND
	s_nop 0
	;;#ASMSTART
	v_dot2_f32_f16 v23, v66, v78, v23
	;;#ASMEND
	s_nop 0
	;;#ASMSTART
	v_dot2_f32_f16 v23, v67, v79, v23
	;;#ASMEND
	;;#ASMSTART
	v_dot2_f32_f16 v54, v68, v56, v54
	;;#ASMEND
	s_nop 0
	;;#ASMSTART
	v_dot2_f32_f16 v54, v69, v57, v54
	;;#ASMEND
	s_nop 0
	;;#ASMSTART
	v_dot2_f32_f16 v54, v70, v58, v54
	;;#ASMEND
	s_nop 0
	;;#ASMSTART
	v_dot2_f32_f16 v54, v71, v59, v54
	;;#ASMEND
	;;#ASMSTART
	v_dot2_f32_f16 v50, v68, v76, v50
	;;#ASMEND
	s_nop 0
	;;#ASMSTART
	v_dot2_f32_f16 v50, v69, v77, v50
	;;#ASMEND
	s_nop 0
	;;#ASMSTART
	v_dot2_f32_f16 v50, v70, v78, v50
	;;#ASMEND
	s_nop 0
	;;#ASMSTART
	v_dot2_f32_f16 v50, v71, v79, v50
	;;#ASMEND
	;;#ASMSTART
	v_dot2_f32_f16 v55, v72, v56, v55
	;;#ASMEND
	s_nop 0
	;;#ASMSTART
	v_dot2_f32_f16 v55, v73, v57, v55
	;;#ASMEND
	s_nop 0
	;;#ASMSTART
	v_dot2_f32_f16 v55, v74, v58, v55
	;;#ASMEND
	s_nop 0
	;;#ASMSTART
	v_dot2_f32_f16 v55, v75, v59, v55
	;;#ASMEND
	;;#ASMSTART
	v_dot2_f32_f16 v51, v72, v76, v51
	;;#ASMEND
	s_nop 0
	;;#ASMSTART
	v_dot2_f32_f16 v51, v73, v77, v51
	;;#ASMEND
	s_nop 0
	;;#ASMSTART
	v_dot2_f32_f16 v51, v74, v78, v51
	;;#ASMEND
	s_nop 0
	;;#ASMSTART
	v_dot2_f32_f16 v51, v75, v79, v51
	;;#ASMEND
	ds_read_b128 v[56:59], v26 offset:144
	ds_read_b128 v[60:63], v29 offset:16
	;; [unrolled: 1-line block ×6, first 2 shown]
	s_waitcnt lgkmcnt(4)
	;;#ASMSTART
	v_dot2_f32_f16 v52, v60, v56, v52
	;;#ASMEND
	s_nop 0
	;;#ASMSTART
	v_dot2_f32_f16 v52, v61, v57, v52
	;;#ASMEND
	s_nop 0
	;; [unrolled: 4-line block ×3, first 2 shown]
	;;#ASMSTART
	v_dot2_f32_f16 v52, v63, v59, v52
	;;#ASMEND
	s_waitcnt lgkmcnt(0)
	;;#ASMSTART
	v_dot2_f32_f16 v22, v60, v76, v22
	;;#ASMEND
	s_nop 0
	;;#ASMSTART
	v_dot2_f32_f16 v22, v61, v77, v22
	;;#ASMEND
	s_nop 0
	;;#ASMSTART
	v_dot2_f32_f16 v22, v62, v78, v22
	;;#ASMEND
	s_nop 0
	;;#ASMSTART
	v_dot2_f32_f16 v22, v63, v79, v22
	;;#ASMEND
	;;#ASMSTART
	v_dot2_f32_f16 v53, v64, v56, v53
	;;#ASMEND
	s_nop 0
	;;#ASMSTART
	v_dot2_f32_f16 v53, v65, v57, v53
	;;#ASMEND
	s_nop 0
	;;#ASMSTART
	v_dot2_f32_f16 v53, v66, v58, v53
	;;#ASMEND
	s_nop 0
	;;#ASMSTART
	v_dot2_f32_f16 v53, v67, v59, v53
	;;#ASMEND
	;; [unrolled: 15-line block ×7, first 2 shown]
	ds_read_b128 v[56:59], v26 offset:160
	ds_read_b128 v[60:63], v29 offset:32
	ds_read_b128 v[64:67], v29 offset:4640
	ds_read_b128 v[68:71], v29 offset:9248
	ds_read_b128 v[72:75], v29 offset:13856
	ds_read_b128 v[76:79], v26 offset:1184
	s_waitcnt lgkmcnt(4)
	;;#ASMSTART
	v_dot2_f32_f16 v52, v60, v56, v52
	;;#ASMEND
	s_nop 0
	;;#ASMSTART
	v_dot2_f32_f16 v52, v61, v57, v52
	;;#ASMEND
	s_nop 0
	;;#ASMSTART
	v_dot2_f32_f16 v52, v62, v58, v52
	;;#ASMEND
	s_nop 0
	;;#ASMSTART
	v_dot2_f32_f16 v52, v63, v59, v52
	;;#ASMEND
	s_waitcnt lgkmcnt(0)
	;;#ASMSTART
	v_dot2_f32_f16 v22, v60, v76, v22
	;;#ASMEND
	s_nop 0
	;;#ASMSTART
	v_dot2_f32_f16 v22, v61, v77, v22
	;;#ASMEND
	s_nop 0
	;;#ASMSTART
	v_dot2_f32_f16 v22, v62, v78, v22
	;;#ASMEND
	s_nop 0
	;;#ASMSTART
	v_dot2_f32_f16 v22, v63, v79, v22
	;;#ASMEND
	;;#ASMSTART
	v_dot2_f32_f16 v53, v64, v56, v53
	;;#ASMEND
	s_nop 0
	;;#ASMSTART
	v_dot2_f32_f16 v53, v65, v57, v53
	;;#ASMEND
	s_nop 0
	;;#ASMSTART
	v_dot2_f32_f16 v53, v66, v58, v53
	;;#ASMEND
	s_nop 0
	;;#ASMSTART
	v_dot2_f32_f16 v53, v67, v59, v53
	;;#ASMEND
	;; [unrolled: 15-line block ×7, first 2 shown]
	ds_read_b128 v[56:59], v26 offset:176
	ds_read_b128 v[60:63], v29 offset:48
	;; [unrolled: 1-line block ×6, first 2 shown]
	s_waitcnt lgkmcnt(4)
	;;#ASMSTART
	v_dot2_f32_f16 v52, v60, v56, v52
	;;#ASMEND
	s_nop 0
	;;#ASMSTART
	v_dot2_f32_f16 v52, v61, v57, v52
	;;#ASMEND
	s_nop 0
	;; [unrolled: 4-line block ×3, first 2 shown]
	;;#ASMSTART
	v_dot2_f32_f16 v52, v63, v59, v52
	;;#ASMEND
	s_waitcnt lgkmcnt(0)
	;;#ASMSTART
	v_dot2_f32_f16 v22, v60, v76, v22
	;;#ASMEND
	s_nop 0
	;;#ASMSTART
	v_dot2_f32_f16 v22, v61, v77, v22
	;;#ASMEND
	s_nop 0
	;;#ASMSTART
	v_dot2_f32_f16 v22, v62, v78, v22
	;;#ASMEND
	s_nop 0
	;;#ASMSTART
	v_dot2_f32_f16 v22, v63, v79, v22
	;;#ASMEND
	;;#ASMSTART
	v_dot2_f32_f16 v53, v64, v56, v53
	;;#ASMEND
	s_nop 0
	;;#ASMSTART
	v_dot2_f32_f16 v53, v65, v57, v53
	;;#ASMEND
	s_nop 0
	;;#ASMSTART
	v_dot2_f32_f16 v53, v66, v58, v53
	;;#ASMEND
	s_nop 0
	;;#ASMSTART
	v_dot2_f32_f16 v53, v67, v59, v53
	;;#ASMEND
	;; [unrolled: 15-line block ×7, first 2 shown]
	ds_read_b128 v[56:59], v26 offset:192
	ds_read_b128 v[60:63], v29 offset:64
	;; [unrolled: 1-line block ×6, first 2 shown]
	s_waitcnt lgkmcnt(4)
	;;#ASMSTART
	v_dot2_f32_f16 v52, v60, v56, v52
	;;#ASMEND
	s_nop 0
	;;#ASMSTART
	v_dot2_f32_f16 v52, v61, v57, v52
	;;#ASMEND
	s_nop 0
	;; [unrolled: 4-line block ×3, first 2 shown]
	;;#ASMSTART
	v_dot2_f32_f16 v52, v63, v59, v52
	;;#ASMEND
	s_waitcnt lgkmcnt(0)
	;;#ASMSTART
	v_dot2_f32_f16 v22, v60, v76, v22
	;;#ASMEND
	s_nop 0
	;;#ASMSTART
	v_dot2_f32_f16 v22, v61, v77, v22
	;;#ASMEND
	s_nop 0
	;;#ASMSTART
	v_dot2_f32_f16 v22, v62, v78, v22
	;;#ASMEND
	s_nop 0
	;;#ASMSTART
	v_dot2_f32_f16 v22, v63, v79, v22
	;;#ASMEND
	;;#ASMSTART
	v_dot2_f32_f16 v53, v64, v56, v53
	;;#ASMEND
	s_nop 0
	;;#ASMSTART
	v_dot2_f32_f16 v53, v65, v57, v53
	;;#ASMEND
	s_nop 0
	;;#ASMSTART
	v_dot2_f32_f16 v53, v66, v58, v53
	;;#ASMEND
	s_nop 0
	;;#ASMSTART
	v_dot2_f32_f16 v53, v67, v59, v53
	;;#ASMEND
	;; [unrolled: 15-line block ×7, first 2 shown]
	ds_read_b128 v[56:59], v26 offset:208
	ds_read_b128 v[60:63], v29 offset:80
	;; [unrolled: 1-line block ×6, first 2 shown]
	s_waitcnt lgkmcnt(4)
	;;#ASMSTART
	v_dot2_f32_f16 v52, v60, v56, v52
	;;#ASMEND
	s_nop 0
	;;#ASMSTART
	v_dot2_f32_f16 v52, v61, v57, v52
	;;#ASMEND
	s_nop 0
	;;#ASMSTART
	v_dot2_f32_f16 v52, v62, v58, v52
	;;#ASMEND
	s_nop 0
	;;#ASMSTART
	v_dot2_f32_f16 v52, v63, v59, v52
	;;#ASMEND
	s_waitcnt lgkmcnt(0)
	;;#ASMSTART
	v_dot2_f32_f16 v22, v60, v76, v22
	;;#ASMEND
	s_nop 0
	;;#ASMSTART
	v_dot2_f32_f16 v22, v61, v77, v22
	;;#ASMEND
	s_nop 0
	;;#ASMSTART
	v_dot2_f32_f16 v22, v62, v78, v22
	;;#ASMEND
	s_nop 0
	;;#ASMSTART
	v_dot2_f32_f16 v22, v63, v79, v22
	;;#ASMEND
	;;#ASMSTART
	v_dot2_f32_f16 v53, v64, v56, v53
	;;#ASMEND
	s_nop 0
	;;#ASMSTART
	v_dot2_f32_f16 v53, v65, v57, v53
	;;#ASMEND
	s_nop 0
	;;#ASMSTART
	v_dot2_f32_f16 v53, v66, v58, v53
	;;#ASMEND
	s_nop 0
	;;#ASMSTART
	v_dot2_f32_f16 v53, v67, v59, v53
	;;#ASMEND
	;; [unrolled: 15-line block ×7, first 2 shown]
	ds_read_b128 v[56:59], v26 offset:224
	ds_read_b128 v[60:63], v29 offset:96
	;; [unrolled: 1-line block ×6, first 2 shown]
	s_waitcnt lgkmcnt(4)
	;;#ASMSTART
	v_dot2_f32_f16 v52, v60, v56, v52
	;;#ASMEND
	s_nop 0
	;;#ASMSTART
	v_dot2_f32_f16 v52, v61, v57, v52
	;;#ASMEND
	s_nop 0
	;; [unrolled: 4-line block ×3, first 2 shown]
	;;#ASMSTART
	v_dot2_f32_f16 v52, v63, v59, v52
	;;#ASMEND
	s_waitcnt lgkmcnt(0)
	;;#ASMSTART
	v_dot2_f32_f16 v22, v60, v76, v22
	;;#ASMEND
	s_nop 0
	;;#ASMSTART
	v_dot2_f32_f16 v22, v61, v77, v22
	;;#ASMEND
	s_nop 0
	;;#ASMSTART
	v_dot2_f32_f16 v22, v62, v78, v22
	;;#ASMEND
	s_nop 0
	;;#ASMSTART
	v_dot2_f32_f16 v22, v63, v79, v22
	;;#ASMEND
	;;#ASMSTART
	v_dot2_f32_f16 v53, v64, v56, v53
	;;#ASMEND
	s_nop 0
	;;#ASMSTART
	v_dot2_f32_f16 v53, v65, v57, v53
	;;#ASMEND
	s_nop 0
	;;#ASMSTART
	v_dot2_f32_f16 v53, v66, v58, v53
	;;#ASMEND
	s_nop 0
	;;#ASMSTART
	v_dot2_f32_f16 v53, v67, v59, v53
	;;#ASMEND
	;; [unrolled: 15-line block ×7, first 2 shown]
	ds_read_b128 v[56:59], v26 offset:240
	ds_read_b128 v[60:63], v29 offset:112
	;; [unrolled: 1-line block ×6, first 2 shown]
	s_waitcnt lgkmcnt(4)
	;;#ASMSTART
	v_dot2_f32_f16 v52, v60, v56, v52
	;;#ASMEND
	s_nop 0
	;;#ASMSTART
	v_dot2_f32_f16 v52, v61, v57, v52
	;;#ASMEND
	s_nop 0
	;; [unrolled: 4-line block ×3, first 2 shown]
	;;#ASMSTART
	v_dot2_f32_f16 v52, v63, v59, v52
	;;#ASMEND
	s_waitcnt lgkmcnt(0)
	;;#ASMSTART
	v_dot2_f32_f16 v22, v60, v76, v22
	;;#ASMEND
	s_nop 0
	;;#ASMSTART
	v_dot2_f32_f16 v22, v61, v77, v22
	;;#ASMEND
	s_nop 0
	;;#ASMSTART
	v_dot2_f32_f16 v22, v62, v78, v22
	;;#ASMEND
	s_nop 0
	;;#ASMSTART
	v_dot2_f32_f16 v22, v63, v79, v22
	;;#ASMEND
	;;#ASMSTART
	v_dot2_f32_f16 v53, v64, v56, v53
	;;#ASMEND
	s_nop 0
	;;#ASMSTART
	v_dot2_f32_f16 v53, v65, v57, v53
	;;#ASMEND
	s_nop 0
	;;#ASMSTART
	v_dot2_f32_f16 v53, v66, v58, v53
	;;#ASMEND
	s_nop 0
	;;#ASMSTART
	v_dot2_f32_f16 v53, v67, v59, v53
	;;#ASMEND
	;; [unrolled: 15-line block ×7, first 2 shown]
	s_barrier
	global_load_dwordx4 v[56:59], v[0:1], off offset:256
	global_load_dwordx4 v[60:63], v[2:3], off offset:256
	s_waitcnt vmcnt(1)
	ds_write_b128 v27, v[56:59]
	s_waitcnt vmcnt(0)
	ds_write_b128 v28, v[60:63]
	s_waitcnt lgkmcnt(0)
	s_barrier
	ds_read_b128 v[56:59], v26 offset:256
	ds_read_b128 v[60:63], v29
	ds_read_b128 v[64:67], v29 offset:4608
	ds_read_b128 v[68:71], v29 offset:9216
	;; [unrolled: 1-line block ×4, first 2 shown]
	s_waitcnt lgkmcnt(4)
	;;#ASMSTART
	v_dot2_f32_f16 v52, v60, v56, v52
	;;#ASMEND
	s_nop 0
	;;#ASMSTART
	v_dot2_f32_f16 v52, v61, v57, v52
	;;#ASMEND
	s_nop 0
	;; [unrolled: 4-line block ×3, first 2 shown]
	;;#ASMSTART
	v_dot2_f32_f16 v52, v63, v59, v52
	;;#ASMEND
	s_waitcnt lgkmcnt(0)
	;;#ASMSTART
	v_dot2_f32_f16 v22, v60, v76, v22
	;;#ASMEND
	s_nop 0
	;;#ASMSTART
	v_dot2_f32_f16 v22, v61, v77, v22
	;;#ASMEND
	s_nop 0
	;;#ASMSTART
	v_dot2_f32_f16 v22, v62, v78, v22
	;;#ASMEND
	s_nop 0
	;;#ASMSTART
	v_dot2_f32_f16 v22, v63, v79, v22
	;;#ASMEND
	;;#ASMSTART
	v_dot2_f32_f16 v53, v64, v56, v53
	;;#ASMEND
	s_nop 0
	;;#ASMSTART
	v_dot2_f32_f16 v53, v65, v57, v53
	;;#ASMEND
	s_nop 0
	;;#ASMSTART
	v_dot2_f32_f16 v53, v66, v58, v53
	;;#ASMEND
	s_nop 0
	;;#ASMSTART
	v_dot2_f32_f16 v53, v67, v59, v53
	;;#ASMEND
	;; [unrolled: 15-line block ×7, first 2 shown]
	ds_read_b128 v[56:59], v26 offset:272
	ds_read_b128 v[60:63], v29 offset:16
	;; [unrolled: 1-line block ×6, first 2 shown]
	s_waitcnt lgkmcnt(4)
	;;#ASMSTART
	v_dot2_f32_f16 v52, v60, v56, v52
	;;#ASMEND
	s_nop 0
	;;#ASMSTART
	v_dot2_f32_f16 v52, v61, v57, v52
	;;#ASMEND
	s_nop 0
	;; [unrolled: 4-line block ×3, first 2 shown]
	;;#ASMSTART
	v_dot2_f32_f16 v52, v63, v59, v52
	;;#ASMEND
	s_waitcnt lgkmcnt(0)
	;;#ASMSTART
	v_dot2_f32_f16 v22, v60, v76, v22
	;;#ASMEND
	s_nop 0
	;;#ASMSTART
	v_dot2_f32_f16 v22, v61, v77, v22
	;;#ASMEND
	s_nop 0
	;;#ASMSTART
	v_dot2_f32_f16 v22, v62, v78, v22
	;;#ASMEND
	s_nop 0
	;;#ASMSTART
	v_dot2_f32_f16 v22, v63, v79, v22
	;;#ASMEND
	;;#ASMSTART
	v_dot2_f32_f16 v53, v64, v56, v53
	;;#ASMEND
	s_nop 0
	;;#ASMSTART
	v_dot2_f32_f16 v53, v65, v57, v53
	;;#ASMEND
	s_nop 0
	;;#ASMSTART
	v_dot2_f32_f16 v53, v66, v58, v53
	;;#ASMEND
	s_nop 0
	;;#ASMSTART
	v_dot2_f32_f16 v53, v67, v59, v53
	;;#ASMEND
	;; [unrolled: 15-line block ×7, first 2 shown]
	ds_read_b128 v[56:59], v26 offset:288
	ds_read_b128 v[60:63], v29 offset:32
	;; [unrolled: 1-line block ×6, first 2 shown]
	s_waitcnt lgkmcnt(4)
	;;#ASMSTART
	v_dot2_f32_f16 v52, v60, v56, v52
	;;#ASMEND
	s_nop 0
	;;#ASMSTART
	v_dot2_f32_f16 v52, v61, v57, v52
	;;#ASMEND
	s_nop 0
	;; [unrolled: 4-line block ×3, first 2 shown]
	;;#ASMSTART
	v_dot2_f32_f16 v52, v63, v59, v52
	;;#ASMEND
	s_waitcnt lgkmcnt(0)
	;;#ASMSTART
	v_dot2_f32_f16 v22, v60, v76, v22
	;;#ASMEND
	s_nop 0
	;;#ASMSTART
	v_dot2_f32_f16 v22, v61, v77, v22
	;;#ASMEND
	s_nop 0
	;;#ASMSTART
	v_dot2_f32_f16 v22, v62, v78, v22
	;;#ASMEND
	s_nop 0
	;;#ASMSTART
	v_dot2_f32_f16 v22, v63, v79, v22
	;;#ASMEND
	;;#ASMSTART
	v_dot2_f32_f16 v53, v64, v56, v53
	;;#ASMEND
	s_nop 0
	;;#ASMSTART
	v_dot2_f32_f16 v53, v65, v57, v53
	;;#ASMEND
	s_nop 0
	;;#ASMSTART
	v_dot2_f32_f16 v53, v66, v58, v53
	;;#ASMEND
	s_nop 0
	;;#ASMSTART
	v_dot2_f32_f16 v53, v67, v59, v53
	;;#ASMEND
	;; [unrolled: 15-line block ×7, first 2 shown]
	ds_read_b128 v[56:59], v26 offset:304
	ds_read_b128 v[60:63], v29 offset:48
	;; [unrolled: 1-line block ×6, first 2 shown]
	s_waitcnt lgkmcnt(4)
	;;#ASMSTART
	v_dot2_f32_f16 v52, v60, v56, v52
	;;#ASMEND
	s_nop 0
	;;#ASMSTART
	v_dot2_f32_f16 v52, v61, v57, v52
	;;#ASMEND
	s_nop 0
	;; [unrolled: 4-line block ×3, first 2 shown]
	;;#ASMSTART
	v_dot2_f32_f16 v52, v63, v59, v52
	;;#ASMEND
	s_waitcnt lgkmcnt(0)
	;;#ASMSTART
	v_dot2_f32_f16 v22, v60, v76, v22
	;;#ASMEND
	s_nop 0
	;;#ASMSTART
	v_dot2_f32_f16 v22, v61, v77, v22
	;;#ASMEND
	s_nop 0
	;;#ASMSTART
	v_dot2_f32_f16 v22, v62, v78, v22
	;;#ASMEND
	s_nop 0
	;;#ASMSTART
	v_dot2_f32_f16 v22, v63, v79, v22
	;;#ASMEND
	;;#ASMSTART
	v_dot2_f32_f16 v53, v64, v56, v53
	;;#ASMEND
	s_nop 0
	;;#ASMSTART
	v_dot2_f32_f16 v53, v65, v57, v53
	;;#ASMEND
	s_nop 0
	;;#ASMSTART
	v_dot2_f32_f16 v53, v66, v58, v53
	;;#ASMEND
	s_nop 0
	;;#ASMSTART
	v_dot2_f32_f16 v53, v67, v59, v53
	;;#ASMEND
	;; [unrolled: 15-line block ×7, first 2 shown]
	ds_read_b128 v[56:59], v26 offset:320
	ds_read_b128 v[60:63], v29 offset:64
	;; [unrolled: 1-line block ×6, first 2 shown]
	s_waitcnt lgkmcnt(4)
	;;#ASMSTART
	v_dot2_f32_f16 v52, v60, v56, v52
	;;#ASMEND
	s_nop 0
	;;#ASMSTART
	v_dot2_f32_f16 v52, v61, v57, v52
	;;#ASMEND
	s_nop 0
	;; [unrolled: 4-line block ×3, first 2 shown]
	;;#ASMSTART
	v_dot2_f32_f16 v52, v63, v59, v52
	;;#ASMEND
	s_waitcnt lgkmcnt(0)
	;;#ASMSTART
	v_dot2_f32_f16 v22, v60, v76, v22
	;;#ASMEND
	s_nop 0
	;;#ASMSTART
	v_dot2_f32_f16 v22, v61, v77, v22
	;;#ASMEND
	s_nop 0
	;;#ASMSTART
	v_dot2_f32_f16 v22, v62, v78, v22
	;;#ASMEND
	s_nop 0
	;;#ASMSTART
	v_dot2_f32_f16 v22, v63, v79, v22
	;;#ASMEND
	;;#ASMSTART
	v_dot2_f32_f16 v53, v64, v56, v53
	;;#ASMEND
	s_nop 0
	;;#ASMSTART
	v_dot2_f32_f16 v53, v65, v57, v53
	;;#ASMEND
	s_nop 0
	;;#ASMSTART
	v_dot2_f32_f16 v53, v66, v58, v53
	;;#ASMEND
	s_nop 0
	;;#ASMSTART
	v_dot2_f32_f16 v53, v67, v59, v53
	;;#ASMEND
	;; [unrolled: 15-line block ×7, first 2 shown]
	ds_read_b128 v[56:59], v26 offset:336
	ds_read_b128 v[60:63], v29 offset:80
	;; [unrolled: 1-line block ×6, first 2 shown]
	s_waitcnt lgkmcnt(4)
	;;#ASMSTART
	v_dot2_f32_f16 v52, v60, v56, v52
	;;#ASMEND
	s_nop 0
	;;#ASMSTART
	v_dot2_f32_f16 v52, v61, v57, v52
	;;#ASMEND
	s_nop 0
	;; [unrolled: 4-line block ×3, first 2 shown]
	;;#ASMSTART
	v_dot2_f32_f16 v52, v63, v59, v52
	;;#ASMEND
	s_waitcnt lgkmcnt(0)
	;;#ASMSTART
	v_dot2_f32_f16 v22, v60, v76, v22
	;;#ASMEND
	s_nop 0
	;;#ASMSTART
	v_dot2_f32_f16 v22, v61, v77, v22
	;;#ASMEND
	s_nop 0
	;;#ASMSTART
	v_dot2_f32_f16 v22, v62, v78, v22
	;;#ASMEND
	s_nop 0
	;;#ASMSTART
	v_dot2_f32_f16 v22, v63, v79, v22
	;;#ASMEND
	;;#ASMSTART
	v_dot2_f32_f16 v53, v64, v56, v53
	;;#ASMEND
	s_nop 0
	;;#ASMSTART
	v_dot2_f32_f16 v53, v65, v57, v53
	;;#ASMEND
	s_nop 0
	;;#ASMSTART
	v_dot2_f32_f16 v53, v66, v58, v53
	;;#ASMEND
	s_nop 0
	;;#ASMSTART
	v_dot2_f32_f16 v53, v67, v59, v53
	;;#ASMEND
	;; [unrolled: 15-line block ×7, first 2 shown]
	ds_read_b128 v[56:59], v26 offset:352
	ds_read_b128 v[60:63], v29 offset:96
	;; [unrolled: 1-line block ×6, first 2 shown]
	s_waitcnt lgkmcnt(4)
	;;#ASMSTART
	v_dot2_f32_f16 v52, v60, v56, v52
	;;#ASMEND
	s_nop 0
	;;#ASMSTART
	v_dot2_f32_f16 v52, v61, v57, v52
	;;#ASMEND
	s_nop 0
	;; [unrolled: 4-line block ×3, first 2 shown]
	;;#ASMSTART
	v_dot2_f32_f16 v52, v63, v59, v52
	;;#ASMEND
	s_waitcnt lgkmcnt(0)
	;;#ASMSTART
	v_dot2_f32_f16 v22, v60, v76, v22
	;;#ASMEND
	s_nop 0
	;;#ASMSTART
	v_dot2_f32_f16 v22, v61, v77, v22
	;;#ASMEND
	s_nop 0
	;;#ASMSTART
	v_dot2_f32_f16 v22, v62, v78, v22
	;;#ASMEND
	s_nop 0
	;;#ASMSTART
	v_dot2_f32_f16 v22, v63, v79, v22
	;;#ASMEND
	;;#ASMSTART
	v_dot2_f32_f16 v53, v64, v56, v53
	;;#ASMEND
	s_nop 0
	;;#ASMSTART
	v_dot2_f32_f16 v53, v65, v57, v53
	;;#ASMEND
	s_nop 0
	;;#ASMSTART
	v_dot2_f32_f16 v53, v66, v58, v53
	;;#ASMEND
	s_nop 0
	;;#ASMSTART
	v_dot2_f32_f16 v53, v67, v59, v53
	;;#ASMEND
	;; [unrolled: 15-line block ×7, first 2 shown]
	ds_read_b128 v[56:59], v26 offset:368
	ds_read_b128 v[60:63], v29 offset:112
	;; [unrolled: 1-line block ×6, first 2 shown]
	s_waitcnt lgkmcnt(4)
	;;#ASMSTART
	v_dot2_f32_f16 v52, v60, v56, v52
	;;#ASMEND
	s_nop 0
	;;#ASMSTART
	v_dot2_f32_f16 v52, v61, v57, v52
	;;#ASMEND
	s_nop 0
	;; [unrolled: 4-line block ×3, first 2 shown]
	;;#ASMSTART
	v_dot2_f32_f16 v52, v63, v59, v52
	;;#ASMEND
	s_waitcnt lgkmcnt(0)
	;;#ASMSTART
	v_dot2_f32_f16 v22, v60, v76, v22
	;;#ASMEND
	s_nop 0
	;;#ASMSTART
	v_dot2_f32_f16 v22, v61, v77, v22
	;;#ASMEND
	s_nop 0
	;;#ASMSTART
	v_dot2_f32_f16 v22, v62, v78, v22
	;;#ASMEND
	s_nop 0
	;;#ASMSTART
	v_dot2_f32_f16 v22, v63, v79, v22
	;;#ASMEND
	;;#ASMSTART
	v_dot2_f32_f16 v53, v64, v56, v53
	;;#ASMEND
	s_nop 0
	;;#ASMSTART
	v_dot2_f32_f16 v53, v65, v57, v53
	;;#ASMEND
	s_nop 0
	;;#ASMSTART
	v_dot2_f32_f16 v53, v66, v58, v53
	;;#ASMEND
	s_nop 0
	;;#ASMSTART
	v_dot2_f32_f16 v53, v67, v59, v53
	;;#ASMEND
	;; [unrolled: 15-line block ×7, first 2 shown]
	s_barrier
	global_load_dwordx4 v[56:59], v[0:1], off offset:384
	global_load_dwordx4 v[60:63], v[2:3], off offset:384
	s_waitcnt vmcnt(1)
	ds_write_b128 v27, v[56:59]
	s_waitcnt vmcnt(0)
	ds_write_b128 v28, v[60:63]
	s_waitcnt lgkmcnt(0)
	s_barrier
	ds_read_b128 v[56:59], v26 offset:384
	ds_read_b128 v[60:63], v29
	ds_read_b128 v[64:67], v29 offset:4608
	ds_read_b128 v[68:71], v29 offset:9216
	;; [unrolled: 1-line block ×4, first 2 shown]
	s_waitcnt lgkmcnt(4)
	;;#ASMSTART
	v_dot2_f32_f16 v52, v60, v56, v52
	;;#ASMEND
	s_nop 0
	;;#ASMSTART
	v_dot2_f32_f16 v52, v61, v57, v52
	;;#ASMEND
	s_nop 0
	;; [unrolled: 4-line block ×3, first 2 shown]
	;;#ASMSTART
	v_dot2_f32_f16 v52, v63, v59, v52
	;;#ASMEND
	s_waitcnt lgkmcnt(0)
	;;#ASMSTART
	v_dot2_f32_f16 v22, v60, v76, v22
	;;#ASMEND
	s_nop 0
	;;#ASMSTART
	v_dot2_f32_f16 v22, v61, v77, v22
	;;#ASMEND
	s_nop 0
	;;#ASMSTART
	v_dot2_f32_f16 v22, v62, v78, v22
	;;#ASMEND
	s_nop 0
	;;#ASMSTART
	v_dot2_f32_f16 v22, v63, v79, v22
	;;#ASMEND
	;;#ASMSTART
	v_dot2_f32_f16 v53, v64, v56, v53
	;;#ASMEND
	s_nop 0
	;;#ASMSTART
	v_dot2_f32_f16 v53, v65, v57, v53
	;;#ASMEND
	s_nop 0
	;;#ASMSTART
	v_dot2_f32_f16 v53, v66, v58, v53
	;;#ASMEND
	s_nop 0
	;;#ASMSTART
	v_dot2_f32_f16 v53, v67, v59, v53
	;;#ASMEND
	;;#ASMSTART
	v_dot2_f32_f16 v23, v64, v76, v23
	;;#ASMEND
	s_nop 0
	;;#ASMSTART
	v_dot2_f32_f16 v23, v65, v77, v23
	;;#ASMEND
	s_nop 0
	;;#ASMSTART
	v_dot2_f32_f16 v23, v66, v78, v23
	;;#ASMEND
	s_nop 0
	;;#ASMSTART
	v_dot2_f32_f16 v23, v67, v79, v23
	;;#ASMEND
	;;#ASMSTART
	v_dot2_f32_f16 v54, v68, v56, v54
	;;#ASMEND
	s_nop 0
	;;#ASMSTART
	v_dot2_f32_f16 v54, v69, v57, v54
	;;#ASMEND
	s_nop 0
	;;#ASMSTART
	v_dot2_f32_f16 v54, v70, v58, v54
	;;#ASMEND
	s_nop 0
	;;#ASMSTART
	v_dot2_f32_f16 v54, v71, v59, v54
	;;#ASMEND
	;;#ASMSTART
	v_dot2_f32_f16 v50, v68, v76, v50
	;;#ASMEND
	s_nop 0
	;;#ASMSTART
	v_dot2_f32_f16 v50, v69, v77, v50
	;;#ASMEND
	s_nop 0
	;;#ASMSTART
	v_dot2_f32_f16 v50, v70, v78, v50
	;;#ASMEND
	s_nop 0
	;;#ASMSTART
	v_dot2_f32_f16 v50, v71, v79, v50
	;;#ASMEND
	;;#ASMSTART
	v_dot2_f32_f16 v55, v72, v56, v55
	;;#ASMEND
	s_nop 0
	;;#ASMSTART
	v_dot2_f32_f16 v55, v73, v57, v55
	;;#ASMEND
	s_nop 0
	;;#ASMSTART
	v_dot2_f32_f16 v55, v74, v58, v55
	;;#ASMEND
	s_nop 0
	;;#ASMSTART
	v_dot2_f32_f16 v55, v75, v59, v55
	;;#ASMEND
	;;#ASMSTART
	v_dot2_f32_f16 v51, v72, v76, v51
	;;#ASMEND
	s_nop 0
	;;#ASMSTART
	v_dot2_f32_f16 v51, v73, v77, v51
	;;#ASMEND
	s_nop 0
	;;#ASMSTART
	v_dot2_f32_f16 v51, v74, v78, v51
	;;#ASMEND
	s_nop 0
	;;#ASMSTART
	v_dot2_f32_f16 v51, v75, v79, v51
	;;#ASMEND
	ds_read_b128 v[56:59], v26 offset:400
	ds_read_b128 v[60:63], v29 offset:16
	;; [unrolled: 1-line block ×6, first 2 shown]
	s_waitcnt lgkmcnt(4)
	;;#ASMSTART
	v_dot2_f32_f16 v52, v60, v56, v52
	;;#ASMEND
	s_nop 0
	;;#ASMSTART
	v_dot2_f32_f16 v52, v61, v57, v52
	;;#ASMEND
	s_nop 0
	;; [unrolled: 4-line block ×3, first 2 shown]
	;;#ASMSTART
	v_dot2_f32_f16 v52, v63, v59, v52
	;;#ASMEND
	s_waitcnt lgkmcnt(0)
	;;#ASMSTART
	v_dot2_f32_f16 v22, v60, v76, v22
	;;#ASMEND
	s_nop 0
	;;#ASMSTART
	v_dot2_f32_f16 v22, v61, v77, v22
	;;#ASMEND
	s_nop 0
	;;#ASMSTART
	v_dot2_f32_f16 v22, v62, v78, v22
	;;#ASMEND
	s_nop 0
	;;#ASMSTART
	v_dot2_f32_f16 v22, v63, v79, v22
	;;#ASMEND
	;;#ASMSTART
	v_dot2_f32_f16 v53, v64, v56, v53
	;;#ASMEND
	s_nop 0
	;;#ASMSTART
	v_dot2_f32_f16 v53, v65, v57, v53
	;;#ASMEND
	s_nop 0
	;;#ASMSTART
	v_dot2_f32_f16 v53, v66, v58, v53
	;;#ASMEND
	s_nop 0
	;;#ASMSTART
	v_dot2_f32_f16 v53, v67, v59, v53
	;;#ASMEND
	;; [unrolled: 15-line block ×7, first 2 shown]
	ds_read_b128 v[56:59], v26 offset:416
	ds_read_b128 v[60:63], v29 offset:32
	;; [unrolled: 1-line block ×6, first 2 shown]
	s_waitcnt lgkmcnt(4)
	;;#ASMSTART
	v_dot2_f32_f16 v52, v60, v56, v52
	;;#ASMEND
	s_nop 0
	;;#ASMSTART
	v_dot2_f32_f16 v52, v61, v57, v52
	;;#ASMEND
	s_nop 0
	;; [unrolled: 4-line block ×3, first 2 shown]
	;;#ASMSTART
	v_dot2_f32_f16 v52, v63, v59, v52
	;;#ASMEND
	s_waitcnt lgkmcnt(0)
	;;#ASMSTART
	v_dot2_f32_f16 v22, v60, v76, v22
	;;#ASMEND
	s_nop 0
	;;#ASMSTART
	v_dot2_f32_f16 v22, v61, v77, v22
	;;#ASMEND
	s_nop 0
	;;#ASMSTART
	v_dot2_f32_f16 v22, v62, v78, v22
	;;#ASMEND
	s_nop 0
	;;#ASMSTART
	v_dot2_f32_f16 v22, v63, v79, v22
	;;#ASMEND
	;;#ASMSTART
	v_dot2_f32_f16 v53, v64, v56, v53
	;;#ASMEND
	s_nop 0
	;;#ASMSTART
	v_dot2_f32_f16 v53, v65, v57, v53
	;;#ASMEND
	s_nop 0
	;;#ASMSTART
	v_dot2_f32_f16 v53, v66, v58, v53
	;;#ASMEND
	s_nop 0
	;;#ASMSTART
	v_dot2_f32_f16 v53, v67, v59, v53
	;;#ASMEND
	;; [unrolled: 15-line block ×7, first 2 shown]
	ds_read_b128 v[56:59], v26 offset:432
	ds_read_b128 v[60:63], v29 offset:48
	;; [unrolled: 1-line block ×6, first 2 shown]
	s_waitcnt lgkmcnt(4)
	;;#ASMSTART
	v_dot2_f32_f16 v52, v60, v56, v52
	;;#ASMEND
	s_nop 0
	;;#ASMSTART
	v_dot2_f32_f16 v52, v61, v57, v52
	;;#ASMEND
	s_nop 0
	;; [unrolled: 4-line block ×3, first 2 shown]
	;;#ASMSTART
	v_dot2_f32_f16 v52, v63, v59, v52
	;;#ASMEND
	s_waitcnt lgkmcnt(0)
	;;#ASMSTART
	v_dot2_f32_f16 v22, v60, v76, v22
	;;#ASMEND
	s_nop 0
	;;#ASMSTART
	v_dot2_f32_f16 v22, v61, v77, v22
	;;#ASMEND
	s_nop 0
	;;#ASMSTART
	v_dot2_f32_f16 v22, v62, v78, v22
	;;#ASMEND
	s_nop 0
	;;#ASMSTART
	v_dot2_f32_f16 v22, v63, v79, v22
	;;#ASMEND
	;;#ASMSTART
	v_dot2_f32_f16 v53, v64, v56, v53
	;;#ASMEND
	s_nop 0
	;;#ASMSTART
	v_dot2_f32_f16 v53, v65, v57, v53
	;;#ASMEND
	s_nop 0
	;;#ASMSTART
	v_dot2_f32_f16 v53, v66, v58, v53
	;;#ASMEND
	s_nop 0
	;;#ASMSTART
	v_dot2_f32_f16 v53, v67, v59, v53
	;;#ASMEND
	;; [unrolled: 15-line block ×7, first 2 shown]
	ds_read_b128 v[56:59], v26 offset:448
	ds_read_b128 v[60:63], v29 offset:64
	;; [unrolled: 1-line block ×6, first 2 shown]
	s_waitcnt lgkmcnt(4)
	;;#ASMSTART
	v_dot2_f32_f16 v52, v60, v56, v52
	;;#ASMEND
	s_nop 0
	;;#ASMSTART
	v_dot2_f32_f16 v52, v61, v57, v52
	;;#ASMEND
	s_nop 0
	;; [unrolled: 4-line block ×3, first 2 shown]
	;;#ASMSTART
	v_dot2_f32_f16 v52, v63, v59, v52
	;;#ASMEND
	s_waitcnt lgkmcnt(0)
	;;#ASMSTART
	v_dot2_f32_f16 v22, v60, v76, v22
	;;#ASMEND
	s_nop 0
	;;#ASMSTART
	v_dot2_f32_f16 v22, v61, v77, v22
	;;#ASMEND
	s_nop 0
	;;#ASMSTART
	v_dot2_f32_f16 v22, v62, v78, v22
	;;#ASMEND
	s_nop 0
	;;#ASMSTART
	v_dot2_f32_f16 v22, v63, v79, v22
	;;#ASMEND
	;;#ASMSTART
	v_dot2_f32_f16 v53, v64, v56, v53
	;;#ASMEND
	s_nop 0
	;;#ASMSTART
	v_dot2_f32_f16 v53, v65, v57, v53
	;;#ASMEND
	s_nop 0
	;;#ASMSTART
	v_dot2_f32_f16 v53, v66, v58, v53
	;;#ASMEND
	s_nop 0
	;;#ASMSTART
	v_dot2_f32_f16 v53, v67, v59, v53
	;;#ASMEND
	;; [unrolled: 15-line block ×7, first 2 shown]
	ds_read_b128 v[56:59], v26 offset:464
	ds_read_b128 v[60:63], v29 offset:80
	;; [unrolled: 1-line block ×6, first 2 shown]
	s_waitcnt lgkmcnt(4)
	;;#ASMSTART
	v_dot2_f32_f16 v52, v60, v56, v52
	;;#ASMEND
	s_nop 0
	;;#ASMSTART
	v_dot2_f32_f16 v52, v61, v57, v52
	;;#ASMEND
	s_nop 0
	;; [unrolled: 4-line block ×3, first 2 shown]
	;;#ASMSTART
	v_dot2_f32_f16 v52, v63, v59, v52
	;;#ASMEND
	s_waitcnt lgkmcnt(0)
	;;#ASMSTART
	v_dot2_f32_f16 v22, v60, v76, v22
	;;#ASMEND
	s_nop 0
	;;#ASMSTART
	v_dot2_f32_f16 v22, v61, v77, v22
	;;#ASMEND
	s_nop 0
	;;#ASMSTART
	v_dot2_f32_f16 v22, v62, v78, v22
	;;#ASMEND
	s_nop 0
	;;#ASMSTART
	v_dot2_f32_f16 v22, v63, v79, v22
	;;#ASMEND
	;;#ASMSTART
	v_dot2_f32_f16 v53, v64, v56, v53
	;;#ASMEND
	s_nop 0
	;;#ASMSTART
	v_dot2_f32_f16 v53, v65, v57, v53
	;;#ASMEND
	s_nop 0
	;;#ASMSTART
	v_dot2_f32_f16 v53, v66, v58, v53
	;;#ASMEND
	s_nop 0
	;;#ASMSTART
	v_dot2_f32_f16 v53, v67, v59, v53
	;;#ASMEND
	;; [unrolled: 15-line block ×7, first 2 shown]
	ds_read_b128 v[56:59], v26 offset:480
	ds_read_b128 v[60:63], v29 offset:96
	;; [unrolled: 1-line block ×6, first 2 shown]
	s_waitcnt lgkmcnt(4)
	;;#ASMSTART
	v_dot2_f32_f16 v52, v60, v56, v52
	;;#ASMEND
	s_nop 0
	;;#ASMSTART
	v_dot2_f32_f16 v52, v61, v57, v52
	;;#ASMEND
	s_nop 0
	;; [unrolled: 4-line block ×3, first 2 shown]
	;;#ASMSTART
	v_dot2_f32_f16 v52, v63, v59, v52
	;;#ASMEND
	s_waitcnt lgkmcnt(0)
	;;#ASMSTART
	v_dot2_f32_f16 v22, v60, v76, v22
	;;#ASMEND
	s_nop 0
	;;#ASMSTART
	v_dot2_f32_f16 v22, v61, v77, v22
	;;#ASMEND
	s_nop 0
	;;#ASMSTART
	v_dot2_f32_f16 v22, v62, v78, v22
	;;#ASMEND
	s_nop 0
	;;#ASMSTART
	v_dot2_f32_f16 v22, v63, v79, v22
	;;#ASMEND
	;;#ASMSTART
	v_dot2_f32_f16 v53, v64, v56, v53
	;;#ASMEND
	s_nop 0
	;;#ASMSTART
	v_dot2_f32_f16 v53, v65, v57, v53
	;;#ASMEND
	s_nop 0
	;;#ASMSTART
	v_dot2_f32_f16 v53, v66, v58, v53
	;;#ASMEND
	s_nop 0
	;;#ASMSTART
	v_dot2_f32_f16 v53, v67, v59, v53
	;;#ASMEND
	;; [unrolled: 15-line block ×7, first 2 shown]
	ds_read_b128 v[56:59], v26 offset:496
	ds_read_b128 v[60:63], v29 offset:112
	;; [unrolled: 1-line block ×6, first 2 shown]
	s_waitcnt lgkmcnt(4)
	;;#ASMSTART
	v_dot2_f32_f16 v52, v60, v56, v52
	;;#ASMEND
	s_nop 0
	;;#ASMSTART
	v_dot2_f32_f16 v52, v61, v57, v52
	;;#ASMEND
	s_nop 0
	;; [unrolled: 4-line block ×3, first 2 shown]
	;;#ASMSTART
	v_dot2_f32_f16 v52, v63, v59, v52
	;;#ASMEND
	s_waitcnt lgkmcnt(0)
	;;#ASMSTART
	v_dot2_f32_f16 v22, v60, v76, v22
	;;#ASMEND
	s_nop 0
	;;#ASMSTART
	v_dot2_f32_f16 v22, v61, v77, v22
	;;#ASMEND
	s_nop 0
	;;#ASMSTART
	v_dot2_f32_f16 v22, v62, v78, v22
	;;#ASMEND
	s_nop 0
	;;#ASMSTART
	v_dot2_f32_f16 v22, v63, v79, v22
	;;#ASMEND
	;;#ASMSTART
	v_dot2_f32_f16 v53, v64, v56, v53
	;;#ASMEND
	s_nop 0
	;;#ASMSTART
	v_dot2_f32_f16 v53, v65, v57, v53
	;;#ASMEND
	s_nop 0
	;;#ASMSTART
	v_dot2_f32_f16 v53, v66, v58, v53
	;;#ASMEND
	s_nop 0
	;;#ASMSTART
	v_dot2_f32_f16 v53, v67, v59, v53
	;;#ASMEND
	;; [unrolled: 15-line block ×7, first 2 shown]
	s_barrier
	global_load_dwordx4 v[56:59], v[0:1], off offset:512
	global_load_dwordx4 v[60:63], v[2:3], off offset:512
	s_waitcnt vmcnt(1)
	ds_write_b128 v27, v[56:59]
	s_waitcnt vmcnt(0)
	ds_write_b128 v28, v[60:63]
	s_waitcnt lgkmcnt(0)
	s_barrier
	ds_read_b128 v[56:59], v26 offset:512
	ds_read_b128 v[60:63], v29
	ds_read_b128 v[64:67], v29 offset:4608
	ds_read_b128 v[68:71], v29 offset:9216
	;; [unrolled: 1-line block ×4, first 2 shown]
	s_waitcnt lgkmcnt(4)
	;;#ASMSTART
	v_dot2_f32_f16 v52, v60, v56, v52
	;;#ASMEND
	s_nop 0
	;;#ASMSTART
	v_dot2_f32_f16 v52, v61, v57, v52
	;;#ASMEND
	s_nop 0
	;; [unrolled: 4-line block ×3, first 2 shown]
	;;#ASMSTART
	v_dot2_f32_f16 v52, v63, v59, v52
	;;#ASMEND
	s_waitcnt lgkmcnt(0)
	;;#ASMSTART
	v_dot2_f32_f16 v22, v60, v76, v22
	;;#ASMEND
	s_nop 0
	;;#ASMSTART
	v_dot2_f32_f16 v22, v61, v77, v22
	;;#ASMEND
	s_nop 0
	;;#ASMSTART
	v_dot2_f32_f16 v22, v62, v78, v22
	;;#ASMEND
	s_nop 0
	;;#ASMSTART
	v_dot2_f32_f16 v22, v63, v79, v22
	;;#ASMEND
	;;#ASMSTART
	v_dot2_f32_f16 v53, v64, v56, v53
	;;#ASMEND
	s_nop 0
	;;#ASMSTART
	v_dot2_f32_f16 v53, v65, v57, v53
	;;#ASMEND
	s_nop 0
	;;#ASMSTART
	v_dot2_f32_f16 v53, v66, v58, v53
	;;#ASMEND
	s_nop 0
	;;#ASMSTART
	v_dot2_f32_f16 v53, v67, v59, v53
	;;#ASMEND
	;; [unrolled: 15-line block ×7, first 2 shown]
	ds_read_b128 v[56:59], v26 offset:528
	ds_read_b128 v[60:63], v29 offset:16
	ds_read_b128 v[64:67], v29 offset:4624
	ds_read_b128 v[68:71], v29 offset:9232
	ds_read_b128 v[72:75], v29 offset:13840
	ds_read_b128 v[76:79], v26 offset:1552
	s_waitcnt lgkmcnt(4)
	;;#ASMSTART
	v_dot2_f32_f16 v52, v60, v56, v52
	;;#ASMEND
	s_nop 0
	;;#ASMSTART
	v_dot2_f32_f16 v52, v61, v57, v52
	;;#ASMEND
	s_nop 0
	;; [unrolled: 4-line block ×3, first 2 shown]
	;;#ASMSTART
	v_dot2_f32_f16 v52, v63, v59, v52
	;;#ASMEND
	s_waitcnt lgkmcnt(0)
	;;#ASMSTART
	v_dot2_f32_f16 v22, v60, v76, v22
	;;#ASMEND
	s_nop 0
	;;#ASMSTART
	v_dot2_f32_f16 v22, v61, v77, v22
	;;#ASMEND
	s_nop 0
	;;#ASMSTART
	v_dot2_f32_f16 v22, v62, v78, v22
	;;#ASMEND
	s_nop 0
	;;#ASMSTART
	v_dot2_f32_f16 v22, v63, v79, v22
	;;#ASMEND
	;;#ASMSTART
	v_dot2_f32_f16 v53, v64, v56, v53
	;;#ASMEND
	s_nop 0
	;;#ASMSTART
	v_dot2_f32_f16 v53, v65, v57, v53
	;;#ASMEND
	s_nop 0
	;;#ASMSTART
	v_dot2_f32_f16 v53, v66, v58, v53
	;;#ASMEND
	s_nop 0
	;;#ASMSTART
	v_dot2_f32_f16 v53, v67, v59, v53
	;;#ASMEND
	;; [unrolled: 15-line block ×7, first 2 shown]
	ds_read_b128 v[56:59], v26 offset:544
	ds_read_b128 v[60:63], v29 offset:32
	;; [unrolled: 1-line block ×6, first 2 shown]
	s_waitcnt lgkmcnt(4)
	;;#ASMSTART
	v_dot2_f32_f16 v52, v60, v56, v52
	;;#ASMEND
	s_nop 0
	;;#ASMSTART
	v_dot2_f32_f16 v52, v61, v57, v52
	;;#ASMEND
	s_nop 0
	;; [unrolled: 4-line block ×3, first 2 shown]
	;;#ASMSTART
	v_dot2_f32_f16 v52, v63, v59, v52
	;;#ASMEND
	s_waitcnt lgkmcnt(0)
	;;#ASMSTART
	v_dot2_f32_f16 v22, v60, v76, v22
	;;#ASMEND
	s_nop 0
	;;#ASMSTART
	v_dot2_f32_f16 v22, v61, v77, v22
	;;#ASMEND
	s_nop 0
	;;#ASMSTART
	v_dot2_f32_f16 v22, v62, v78, v22
	;;#ASMEND
	s_nop 0
	;;#ASMSTART
	v_dot2_f32_f16 v22, v63, v79, v22
	;;#ASMEND
	;;#ASMSTART
	v_dot2_f32_f16 v53, v64, v56, v53
	;;#ASMEND
	s_nop 0
	;;#ASMSTART
	v_dot2_f32_f16 v53, v65, v57, v53
	;;#ASMEND
	s_nop 0
	;;#ASMSTART
	v_dot2_f32_f16 v53, v66, v58, v53
	;;#ASMEND
	s_nop 0
	;;#ASMSTART
	v_dot2_f32_f16 v53, v67, v59, v53
	;;#ASMEND
	;; [unrolled: 15-line block ×7, first 2 shown]
	ds_read_b128 v[56:59], v26 offset:560
	ds_read_b128 v[60:63], v29 offset:48
	;; [unrolled: 1-line block ×6, first 2 shown]
	s_waitcnt lgkmcnt(4)
	;;#ASMSTART
	v_dot2_f32_f16 v52, v60, v56, v52
	;;#ASMEND
	s_nop 0
	;;#ASMSTART
	v_dot2_f32_f16 v52, v61, v57, v52
	;;#ASMEND
	s_nop 0
	;;#ASMSTART
	v_dot2_f32_f16 v52, v62, v58, v52
	;;#ASMEND
	s_nop 0
	;;#ASMSTART
	v_dot2_f32_f16 v52, v63, v59, v52
	;;#ASMEND
	s_waitcnt lgkmcnt(0)
	;;#ASMSTART
	v_dot2_f32_f16 v22, v60, v76, v22
	;;#ASMEND
	s_nop 0
	;;#ASMSTART
	v_dot2_f32_f16 v22, v61, v77, v22
	;;#ASMEND
	s_nop 0
	;;#ASMSTART
	v_dot2_f32_f16 v22, v62, v78, v22
	;;#ASMEND
	s_nop 0
	;;#ASMSTART
	v_dot2_f32_f16 v22, v63, v79, v22
	;;#ASMEND
	;;#ASMSTART
	v_dot2_f32_f16 v53, v64, v56, v53
	;;#ASMEND
	s_nop 0
	;;#ASMSTART
	v_dot2_f32_f16 v53, v65, v57, v53
	;;#ASMEND
	s_nop 0
	;;#ASMSTART
	v_dot2_f32_f16 v53, v66, v58, v53
	;;#ASMEND
	s_nop 0
	;;#ASMSTART
	v_dot2_f32_f16 v53, v67, v59, v53
	;;#ASMEND
	;; [unrolled: 15-line block ×7, first 2 shown]
	ds_read_b128 v[56:59], v26 offset:576
	ds_read_b128 v[60:63], v29 offset:64
	;; [unrolled: 1-line block ×6, first 2 shown]
	s_waitcnt lgkmcnt(4)
	;;#ASMSTART
	v_dot2_f32_f16 v52, v60, v56, v52
	;;#ASMEND
	s_nop 0
	;;#ASMSTART
	v_dot2_f32_f16 v52, v61, v57, v52
	;;#ASMEND
	s_nop 0
	;; [unrolled: 4-line block ×3, first 2 shown]
	;;#ASMSTART
	v_dot2_f32_f16 v52, v63, v59, v52
	;;#ASMEND
	s_waitcnt lgkmcnt(0)
	;;#ASMSTART
	v_dot2_f32_f16 v22, v60, v76, v22
	;;#ASMEND
	s_nop 0
	;;#ASMSTART
	v_dot2_f32_f16 v22, v61, v77, v22
	;;#ASMEND
	s_nop 0
	;;#ASMSTART
	v_dot2_f32_f16 v22, v62, v78, v22
	;;#ASMEND
	s_nop 0
	;;#ASMSTART
	v_dot2_f32_f16 v22, v63, v79, v22
	;;#ASMEND
	;;#ASMSTART
	v_dot2_f32_f16 v53, v64, v56, v53
	;;#ASMEND
	s_nop 0
	;;#ASMSTART
	v_dot2_f32_f16 v53, v65, v57, v53
	;;#ASMEND
	s_nop 0
	;;#ASMSTART
	v_dot2_f32_f16 v53, v66, v58, v53
	;;#ASMEND
	s_nop 0
	;;#ASMSTART
	v_dot2_f32_f16 v53, v67, v59, v53
	;;#ASMEND
	;; [unrolled: 15-line block ×7, first 2 shown]
	ds_read_b128 v[56:59], v26 offset:592
	ds_read_b128 v[60:63], v29 offset:80
	;; [unrolled: 1-line block ×6, first 2 shown]
	s_waitcnt lgkmcnt(4)
	;;#ASMSTART
	v_dot2_f32_f16 v52, v60, v56, v52
	;;#ASMEND
	s_nop 0
	;;#ASMSTART
	v_dot2_f32_f16 v52, v61, v57, v52
	;;#ASMEND
	s_nop 0
	;; [unrolled: 4-line block ×3, first 2 shown]
	;;#ASMSTART
	v_dot2_f32_f16 v52, v63, v59, v52
	;;#ASMEND
	s_waitcnt lgkmcnt(0)
	;;#ASMSTART
	v_dot2_f32_f16 v22, v60, v76, v22
	;;#ASMEND
	s_nop 0
	;;#ASMSTART
	v_dot2_f32_f16 v22, v61, v77, v22
	;;#ASMEND
	s_nop 0
	;;#ASMSTART
	v_dot2_f32_f16 v22, v62, v78, v22
	;;#ASMEND
	s_nop 0
	;;#ASMSTART
	v_dot2_f32_f16 v22, v63, v79, v22
	;;#ASMEND
	;;#ASMSTART
	v_dot2_f32_f16 v53, v64, v56, v53
	;;#ASMEND
	s_nop 0
	;;#ASMSTART
	v_dot2_f32_f16 v53, v65, v57, v53
	;;#ASMEND
	s_nop 0
	;;#ASMSTART
	v_dot2_f32_f16 v53, v66, v58, v53
	;;#ASMEND
	s_nop 0
	;;#ASMSTART
	v_dot2_f32_f16 v53, v67, v59, v53
	;;#ASMEND
	;; [unrolled: 15-line block ×7, first 2 shown]
	ds_read_b128 v[56:59], v26 offset:608
	ds_read_b128 v[60:63], v29 offset:96
	;; [unrolled: 1-line block ×6, first 2 shown]
	s_waitcnt lgkmcnt(4)
	;;#ASMSTART
	v_dot2_f32_f16 v52, v60, v56, v52
	;;#ASMEND
	s_nop 0
	;;#ASMSTART
	v_dot2_f32_f16 v52, v61, v57, v52
	;;#ASMEND
	s_nop 0
	;; [unrolled: 4-line block ×3, first 2 shown]
	;;#ASMSTART
	v_dot2_f32_f16 v52, v63, v59, v52
	;;#ASMEND
	s_waitcnt lgkmcnt(0)
	;;#ASMSTART
	v_dot2_f32_f16 v22, v60, v76, v22
	;;#ASMEND
	s_nop 0
	;;#ASMSTART
	v_dot2_f32_f16 v22, v61, v77, v22
	;;#ASMEND
	s_nop 0
	;;#ASMSTART
	v_dot2_f32_f16 v22, v62, v78, v22
	;;#ASMEND
	s_nop 0
	;;#ASMSTART
	v_dot2_f32_f16 v22, v63, v79, v22
	;;#ASMEND
	;;#ASMSTART
	v_dot2_f32_f16 v53, v64, v56, v53
	;;#ASMEND
	s_nop 0
	;;#ASMSTART
	v_dot2_f32_f16 v53, v65, v57, v53
	;;#ASMEND
	s_nop 0
	;;#ASMSTART
	v_dot2_f32_f16 v53, v66, v58, v53
	;;#ASMEND
	s_nop 0
	;;#ASMSTART
	v_dot2_f32_f16 v53, v67, v59, v53
	;;#ASMEND
	;; [unrolled: 15-line block ×7, first 2 shown]
	ds_read_b128 v[56:59], v26 offset:624
	ds_read_b128 v[60:63], v29 offset:112
	;; [unrolled: 1-line block ×6, first 2 shown]
	s_waitcnt lgkmcnt(4)
	;;#ASMSTART
	v_dot2_f32_f16 v52, v60, v56, v52
	;;#ASMEND
	s_nop 0
	;;#ASMSTART
	v_dot2_f32_f16 v52, v61, v57, v52
	;;#ASMEND
	s_nop 0
	;; [unrolled: 4-line block ×3, first 2 shown]
	;;#ASMSTART
	v_dot2_f32_f16 v52, v63, v59, v52
	;;#ASMEND
	s_waitcnt lgkmcnt(0)
	;;#ASMSTART
	v_dot2_f32_f16 v22, v60, v76, v22
	;;#ASMEND
	s_nop 0
	;;#ASMSTART
	v_dot2_f32_f16 v22, v61, v77, v22
	;;#ASMEND
	s_nop 0
	;;#ASMSTART
	v_dot2_f32_f16 v22, v62, v78, v22
	;;#ASMEND
	s_nop 0
	;;#ASMSTART
	v_dot2_f32_f16 v22, v63, v79, v22
	;;#ASMEND
	;;#ASMSTART
	v_dot2_f32_f16 v53, v64, v56, v53
	;;#ASMEND
	s_nop 0
	;;#ASMSTART
	v_dot2_f32_f16 v53, v65, v57, v53
	;;#ASMEND
	s_nop 0
	;;#ASMSTART
	v_dot2_f32_f16 v53, v66, v58, v53
	;;#ASMEND
	s_nop 0
	;;#ASMSTART
	v_dot2_f32_f16 v53, v67, v59, v53
	;;#ASMEND
	;; [unrolled: 15-line block ×7, first 2 shown]
	s_barrier
	global_load_dwordx4 v[56:59], v[0:1], off offset:640
	global_load_dwordx4 v[60:63], v[2:3], off offset:640
	s_waitcnt vmcnt(1)
	ds_write_b128 v27, v[56:59]
	s_waitcnt vmcnt(0)
	ds_write_b128 v28, v[60:63]
	s_waitcnt lgkmcnt(0)
	s_barrier
	ds_read_b128 v[56:59], v26 offset:640
	ds_read_b128 v[60:63], v29
	ds_read_b128 v[64:67], v29 offset:4608
	ds_read_b128 v[68:71], v29 offset:9216
	;; [unrolled: 1-line block ×4, first 2 shown]
	s_waitcnt lgkmcnt(4)
	;;#ASMSTART
	v_dot2_f32_f16 v52, v60, v56, v52
	;;#ASMEND
	s_nop 0
	;;#ASMSTART
	v_dot2_f32_f16 v52, v61, v57, v52
	;;#ASMEND
	s_nop 0
	;; [unrolled: 4-line block ×3, first 2 shown]
	;;#ASMSTART
	v_dot2_f32_f16 v52, v63, v59, v52
	;;#ASMEND
	s_waitcnt lgkmcnt(0)
	;;#ASMSTART
	v_dot2_f32_f16 v22, v60, v76, v22
	;;#ASMEND
	s_nop 0
	;;#ASMSTART
	v_dot2_f32_f16 v22, v61, v77, v22
	;;#ASMEND
	s_nop 0
	;;#ASMSTART
	v_dot2_f32_f16 v22, v62, v78, v22
	;;#ASMEND
	s_nop 0
	;;#ASMSTART
	v_dot2_f32_f16 v22, v63, v79, v22
	;;#ASMEND
	;;#ASMSTART
	v_dot2_f32_f16 v53, v64, v56, v53
	;;#ASMEND
	s_nop 0
	;;#ASMSTART
	v_dot2_f32_f16 v53, v65, v57, v53
	;;#ASMEND
	s_nop 0
	;;#ASMSTART
	v_dot2_f32_f16 v53, v66, v58, v53
	;;#ASMEND
	s_nop 0
	;;#ASMSTART
	v_dot2_f32_f16 v53, v67, v59, v53
	;;#ASMEND
	;; [unrolled: 15-line block ×7, first 2 shown]
	ds_read_b128 v[56:59], v26 offset:656
	ds_read_b128 v[60:63], v29 offset:16
	;; [unrolled: 1-line block ×6, first 2 shown]
	s_waitcnt lgkmcnt(4)
	;;#ASMSTART
	v_dot2_f32_f16 v52, v60, v56, v52
	;;#ASMEND
	s_nop 0
	;;#ASMSTART
	v_dot2_f32_f16 v52, v61, v57, v52
	;;#ASMEND
	s_nop 0
	;; [unrolled: 4-line block ×3, first 2 shown]
	;;#ASMSTART
	v_dot2_f32_f16 v52, v63, v59, v52
	;;#ASMEND
	s_waitcnt lgkmcnt(0)
	;;#ASMSTART
	v_dot2_f32_f16 v22, v60, v76, v22
	;;#ASMEND
	s_nop 0
	;;#ASMSTART
	v_dot2_f32_f16 v22, v61, v77, v22
	;;#ASMEND
	s_nop 0
	;;#ASMSTART
	v_dot2_f32_f16 v22, v62, v78, v22
	;;#ASMEND
	s_nop 0
	;;#ASMSTART
	v_dot2_f32_f16 v22, v63, v79, v22
	;;#ASMEND
	;;#ASMSTART
	v_dot2_f32_f16 v53, v64, v56, v53
	;;#ASMEND
	s_nop 0
	;;#ASMSTART
	v_dot2_f32_f16 v53, v65, v57, v53
	;;#ASMEND
	s_nop 0
	;;#ASMSTART
	v_dot2_f32_f16 v53, v66, v58, v53
	;;#ASMEND
	s_nop 0
	;;#ASMSTART
	v_dot2_f32_f16 v53, v67, v59, v53
	;;#ASMEND
	;;#ASMSTART
	v_dot2_f32_f16 v23, v64, v76, v23
	;;#ASMEND
	s_nop 0
	;;#ASMSTART
	v_dot2_f32_f16 v23, v65, v77, v23
	;;#ASMEND
	s_nop 0
	;;#ASMSTART
	v_dot2_f32_f16 v23, v66, v78, v23
	;;#ASMEND
	s_nop 0
	;;#ASMSTART
	v_dot2_f32_f16 v23, v67, v79, v23
	;;#ASMEND
	;;#ASMSTART
	v_dot2_f32_f16 v54, v68, v56, v54
	;;#ASMEND
	s_nop 0
	;;#ASMSTART
	v_dot2_f32_f16 v54, v69, v57, v54
	;;#ASMEND
	s_nop 0
	;;#ASMSTART
	v_dot2_f32_f16 v54, v70, v58, v54
	;;#ASMEND
	s_nop 0
	;;#ASMSTART
	v_dot2_f32_f16 v54, v71, v59, v54
	;;#ASMEND
	;;#ASMSTART
	v_dot2_f32_f16 v50, v68, v76, v50
	;;#ASMEND
	s_nop 0
	;;#ASMSTART
	v_dot2_f32_f16 v50, v69, v77, v50
	;;#ASMEND
	s_nop 0
	;;#ASMSTART
	v_dot2_f32_f16 v50, v70, v78, v50
	;;#ASMEND
	s_nop 0
	;;#ASMSTART
	v_dot2_f32_f16 v50, v71, v79, v50
	;;#ASMEND
	;;#ASMSTART
	v_dot2_f32_f16 v55, v72, v56, v55
	;;#ASMEND
	s_nop 0
	;;#ASMSTART
	v_dot2_f32_f16 v55, v73, v57, v55
	;;#ASMEND
	s_nop 0
	;;#ASMSTART
	v_dot2_f32_f16 v55, v74, v58, v55
	;;#ASMEND
	s_nop 0
	;;#ASMSTART
	v_dot2_f32_f16 v55, v75, v59, v55
	;;#ASMEND
	;;#ASMSTART
	v_dot2_f32_f16 v51, v72, v76, v51
	;;#ASMEND
	s_nop 0
	;;#ASMSTART
	v_dot2_f32_f16 v51, v73, v77, v51
	;;#ASMEND
	s_nop 0
	;;#ASMSTART
	v_dot2_f32_f16 v51, v74, v78, v51
	;;#ASMEND
	s_nop 0
	;;#ASMSTART
	v_dot2_f32_f16 v51, v75, v79, v51
	;;#ASMEND
	ds_read_b128 v[56:59], v26 offset:672
	ds_read_b128 v[60:63], v29 offset:32
	;; [unrolled: 1-line block ×6, first 2 shown]
	s_waitcnt lgkmcnt(4)
	;;#ASMSTART
	v_dot2_f32_f16 v52, v60, v56, v52
	;;#ASMEND
	s_nop 0
	;;#ASMSTART
	v_dot2_f32_f16 v52, v61, v57, v52
	;;#ASMEND
	s_nop 0
	;;#ASMSTART
	v_dot2_f32_f16 v52, v62, v58, v52
	;;#ASMEND
	s_nop 0
	;;#ASMSTART
	v_dot2_f32_f16 v52, v63, v59, v52
	;;#ASMEND
	s_waitcnt lgkmcnt(0)
	;;#ASMSTART
	v_dot2_f32_f16 v22, v60, v76, v22
	;;#ASMEND
	s_nop 0
	;;#ASMSTART
	v_dot2_f32_f16 v22, v61, v77, v22
	;;#ASMEND
	s_nop 0
	;;#ASMSTART
	v_dot2_f32_f16 v22, v62, v78, v22
	;;#ASMEND
	s_nop 0
	;;#ASMSTART
	v_dot2_f32_f16 v22, v63, v79, v22
	;;#ASMEND
	;;#ASMSTART
	v_dot2_f32_f16 v53, v64, v56, v53
	;;#ASMEND
	s_nop 0
	;;#ASMSTART
	v_dot2_f32_f16 v53, v65, v57, v53
	;;#ASMEND
	s_nop 0
	;;#ASMSTART
	v_dot2_f32_f16 v53, v66, v58, v53
	;;#ASMEND
	s_nop 0
	;;#ASMSTART
	v_dot2_f32_f16 v53, v67, v59, v53
	;;#ASMEND
	;; [unrolled: 15-line block ×7, first 2 shown]
	ds_read_b128 v[56:59], v26 offset:688
	ds_read_b128 v[60:63], v29 offset:48
	;; [unrolled: 1-line block ×6, first 2 shown]
	s_waitcnt lgkmcnt(4)
	;;#ASMSTART
	v_dot2_f32_f16 v52, v60, v56, v52
	;;#ASMEND
	s_nop 0
	;;#ASMSTART
	v_dot2_f32_f16 v52, v61, v57, v52
	;;#ASMEND
	s_nop 0
	;; [unrolled: 4-line block ×3, first 2 shown]
	;;#ASMSTART
	v_dot2_f32_f16 v52, v63, v59, v52
	;;#ASMEND
	s_waitcnt lgkmcnt(0)
	;;#ASMSTART
	v_dot2_f32_f16 v22, v60, v76, v22
	;;#ASMEND
	s_nop 0
	;;#ASMSTART
	v_dot2_f32_f16 v22, v61, v77, v22
	;;#ASMEND
	s_nop 0
	;;#ASMSTART
	v_dot2_f32_f16 v22, v62, v78, v22
	;;#ASMEND
	s_nop 0
	;;#ASMSTART
	v_dot2_f32_f16 v22, v63, v79, v22
	;;#ASMEND
	;;#ASMSTART
	v_dot2_f32_f16 v53, v64, v56, v53
	;;#ASMEND
	s_nop 0
	;;#ASMSTART
	v_dot2_f32_f16 v53, v65, v57, v53
	;;#ASMEND
	s_nop 0
	;;#ASMSTART
	v_dot2_f32_f16 v53, v66, v58, v53
	;;#ASMEND
	s_nop 0
	;;#ASMSTART
	v_dot2_f32_f16 v53, v67, v59, v53
	;;#ASMEND
	;; [unrolled: 15-line block ×7, first 2 shown]
	ds_read_b128 v[56:59], v26 offset:704
	ds_read_b128 v[60:63], v29 offset:64
	;; [unrolled: 1-line block ×6, first 2 shown]
	s_waitcnt lgkmcnt(4)
	;;#ASMSTART
	v_dot2_f32_f16 v52, v60, v56, v52
	;;#ASMEND
	s_nop 0
	;;#ASMSTART
	v_dot2_f32_f16 v52, v61, v57, v52
	;;#ASMEND
	s_nop 0
	;; [unrolled: 4-line block ×3, first 2 shown]
	;;#ASMSTART
	v_dot2_f32_f16 v52, v63, v59, v52
	;;#ASMEND
	s_waitcnt lgkmcnt(0)
	;;#ASMSTART
	v_dot2_f32_f16 v22, v60, v76, v22
	;;#ASMEND
	s_nop 0
	;;#ASMSTART
	v_dot2_f32_f16 v22, v61, v77, v22
	;;#ASMEND
	s_nop 0
	;;#ASMSTART
	v_dot2_f32_f16 v22, v62, v78, v22
	;;#ASMEND
	s_nop 0
	;;#ASMSTART
	v_dot2_f32_f16 v22, v63, v79, v22
	;;#ASMEND
	;;#ASMSTART
	v_dot2_f32_f16 v53, v64, v56, v53
	;;#ASMEND
	s_nop 0
	;;#ASMSTART
	v_dot2_f32_f16 v53, v65, v57, v53
	;;#ASMEND
	s_nop 0
	;;#ASMSTART
	v_dot2_f32_f16 v53, v66, v58, v53
	;;#ASMEND
	s_nop 0
	;;#ASMSTART
	v_dot2_f32_f16 v53, v67, v59, v53
	;;#ASMEND
	;; [unrolled: 15-line block ×7, first 2 shown]
	ds_read_b128 v[56:59], v26 offset:720
	ds_read_b128 v[60:63], v29 offset:80
	;; [unrolled: 1-line block ×6, first 2 shown]
	s_waitcnt lgkmcnt(4)
	;;#ASMSTART
	v_dot2_f32_f16 v52, v60, v56, v52
	;;#ASMEND
	s_nop 0
	;;#ASMSTART
	v_dot2_f32_f16 v52, v61, v57, v52
	;;#ASMEND
	s_nop 0
	;;#ASMSTART
	v_dot2_f32_f16 v52, v62, v58, v52
	;;#ASMEND
	s_nop 0
	;;#ASMSTART
	v_dot2_f32_f16 v52, v63, v59, v52
	;;#ASMEND
	s_waitcnt lgkmcnt(0)
	;;#ASMSTART
	v_dot2_f32_f16 v22, v60, v76, v22
	;;#ASMEND
	s_nop 0
	;;#ASMSTART
	v_dot2_f32_f16 v22, v61, v77, v22
	;;#ASMEND
	s_nop 0
	;;#ASMSTART
	v_dot2_f32_f16 v22, v62, v78, v22
	;;#ASMEND
	s_nop 0
	;;#ASMSTART
	v_dot2_f32_f16 v22, v63, v79, v22
	;;#ASMEND
	;;#ASMSTART
	v_dot2_f32_f16 v53, v64, v56, v53
	;;#ASMEND
	s_nop 0
	;;#ASMSTART
	v_dot2_f32_f16 v53, v65, v57, v53
	;;#ASMEND
	s_nop 0
	;;#ASMSTART
	v_dot2_f32_f16 v53, v66, v58, v53
	;;#ASMEND
	s_nop 0
	;;#ASMSTART
	v_dot2_f32_f16 v53, v67, v59, v53
	;;#ASMEND
	;; [unrolled: 15-line block ×7, first 2 shown]
	ds_read_b128 v[56:59], v26 offset:736
	ds_read_b128 v[60:63], v29 offset:96
	ds_read_b128 v[64:67], v29 offset:4704
	ds_read_b128 v[68:71], v29 offset:9312
	ds_read_b128 v[72:75], v29 offset:13920
	ds_read_b128 v[76:79], v26 offset:1760
	s_waitcnt lgkmcnt(4)
	;;#ASMSTART
	v_dot2_f32_f16 v52, v60, v56, v52
	;;#ASMEND
	s_nop 0
	;;#ASMSTART
	v_dot2_f32_f16 v52, v61, v57, v52
	;;#ASMEND
	s_nop 0
	;; [unrolled: 4-line block ×3, first 2 shown]
	;;#ASMSTART
	v_dot2_f32_f16 v52, v63, v59, v52
	;;#ASMEND
	s_waitcnt lgkmcnt(0)
	;;#ASMSTART
	v_dot2_f32_f16 v22, v60, v76, v22
	;;#ASMEND
	s_nop 0
	;;#ASMSTART
	v_dot2_f32_f16 v22, v61, v77, v22
	;;#ASMEND
	s_nop 0
	;;#ASMSTART
	v_dot2_f32_f16 v22, v62, v78, v22
	;;#ASMEND
	s_nop 0
	;;#ASMSTART
	v_dot2_f32_f16 v22, v63, v79, v22
	;;#ASMEND
	;;#ASMSTART
	v_dot2_f32_f16 v53, v64, v56, v53
	;;#ASMEND
	s_nop 0
	;;#ASMSTART
	v_dot2_f32_f16 v53, v65, v57, v53
	;;#ASMEND
	s_nop 0
	;;#ASMSTART
	v_dot2_f32_f16 v53, v66, v58, v53
	;;#ASMEND
	s_nop 0
	;;#ASMSTART
	v_dot2_f32_f16 v53, v67, v59, v53
	;;#ASMEND
	;; [unrolled: 15-line block ×7, first 2 shown]
	ds_read_b128 v[56:59], v26 offset:752
	ds_read_b128 v[60:63], v29 offset:112
	;; [unrolled: 1-line block ×6, first 2 shown]
	s_waitcnt lgkmcnt(4)
	;;#ASMSTART
	v_dot2_f32_f16 v52, v60, v56, v52
	;;#ASMEND
	s_nop 0
	;;#ASMSTART
	v_dot2_f32_f16 v52, v61, v57, v52
	;;#ASMEND
	s_nop 0
	;; [unrolled: 4-line block ×3, first 2 shown]
	;;#ASMSTART
	v_dot2_f32_f16 v52, v63, v59, v52
	;;#ASMEND
	s_waitcnt lgkmcnt(0)
	;;#ASMSTART
	v_dot2_f32_f16 v22, v60, v76, v22
	;;#ASMEND
	s_nop 0
	;;#ASMSTART
	v_dot2_f32_f16 v22, v61, v77, v22
	;;#ASMEND
	s_nop 0
	;;#ASMSTART
	v_dot2_f32_f16 v22, v62, v78, v22
	;;#ASMEND
	s_nop 0
	;;#ASMSTART
	v_dot2_f32_f16 v22, v63, v79, v22
	;;#ASMEND
	;;#ASMSTART
	v_dot2_f32_f16 v53, v64, v56, v53
	;;#ASMEND
	s_nop 0
	;;#ASMSTART
	v_dot2_f32_f16 v53, v65, v57, v53
	;;#ASMEND
	s_nop 0
	;;#ASMSTART
	v_dot2_f32_f16 v53, v66, v58, v53
	;;#ASMEND
	s_nop 0
	;;#ASMSTART
	v_dot2_f32_f16 v53, v67, v59, v53
	;;#ASMEND
	;; [unrolled: 15-line block ×7, first 2 shown]
	s_barrier
	global_load_dwordx4 v[56:59], v[0:1], off offset:768
	global_load_dwordx4 v[60:63], v[2:3], off offset:768
	s_waitcnt vmcnt(1)
	ds_write_b128 v27, v[56:59]
	s_waitcnt vmcnt(0)
	ds_write_b128 v28, v[60:63]
	s_waitcnt lgkmcnt(0)
	s_barrier
	ds_read_b128 v[56:59], v26 offset:768
	ds_read_b128 v[60:63], v29
	ds_read_b128 v[64:67], v29 offset:4608
	ds_read_b128 v[68:71], v29 offset:9216
	;; [unrolled: 1-line block ×4, first 2 shown]
	s_waitcnt lgkmcnt(4)
	;;#ASMSTART
	v_dot2_f32_f16 v52, v60, v56, v52
	;;#ASMEND
	s_nop 0
	;;#ASMSTART
	v_dot2_f32_f16 v52, v61, v57, v52
	;;#ASMEND
	s_nop 0
	;; [unrolled: 4-line block ×3, first 2 shown]
	;;#ASMSTART
	v_dot2_f32_f16 v52, v63, v59, v52
	;;#ASMEND
	s_waitcnt lgkmcnt(0)
	;;#ASMSTART
	v_dot2_f32_f16 v22, v60, v76, v22
	;;#ASMEND
	s_nop 0
	;;#ASMSTART
	v_dot2_f32_f16 v22, v61, v77, v22
	;;#ASMEND
	s_nop 0
	;;#ASMSTART
	v_dot2_f32_f16 v22, v62, v78, v22
	;;#ASMEND
	s_nop 0
	;;#ASMSTART
	v_dot2_f32_f16 v22, v63, v79, v22
	;;#ASMEND
	;;#ASMSTART
	v_dot2_f32_f16 v53, v64, v56, v53
	;;#ASMEND
	s_nop 0
	;;#ASMSTART
	v_dot2_f32_f16 v53, v65, v57, v53
	;;#ASMEND
	s_nop 0
	;;#ASMSTART
	v_dot2_f32_f16 v53, v66, v58, v53
	;;#ASMEND
	s_nop 0
	;;#ASMSTART
	v_dot2_f32_f16 v53, v67, v59, v53
	;;#ASMEND
	;; [unrolled: 15-line block ×7, first 2 shown]
	ds_read_b128 v[56:59], v26 offset:784
	ds_read_b128 v[60:63], v29 offset:16
	ds_read_b128 v[64:67], v29 offset:4624
	ds_read_b128 v[68:71], v29 offset:9232
	ds_read_b128 v[72:75], v29 offset:13840
	ds_read_b128 v[76:79], v26 offset:1808
	s_waitcnt lgkmcnt(4)
	;;#ASMSTART
	v_dot2_f32_f16 v52, v60, v56, v52
	;;#ASMEND
	s_nop 0
	;;#ASMSTART
	v_dot2_f32_f16 v52, v61, v57, v52
	;;#ASMEND
	s_nop 0
	;; [unrolled: 4-line block ×3, first 2 shown]
	;;#ASMSTART
	v_dot2_f32_f16 v52, v63, v59, v52
	;;#ASMEND
	s_waitcnt lgkmcnt(0)
	;;#ASMSTART
	v_dot2_f32_f16 v22, v60, v76, v22
	;;#ASMEND
	s_nop 0
	;;#ASMSTART
	v_dot2_f32_f16 v22, v61, v77, v22
	;;#ASMEND
	s_nop 0
	;;#ASMSTART
	v_dot2_f32_f16 v22, v62, v78, v22
	;;#ASMEND
	s_nop 0
	;;#ASMSTART
	v_dot2_f32_f16 v22, v63, v79, v22
	;;#ASMEND
	;;#ASMSTART
	v_dot2_f32_f16 v53, v64, v56, v53
	;;#ASMEND
	s_nop 0
	;;#ASMSTART
	v_dot2_f32_f16 v53, v65, v57, v53
	;;#ASMEND
	s_nop 0
	;;#ASMSTART
	v_dot2_f32_f16 v53, v66, v58, v53
	;;#ASMEND
	s_nop 0
	;;#ASMSTART
	v_dot2_f32_f16 v53, v67, v59, v53
	;;#ASMEND
	;;#ASMSTART
	v_dot2_f32_f16 v23, v64, v76, v23
	;;#ASMEND
	s_nop 0
	;;#ASMSTART
	v_dot2_f32_f16 v23, v65, v77, v23
	;;#ASMEND
	s_nop 0
	;;#ASMSTART
	v_dot2_f32_f16 v23, v66, v78, v23
	;;#ASMEND
	s_nop 0
	;;#ASMSTART
	v_dot2_f32_f16 v23, v67, v79, v23
	;;#ASMEND
	;;#ASMSTART
	v_dot2_f32_f16 v54, v68, v56, v54
	;;#ASMEND
	s_nop 0
	;;#ASMSTART
	v_dot2_f32_f16 v54, v69, v57, v54
	;;#ASMEND
	s_nop 0
	;;#ASMSTART
	v_dot2_f32_f16 v54, v70, v58, v54
	;;#ASMEND
	s_nop 0
	;;#ASMSTART
	v_dot2_f32_f16 v54, v71, v59, v54
	;;#ASMEND
	;;#ASMSTART
	v_dot2_f32_f16 v50, v68, v76, v50
	;;#ASMEND
	s_nop 0
	;;#ASMSTART
	v_dot2_f32_f16 v50, v69, v77, v50
	;;#ASMEND
	s_nop 0
	;;#ASMSTART
	v_dot2_f32_f16 v50, v70, v78, v50
	;;#ASMEND
	s_nop 0
	;;#ASMSTART
	v_dot2_f32_f16 v50, v71, v79, v50
	;;#ASMEND
	;;#ASMSTART
	v_dot2_f32_f16 v55, v72, v56, v55
	;;#ASMEND
	s_nop 0
	;;#ASMSTART
	v_dot2_f32_f16 v55, v73, v57, v55
	;;#ASMEND
	s_nop 0
	;;#ASMSTART
	v_dot2_f32_f16 v55, v74, v58, v55
	;;#ASMEND
	s_nop 0
	;;#ASMSTART
	v_dot2_f32_f16 v55, v75, v59, v55
	;;#ASMEND
	;;#ASMSTART
	v_dot2_f32_f16 v51, v72, v76, v51
	;;#ASMEND
	s_nop 0
	;;#ASMSTART
	v_dot2_f32_f16 v51, v73, v77, v51
	;;#ASMEND
	s_nop 0
	;;#ASMSTART
	v_dot2_f32_f16 v51, v74, v78, v51
	;;#ASMEND
	s_nop 0
	;;#ASMSTART
	v_dot2_f32_f16 v51, v75, v79, v51
	;;#ASMEND
	ds_read_b128 v[56:59], v26 offset:800
	ds_read_b128 v[60:63], v29 offset:32
	;; [unrolled: 1-line block ×6, first 2 shown]
	s_waitcnt lgkmcnt(4)
	;;#ASMSTART
	v_dot2_f32_f16 v52, v60, v56, v52
	;;#ASMEND
	s_nop 0
	;;#ASMSTART
	v_dot2_f32_f16 v52, v61, v57, v52
	;;#ASMEND
	s_nop 0
	;; [unrolled: 4-line block ×3, first 2 shown]
	;;#ASMSTART
	v_dot2_f32_f16 v52, v63, v59, v52
	;;#ASMEND
	s_waitcnt lgkmcnt(0)
	;;#ASMSTART
	v_dot2_f32_f16 v22, v60, v76, v22
	;;#ASMEND
	s_nop 0
	;;#ASMSTART
	v_dot2_f32_f16 v22, v61, v77, v22
	;;#ASMEND
	s_nop 0
	;;#ASMSTART
	v_dot2_f32_f16 v22, v62, v78, v22
	;;#ASMEND
	s_nop 0
	;;#ASMSTART
	v_dot2_f32_f16 v22, v63, v79, v22
	;;#ASMEND
	;;#ASMSTART
	v_dot2_f32_f16 v53, v64, v56, v53
	;;#ASMEND
	s_nop 0
	;;#ASMSTART
	v_dot2_f32_f16 v53, v65, v57, v53
	;;#ASMEND
	s_nop 0
	;;#ASMSTART
	v_dot2_f32_f16 v53, v66, v58, v53
	;;#ASMEND
	s_nop 0
	;;#ASMSTART
	v_dot2_f32_f16 v53, v67, v59, v53
	;;#ASMEND
	;; [unrolled: 15-line block ×7, first 2 shown]
	ds_read_b128 v[56:59], v26 offset:816
	ds_read_b128 v[60:63], v29 offset:48
	;; [unrolled: 1-line block ×6, first 2 shown]
	s_waitcnt lgkmcnt(4)
	;;#ASMSTART
	v_dot2_f32_f16 v52, v60, v56, v52
	;;#ASMEND
	s_nop 0
	;;#ASMSTART
	v_dot2_f32_f16 v52, v61, v57, v52
	;;#ASMEND
	s_nop 0
	;; [unrolled: 4-line block ×3, first 2 shown]
	;;#ASMSTART
	v_dot2_f32_f16 v52, v63, v59, v52
	;;#ASMEND
	s_waitcnt lgkmcnt(0)
	;;#ASMSTART
	v_dot2_f32_f16 v22, v60, v76, v22
	;;#ASMEND
	s_nop 0
	;;#ASMSTART
	v_dot2_f32_f16 v22, v61, v77, v22
	;;#ASMEND
	s_nop 0
	;;#ASMSTART
	v_dot2_f32_f16 v22, v62, v78, v22
	;;#ASMEND
	s_nop 0
	;;#ASMSTART
	v_dot2_f32_f16 v22, v63, v79, v22
	;;#ASMEND
	;;#ASMSTART
	v_dot2_f32_f16 v53, v64, v56, v53
	;;#ASMEND
	s_nop 0
	;;#ASMSTART
	v_dot2_f32_f16 v53, v65, v57, v53
	;;#ASMEND
	s_nop 0
	;;#ASMSTART
	v_dot2_f32_f16 v53, v66, v58, v53
	;;#ASMEND
	s_nop 0
	;;#ASMSTART
	v_dot2_f32_f16 v53, v67, v59, v53
	;;#ASMEND
	;; [unrolled: 15-line block ×7, first 2 shown]
	ds_read_b128 v[56:59], v26 offset:832
	ds_read_b128 v[60:63], v29 offset:64
	;; [unrolled: 1-line block ×6, first 2 shown]
	s_waitcnt lgkmcnt(4)
	;;#ASMSTART
	v_dot2_f32_f16 v52, v60, v56, v52
	;;#ASMEND
	s_nop 0
	;;#ASMSTART
	v_dot2_f32_f16 v52, v61, v57, v52
	;;#ASMEND
	s_nop 0
	;; [unrolled: 4-line block ×3, first 2 shown]
	;;#ASMSTART
	v_dot2_f32_f16 v52, v63, v59, v52
	;;#ASMEND
	s_waitcnt lgkmcnt(0)
	;;#ASMSTART
	v_dot2_f32_f16 v22, v60, v76, v22
	;;#ASMEND
	s_nop 0
	;;#ASMSTART
	v_dot2_f32_f16 v22, v61, v77, v22
	;;#ASMEND
	s_nop 0
	;;#ASMSTART
	v_dot2_f32_f16 v22, v62, v78, v22
	;;#ASMEND
	s_nop 0
	;;#ASMSTART
	v_dot2_f32_f16 v22, v63, v79, v22
	;;#ASMEND
	;;#ASMSTART
	v_dot2_f32_f16 v53, v64, v56, v53
	;;#ASMEND
	s_nop 0
	;;#ASMSTART
	v_dot2_f32_f16 v53, v65, v57, v53
	;;#ASMEND
	s_nop 0
	;;#ASMSTART
	v_dot2_f32_f16 v53, v66, v58, v53
	;;#ASMEND
	s_nop 0
	;;#ASMSTART
	v_dot2_f32_f16 v53, v67, v59, v53
	;;#ASMEND
	;; [unrolled: 15-line block ×7, first 2 shown]
	ds_read_b128 v[56:59], v26 offset:848
	ds_read_b128 v[60:63], v29 offset:80
	;; [unrolled: 1-line block ×6, first 2 shown]
	s_waitcnt lgkmcnt(4)
	;;#ASMSTART
	v_dot2_f32_f16 v52, v60, v56, v52
	;;#ASMEND
	s_nop 0
	;;#ASMSTART
	v_dot2_f32_f16 v52, v61, v57, v52
	;;#ASMEND
	s_nop 0
	;; [unrolled: 4-line block ×3, first 2 shown]
	;;#ASMSTART
	v_dot2_f32_f16 v52, v63, v59, v52
	;;#ASMEND
	s_waitcnt lgkmcnt(0)
	;;#ASMSTART
	v_dot2_f32_f16 v22, v60, v76, v22
	;;#ASMEND
	s_nop 0
	;;#ASMSTART
	v_dot2_f32_f16 v22, v61, v77, v22
	;;#ASMEND
	s_nop 0
	;;#ASMSTART
	v_dot2_f32_f16 v22, v62, v78, v22
	;;#ASMEND
	s_nop 0
	;;#ASMSTART
	v_dot2_f32_f16 v22, v63, v79, v22
	;;#ASMEND
	;;#ASMSTART
	v_dot2_f32_f16 v53, v64, v56, v53
	;;#ASMEND
	s_nop 0
	;;#ASMSTART
	v_dot2_f32_f16 v53, v65, v57, v53
	;;#ASMEND
	s_nop 0
	;;#ASMSTART
	v_dot2_f32_f16 v53, v66, v58, v53
	;;#ASMEND
	s_nop 0
	;;#ASMSTART
	v_dot2_f32_f16 v53, v67, v59, v53
	;;#ASMEND
	;; [unrolled: 15-line block ×7, first 2 shown]
	ds_read_b128 v[56:59], v26 offset:864
	ds_read_b128 v[60:63], v29 offset:96
	;; [unrolled: 1-line block ×6, first 2 shown]
	s_waitcnt lgkmcnt(4)
	;;#ASMSTART
	v_dot2_f32_f16 v52, v60, v56, v52
	;;#ASMEND
	s_nop 0
	;;#ASMSTART
	v_dot2_f32_f16 v52, v61, v57, v52
	;;#ASMEND
	s_nop 0
	;; [unrolled: 4-line block ×3, first 2 shown]
	;;#ASMSTART
	v_dot2_f32_f16 v52, v63, v59, v52
	;;#ASMEND
	s_waitcnt lgkmcnt(0)
	;;#ASMSTART
	v_dot2_f32_f16 v22, v60, v76, v22
	;;#ASMEND
	s_nop 0
	;;#ASMSTART
	v_dot2_f32_f16 v22, v61, v77, v22
	;;#ASMEND
	s_nop 0
	;;#ASMSTART
	v_dot2_f32_f16 v22, v62, v78, v22
	;;#ASMEND
	s_nop 0
	;;#ASMSTART
	v_dot2_f32_f16 v22, v63, v79, v22
	;;#ASMEND
	;;#ASMSTART
	v_dot2_f32_f16 v53, v64, v56, v53
	;;#ASMEND
	s_nop 0
	;;#ASMSTART
	v_dot2_f32_f16 v53, v65, v57, v53
	;;#ASMEND
	s_nop 0
	;;#ASMSTART
	v_dot2_f32_f16 v53, v66, v58, v53
	;;#ASMEND
	s_nop 0
	;;#ASMSTART
	v_dot2_f32_f16 v53, v67, v59, v53
	;;#ASMEND
	;; [unrolled: 15-line block ×7, first 2 shown]
	ds_read_b128 v[56:59], v26 offset:880
	ds_read_b128 v[60:63], v29 offset:112
	;; [unrolled: 1-line block ×6, first 2 shown]
	s_waitcnt lgkmcnt(4)
	;;#ASMSTART
	v_dot2_f32_f16 v52, v60, v56, v52
	;;#ASMEND
	s_nop 0
	;;#ASMSTART
	v_dot2_f32_f16 v52, v61, v57, v52
	;;#ASMEND
	s_nop 0
	;; [unrolled: 4-line block ×3, first 2 shown]
	;;#ASMSTART
	v_dot2_f32_f16 v52, v63, v59, v52
	;;#ASMEND
	s_waitcnt lgkmcnt(0)
	;;#ASMSTART
	v_dot2_f32_f16 v22, v60, v76, v22
	;;#ASMEND
	s_nop 0
	;;#ASMSTART
	v_dot2_f32_f16 v22, v61, v77, v22
	;;#ASMEND
	s_nop 0
	;;#ASMSTART
	v_dot2_f32_f16 v22, v62, v78, v22
	;;#ASMEND
	s_nop 0
	;;#ASMSTART
	v_dot2_f32_f16 v22, v63, v79, v22
	;;#ASMEND
	;;#ASMSTART
	v_dot2_f32_f16 v53, v64, v56, v53
	;;#ASMEND
	s_nop 0
	;;#ASMSTART
	v_dot2_f32_f16 v53, v65, v57, v53
	;;#ASMEND
	s_nop 0
	;;#ASMSTART
	v_dot2_f32_f16 v53, v66, v58, v53
	;;#ASMEND
	s_nop 0
	;;#ASMSTART
	v_dot2_f32_f16 v53, v67, v59, v53
	;;#ASMEND
	;; [unrolled: 15-line block ×7, first 2 shown]
	s_barrier
	global_load_dwordx4 v[56:59], v[0:1], off offset:896
	global_load_dwordx4 v[60:63], v[2:3], off offset:896
	s_waitcnt vmcnt(1)
	ds_write_b128 v27, v[56:59]
	s_waitcnt vmcnt(0)
	ds_write_b128 v28, v[60:63]
	s_waitcnt lgkmcnt(0)
	s_barrier
	ds_read_b128 v[0:3], v26 offset:896
	ds_read_b128 v[56:59], v29
	ds_read_b128 v[60:63], v29 offset:4608
	ds_read_b128 v[64:67], v29 offset:9216
	;; [unrolled: 1-line block ×4, first 2 shown]
	s_waitcnt lgkmcnt(4)
	;;#ASMSTART
	v_dot2_f32_f16 v52, v56, v0, v52
	;;#ASMEND
	s_nop 0
	;;#ASMSTART
	v_dot2_f32_f16 v52, v57, v1, v52
	;;#ASMEND
	s_nop 0
	;; [unrolled: 4-line block ×3, first 2 shown]
	;;#ASMSTART
	v_dot2_f32_f16 v52, v59, v3, v52
	;;#ASMEND
	s_waitcnt lgkmcnt(0)
	;;#ASMSTART
	v_dot2_f32_f16 v22, v56, v72, v22
	;;#ASMEND
	s_nop 0
	;;#ASMSTART
	v_dot2_f32_f16 v22, v57, v73, v22
	;;#ASMEND
	s_nop 0
	;;#ASMSTART
	v_dot2_f32_f16 v22, v58, v74, v22
	;;#ASMEND
	s_nop 0
	;;#ASMSTART
	v_dot2_f32_f16 v22, v59, v75, v22
	;;#ASMEND
	;;#ASMSTART
	v_dot2_f32_f16 v53, v60, v0, v53
	;;#ASMEND
	s_nop 0
	;;#ASMSTART
	v_dot2_f32_f16 v53, v61, v1, v53
	;;#ASMEND
	s_nop 0
	;;#ASMSTART
	v_dot2_f32_f16 v53, v62, v2, v53
	;;#ASMEND
	s_nop 0
	;;#ASMSTART
	v_dot2_f32_f16 v53, v63, v3, v53
	;;#ASMEND
	;;#ASMSTART
	v_dot2_f32_f16 v23, v60, v72, v23
	;;#ASMEND
	s_nop 0
	;;#ASMSTART
	v_dot2_f32_f16 v23, v61, v73, v23
	;;#ASMEND
	s_nop 0
	;;#ASMSTART
	v_dot2_f32_f16 v23, v62, v74, v23
	;;#ASMEND
	s_nop 0
	;;#ASMSTART
	v_dot2_f32_f16 v23, v63, v75, v23
	;;#ASMEND
	;;#ASMSTART
	v_dot2_f32_f16 v54, v64, v0, v54
	;;#ASMEND
	s_nop 0
	;;#ASMSTART
	v_dot2_f32_f16 v54, v65, v1, v54
	;;#ASMEND
	s_nop 0
	;;#ASMSTART
	v_dot2_f32_f16 v54, v66, v2, v54
	;;#ASMEND
	s_nop 0
	;;#ASMSTART
	v_dot2_f32_f16 v54, v67, v3, v54
	;;#ASMEND
	;;#ASMSTART
	v_dot2_f32_f16 v50, v64, v72, v50
	;;#ASMEND
	s_nop 0
	;;#ASMSTART
	v_dot2_f32_f16 v50, v65, v73, v50
	;;#ASMEND
	s_nop 0
	;;#ASMSTART
	v_dot2_f32_f16 v50, v66, v74, v50
	;;#ASMEND
	s_nop 0
	;;#ASMSTART
	v_dot2_f32_f16 v50, v67, v75, v50
	;;#ASMEND
	;;#ASMSTART
	v_dot2_f32_f16 v55, v68, v0, v55
	;;#ASMEND
	s_nop 0
	;;#ASMSTART
	v_dot2_f32_f16 v55, v69, v1, v55
	;;#ASMEND
	s_nop 0
	;;#ASMSTART
	v_dot2_f32_f16 v55, v70, v2, v55
	;;#ASMEND
	s_nop 0
	;;#ASMSTART
	v_dot2_f32_f16 v55, v71, v3, v55
	;;#ASMEND
	;;#ASMSTART
	v_dot2_f32_f16 v51, v68, v72, v51
	;;#ASMEND
	s_nop 0
	;;#ASMSTART
	v_dot2_f32_f16 v51, v69, v73, v51
	;;#ASMEND
	s_nop 0
	;;#ASMSTART
	v_dot2_f32_f16 v51, v70, v74, v51
	;;#ASMEND
	s_nop 0
	;;#ASMSTART
	v_dot2_f32_f16 v51, v71, v75, v51
	;;#ASMEND
	ds_read_b128 v[0:3], v26 offset:912
	ds_read_b128 v[56:59], v29 offset:16
	;; [unrolled: 1-line block ×6, first 2 shown]
	s_waitcnt lgkmcnt(4)
	;;#ASMSTART
	v_dot2_f32_f16 v52, v56, v0, v52
	;;#ASMEND
	s_nop 0
	;;#ASMSTART
	v_dot2_f32_f16 v52, v57, v1, v52
	;;#ASMEND
	s_nop 0
	;; [unrolled: 4-line block ×3, first 2 shown]
	;;#ASMSTART
	v_dot2_f32_f16 v52, v59, v3, v52
	;;#ASMEND
	s_waitcnt lgkmcnt(0)
	;;#ASMSTART
	v_dot2_f32_f16 v22, v56, v72, v22
	;;#ASMEND
	s_nop 0
	;;#ASMSTART
	v_dot2_f32_f16 v22, v57, v73, v22
	;;#ASMEND
	s_nop 0
	;;#ASMSTART
	v_dot2_f32_f16 v22, v58, v74, v22
	;;#ASMEND
	s_nop 0
	;;#ASMSTART
	v_dot2_f32_f16 v22, v59, v75, v22
	;;#ASMEND
	;;#ASMSTART
	v_dot2_f32_f16 v53, v60, v0, v53
	;;#ASMEND
	s_nop 0
	;;#ASMSTART
	v_dot2_f32_f16 v53, v61, v1, v53
	;;#ASMEND
	s_nop 0
	;;#ASMSTART
	v_dot2_f32_f16 v53, v62, v2, v53
	;;#ASMEND
	s_nop 0
	;;#ASMSTART
	v_dot2_f32_f16 v53, v63, v3, v53
	;;#ASMEND
	;; [unrolled: 15-line block ×7, first 2 shown]
	ds_read_b128 v[0:3], v26 offset:928
	ds_read_b128 v[56:59], v29 offset:32
	;; [unrolled: 1-line block ×6, first 2 shown]
	s_waitcnt lgkmcnt(4)
	;;#ASMSTART
	v_dot2_f32_f16 v52, v56, v0, v52
	;;#ASMEND
	s_nop 0
	;;#ASMSTART
	v_dot2_f32_f16 v52, v57, v1, v52
	;;#ASMEND
	s_nop 0
	;; [unrolled: 4-line block ×3, first 2 shown]
	;;#ASMSTART
	v_dot2_f32_f16 v52, v59, v3, v52
	;;#ASMEND
	s_waitcnt lgkmcnt(0)
	;;#ASMSTART
	v_dot2_f32_f16 v22, v56, v72, v22
	;;#ASMEND
	s_nop 0
	;;#ASMSTART
	v_dot2_f32_f16 v22, v57, v73, v22
	;;#ASMEND
	s_nop 0
	;;#ASMSTART
	v_dot2_f32_f16 v22, v58, v74, v22
	;;#ASMEND
	s_nop 0
	;;#ASMSTART
	v_dot2_f32_f16 v22, v59, v75, v22
	;;#ASMEND
	;;#ASMSTART
	v_dot2_f32_f16 v53, v60, v0, v53
	;;#ASMEND
	s_nop 0
	;;#ASMSTART
	v_dot2_f32_f16 v53, v61, v1, v53
	;;#ASMEND
	s_nop 0
	;;#ASMSTART
	v_dot2_f32_f16 v53, v62, v2, v53
	;;#ASMEND
	s_nop 0
	;;#ASMSTART
	v_dot2_f32_f16 v53, v63, v3, v53
	;;#ASMEND
	;; [unrolled: 15-line block ×7, first 2 shown]
	ds_read_b128 v[0:3], v26 offset:944
	ds_read_b128 v[56:59], v29 offset:48
	ds_read_b128 v[60:63], v29 offset:4656
	ds_read_b128 v[64:67], v29 offset:9264
	ds_read_b128 v[68:71], v29 offset:13872
	ds_read_b128 v[72:75], v26 offset:1968
	s_waitcnt lgkmcnt(4)
	;;#ASMSTART
	v_dot2_f32_f16 v52, v56, v0, v52
	;;#ASMEND
	s_nop 0
	;;#ASMSTART
	v_dot2_f32_f16 v52, v57, v1, v52
	;;#ASMEND
	s_nop 0
	;; [unrolled: 4-line block ×3, first 2 shown]
	;;#ASMSTART
	v_dot2_f32_f16 v52, v59, v3, v52
	;;#ASMEND
	s_waitcnt lgkmcnt(0)
	;;#ASMSTART
	v_dot2_f32_f16 v22, v56, v72, v22
	;;#ASMEND
	s_nop 0
	;;#ASMSTART
	v_dot2_f32_f16 v22, v57, v73, v22
	;;#ASMEND
	s_nop 0
	;;#ASMSTART
	v_dot2_f32_f16 v22, v58, v74, v22
	;;#ASMEND
	s_nop 0
	;;#ASMSTART
	v_dot2_f32_f16 v22, v59, v75, v22
	;;#ASMEND
	;;#ASMSTART
	v_dot2_f32_f16 v53, v60, v0, v53
	;;#ASMEND
	s_nop 0
	;;#ASMSTART
	v_dot2_f32_f16 v53, v61, v1, v53
	;;#ASMEND
	s_nop 0
	;;#ASMSTART
	v_dot2_f32_f16 v53, v62, v2, v53
	;;#ASMEND
	s_nop 0
	;;#ASMSTART
	v_dot2_f32_f16 v53, v63, v3, v53
	;;#ASMEND
	;; [unrolled: 15-line block ×7, first 2 shown]
	ds_read_b128 v[0:3], v26 offset:960
	ds_read_b128 v[56:59], v29 offset:64
	;; [unrolled: 1-line block ×6, first 2 shown]
	s_waitcnt lgkmcnt(4)
	;;#ASMSTART
	v_dot2_f32_f16 v52, v56, v0, v52
	;;#ASMEND
	s_nop 0
	;;#ASMSTART
	v_dot2_f32_f16 v52, v57, v1, v52
	;;#ASMEND
	s_nop 0
	;; [unrolled: 4-line block ×3, first 2 shown]
	;;#ASMSTART
	v_dot2_f32_f16 v52, v59, v3, v52
	;;#ASMEND
	s_waitcnt lgkmcnt(0)
	;;#ASMSTART
	v_dot2_f32_f16 v22, v56, v72, v22
	;;#ASMEND
	s_nop 0
	;;#ASMSTART
	v_dot2_f32_f16 v22, v57, v73, v22
	;;#ASMEND
	s_nop 0
	;;#ASMSTART
	v_dot2_f32_f16 v22, v58, v74, v22
	;;#ASMEND
	s_nop 0
	;;#ASMSTART
	v_dot2_f32_f16 v22, v59, v75, v22
	;;#ASMEND
	;;#ASMSTART
	v_dot2_f32_f16 v53, v60, v0, v53
	;;#ASMEND
	s_nop 0
	;;#ASMSTART
	v_dot2_f32_f16 v53, v61, v1, v53
	;;#ASMEND
	s_nop 0
	;;#ASMSTART
	v_dot2_f32_f16 v53, v62, v2, v53
	;;#ASMEND
	s_nop 0
	;;#ASMSTART
	v_dot2_f32_f16 v53, v63, v3, v53
	;;#ASMEND
	;; [unrolled: 15-line block ×7, first 2 shown]
	ds_read_b128 v[0:3], v26 offset:976
	ds_read_b128 v[56:59], v29 offset:80
	;; [unrolled: 1-line block ×6, first 2 shown]
	s_waitcnt lgkmcnt(4)
	;;#ASMSTART
	v_dot2_f32_f16 v52, v56, v0, v52
	;;#ASMEND
	s_nop 0
	;;#ASMSTART
	v_dot2_f32_f16 v52, v57, v1, v52
	;;#ASMEND
	s_nop 0
	;; [unrolled: 4-line block ×3, first 2 shown]
	;;#ASMSTART
	v_dot2_f32_f16 v52, v59, v3, v52
	;;#ASMEND
	s_waitcnt lgkmcnt(0)
	;;#ASMSTART
	v_dot2_f32_f16 v22, v56, v72, v22
	;;#ASMEND
	s_nop 0
	;;#ASMSTART
	v_dot2_f32_f16 v22, v57, v73, v22
	;;#ASMEND
	s_nop 0
	;;#ASMSTART
	v_dot2_f32_f16 v22, v58, v74, v22
	;;#ASMEND
	s_nop 0
	;;#ASMSTART
	v_dot2_f32_f16 v22, v59, v75, v22
	;;#ASMEND
	;;#ASMSTART
	v_dot2_f32_f16 v53, v60, v0, v53
	;;#ASMEND
	s_nop 0
	;;#ASMSTART
	v_dot2_f32_f16 v53, v61, v1, v53
	;;#ASMEND
	s_nop 0
	;;#ASMSTART
	v_dot2_f32_f16 v53, v62, v2, v53
	;;#ASMEND
	s_nop 0
	;;#ASMSTART
	v_dot2_f32_f16 v53, v63, v3, v53
	;;#ASMEND
	;; [unrolled: 15-line block ×7, first 2 shown]
	ds_read_b128 v[0:3], v26 offset:992
	ds_read_b128 v[56:59], v29 offset:96
	;; [unrolled: 1-line block ×6, first 2 shown]
	s_waitcnt lgkmcnt(4)
	;;#ASMSTART
	v_dot2_f32_f16 v52, v56, v0, v52
	;;#ASMEND
	s_nop 0
	;;#ASMSTART
	v_dot2_f32_f16 v52, v57, v1, v52
	;;#ASMEND
	s_nop 0
	;; [unrolled: 4-line block ×3, first 2 shown]
	;;#ASMSTART
	v_dot2_f32_f16 v52, v59, v3, v52
	;;#ASMEND
	s_waitcnt lgkmcnt(0)
	;;#ASMSTART
	v_dot2_f32_f16 v22, v56, v72, v22
	;;#ASMEND
	s_nop 0
	;;#ASMSTART
	v_dot2_f32_f16 v22, v57, v73, v22
	;;#ASMEND
	s_nop 0
	;;#ASMSTART
	v_dot2_f32_f16 v22, v58, v74, v22
	;;#ASMEND
	s_nop 0
	;;#ASMSTART
	v_dot2_f32_f16 v22, v59, v75, v22
	;;#ASMEND
	;;#ASMSTART
	v_dot2_f32_f16 v53, v60, v0, v53
	;;#ASMEND
	s_nop 0
	;;#ASMSTART
	v_dot2_f32_f16 v53, v61, v1, v53
	;;#ASMEND
	s_nop 0
	;;#ASMSTART
	v_dot2_f32_f16 v53, v62, v2, v53
	;;#ASMEND
	s_nop 0
	;;#ASMSTART
	v_dot2_f32_f16 v53, v63, v3, v53
	;;#ASMEND
	;; [unrolled: 15-line block ×7, first 2 shown]
	ds_read_b128 v[0:3], v26 offset:1008
	ds_read_b128 v[56:59], v29 offset:112
	;; [unrolled: 1-line block ×6, first 2 shown]
	s_waitcnt lgkmcnt(4)
	;;#ASMSTART
	v_dot2_f32_f16 v52, v56, v0, v52
	;;#ASMEND
	s_nop 0
	;;#ASMSTART
	v_dot2_f32_f16 v52, v57, v1, v52
	;;#ASMEND
	s_nop 0
	;; [unrolled: 4-line block ×3, first 2 shown]
	;;#ASMSTART
	v_dot2_f32_f16 v52, v59, v3, v52
	;;#ASMEND
	s_waitcnt lgkmcnt(0)
	;;#ASMSTART
	v_dot2_f32_f16 v22, v56, v72, v22
	;;#ASMEND
                                        ; implicit-def: $vgpr56
	s_nop 0
	;;#ASMSTART
	v_dot2_f32_f16 v22, v57, v73, v22
	;;#ASMEND
	v_cmp_nlt_f32_e64 s[6:7], |v52|, s8
	;;#ASMSTART
	v_dot2_f32_f16 v22, v58, v74, v22
	;;#ASMEND
	s_nop 0
	;;#ASMSTART
	v_dot2_f32_f16 v22, v59, v75, v22
	;;#ASMEND
	;;#ASMSTART
	v_dot2_f32_f16 v53, v60, v0, v53
	;;#ASMEND
	s_nop 0
	;;#ASMSTART
	v_dot2_f32_f16 v53, v61, v1, v53
	;;#ASMEND
	s_nop 0
	;;#ASMSTART
	v_dot2_f32_f16 v53, v62, v2, v53
	;;#ASMEND
	s_nop 0
	;;#ASMSTART
	v_dot2_f32_f16 v53, v63, v3, v53
	;;#ASMEND
	;;#ASMSTART
	v_dot2_f32_f16 v23, v60, v72, v23
	;;#ASMEND
	s_nop 0
	;;#ASMSTART
	v_dot2_f32_f16 v23, v61, v73, v23
	;;#ASMEND
	s_nop 0
	;; [unrolled: 15-line block ×6, first 2 shown]
	;;#ASMSTART
	v_dot2_f32_f16 v51, v70, v74, v51
	;;#ASMEND
	s_nop 0
	;;#ASMSTART
	v_dot2_f32_f16 v51, v71, v75, v51
	;;#ASMEND
	s_and_saveexec_b64 s[34:35], s[6:7]
	s_xor_b64 s[6:7], exec, s[34:35]
	s_cbranch_execz .LBB26_23
; %bb.22:                               ;   in Loop: Header=BB26_21 Depth=1
	v_add_f32_e64 v0, |v52|, |v52|
	v_mul_f32_e32 v1, 0x3fb8aa3b, v0
	v_rndne_f32_e32 v2, v1
	v_sub_f32_e32 v3, v1, v2
	v_fma_f32 v1, v0, s9, -v1
	v_fmac_f32_e32 v1, 0x32a5705f, v0
	v_add_f32_e32 v1, v3, v1
	v_cvt_i32_f32_e32 v2, v2
	v_exp_f32_e32 v1, v1
	v_cmp_ngt_f32_e32 vcc, s21, v0
	v_ldexp_f32 v1, v1, v2
	s_nop 0
	v_cndmask_b32_e32 v1, 0, v1, vcc
	v_cmp_nlt_f32_e32 vcc, s28, v0
	s_nop 1
	v_cndmask_b32_e32 v0, v35, v1, vcc
	v_add_f32_e32 v0, 1.0, v0
	v_rcp_f32_e32 v0, v0
	s_nop 0
	v_fma_f32 v56, v0, -2.0, 1.0
.LBB26_23:                              ;   in Loop: Header=BB26_21 Depth=1
	s_andn2_saveexec_b64 s[6:7], s[6:7]
; %bb.24:                               ;   in Loop: Header=BB26_21 Depth=1
	v_mul_f32_e32 v0, v52, v52
	v_fmamk_f32 v1, v0, 0xbbbac73d, v34
	v_fmaak_f32 v1, v0, v1, 0xbd5c1c4e
	v_fmaak_f32 v1, v0, v1, 0x3e088382
	;; [unrolled: 1-line block ×3, first 2 shown]
	v_mul_f32_e64 v1, |v52|, v1
	v_fma_f32 v56, v0, v1, |v52|
; %bb.25:                               ;   in Loop: Header=BB26_21 Depth=1
	s_or_b64 exec, exec, s[6:7]
	v_add_u32_e32 v0, s2, v18
	v_ashrrev_i32_e32 v1, 31, v0
	v_lshl_add_u64 v[0:1], v[0:1], 1, s[26:27]
	global_load_ushort v2, v[0:1], off
	v_cmp_nlt_f32_e64 s[6:7], |v53|, s8
                                        ; implicit-def: $vgpr57
	s_and_saveexec_b64 s[34:35], s[6:7]
	s_xor_b64 s[6:7], exec, s[34:35]
	s_cbranch_execz .LBB26_27
; %bb.26:                               ;   in Loop: Header=BB26_21 Depth=1
	v_add_f32_e64 v3, |v53|, |v53|
	v_mul_f32_e32 v57, 0x3fb8aa3b, v3
	v_rndne_f32_e32 v58, v57
	v_sub_f32_e32 v59, v57, v58
	v_fma_f32 v57, v3, s9, -v57
	v_fmac_f32_e32 v57, 0x32a5705f, v3
	v_add_f32_e32 v57, v59, v57
	v_cvt_i32_f32_e32 v58, v58
	v_exp_f32_e32 v57, v57
	v_cmp_ngt_f32_e32 vcc, s21, v3
	v_ldexp_f32 v57, v57, v58
	s_nop 0
	v_cndmask_b32_e32 v57, 0, v57, vcc
	v_cmp_nlt_f32_e32 vcc, s28, v3
	s_nop 1
	v_cndmask_b32_e32 v3, v35, v57, vcc
	v_add_f32_e32 v3, 1.0, v3
	v_rcp_f32_e32 v3, v3
	s_nop 0
	v_fma_f32 v57, v3, -2.0, 1.0
.LBB26_27:                              ;   in Loop: Header=BB26_21 Depth=1
	s_andn2_saveexec_b64 s[6:7], s[6:7]
; %bb.28:                               ;   in Loop: Header=BB26_21 Depth=1
	v_mul_f32_e32 v3, v53, v53
	v_fmamk_f32 v57, v3, 0xbbbac73d, v34
	v_fmaak_f32 v57, v3, v57, 0xbd5c1c4e
	v_fmaak_f32 v57, v3, v57, 0x3e088382
	;; [unrolled: 1-line block ×3, first 2 shown]
	v_mul_f32_e64 v57, |v53|, v57
	v_fma_f32 v57, v3, v57, |v53|
; %bb.29:                               ;   in Loop: Header=BB26_21 Depth=1
	s_or_b64 exec, exec, s[6:7]
	global_load_ushort v3, v[0:1], off offset:64
	v_cmp_nlt_f32_e64 s[6:7], |v54|, s8
                                        ; implicit-def: $vgpr59
	s_and_saveexec_b64 s[34:35], s[6:7]
	s_xor_b64 s[6:7], exec, s[34:35]
	s_cbranch_execz .LBB26_31
; %bb.30:                               ;   in Loop: Header=BB26_21 Depth=1
	v_add_f32_e64 v58, |v54|, |v54|
	v_mul_f32_e32 v59, 0x3fb8aa3b, v58
	v_rndne_f32_e32 v60, v59
	v_sub_f32_e32 v61, v59, v60
	v_fma_f32 v59, v58, s9, -v59
	v_fmac_f32_e32 v59, 0x32a5705f, v58
	v_add_f32_e32 v59, v61, v59
	v_cvt_i32_f32_e32 v60, v60
	v_exp_f32_e32 v59, v59
	v_cmp_ngt_f32_e32 vcc, s21, v58
	v_ldexp_f32 v59, v59, v60
	s_nop 0
	v_cndmask_b32_e32 v59, 0, v59, vcc
	v_cmp_nlt_f32_e32 vcc, s28, v58
	s_nop 1
	v_cndmask_b32_e32 v58, v35, v59, vcc
	v_add_f32_e32 v58, 1.0, v58
	v_rcp_f32_e32 v58, v58
	s_nop 0
	v_fma_f32 v59, v58, -2.0, 1.0
.LBB26_31:                              ;   in Loop: Header=BB26_21 Depth=1
	s_andn2_saveexec_b64 s[6:7], s[6:7]
; %bb.32:                               ;   in Loop: Header=BB26_21 Depth=1
	v_mul_f32_e32 v58, v54, v54
	v_fmamk_f32 v59, v58, 0xbbbac73d, v34
	v_fmaak_f32 v59, v58, v59, 0xbd5c1c4e
	v_fmaak_f32 v59, v58, v59, 0x3e088382
	v_fmaak_f32 v59, v58, v59, 0xbeaaaa99
	v_mul_f32_e64 v59, |v54|, v59
	v_fma_f32 v59, v58, v59, |v54|
; %bb.33:                               ;   in Loop: Header=BB26_21 Depth=1
	s_or_b64 exec, exec, s[6:7]
	global_load_ushort v58, v[0:1], off offset:128
	v_cmp_nlt_f32_e64 s[6:7], |v55|, s8
                                        ; implicit-def: $vgpr62
	s_and_saveexec_b64 s[34:35], s[6:7]
	s_xor_b64 s[6:7], exec, s[34:35]
	s_cbranch_execz .LBB26_35
; %bb.34:                               ;   in Loop: Header=BB26_21 Depth=1
	v_add_f32_e64 v60, |v55|, |v55|
	v_mul_f32_e32 v61, 0x3fb8aa3b, v60
	v_rndne_f32_e32 v62, v61
	v_sub_f32_e32 v63, v61, v62
	v_fma_f32 v61, v60, s9, -v61
	v_fmac_f32_e32 v61, 0x32a5705f, v60
	v_add_f32_e32 v61, v63, v61
	v_cvt_i32_f32_e32 v62, v62
	v_exp_f32_e32 v61, v61
	v_cmp_ngt_f32_e32 vcc, s21, v60
	v_ldexp_f32 v61, v61, v62
	s_nop 0
	v_cndmask_b32_e32 v61, 0, v61, vcc
	v_cmp_nlt_f32_e32 vcc, s28, v60
	s_nop 1
	v_cndmask_b32_e32 v60, v35, v61, vcc
	v_add_f32_e32 v60, 1.0, v60
	v_rcp_f32_e32 v60, v60
	s_nop 0
	v_fma_f32 v62, v60, -2.0, 1.0
.LBB26_35:                              ;   in Loop: Header=BB26_21 Depth=1
	s_andn2_saveexec_b64 s[6:7], s[6:7]
; %bb.36:                               ;   in Loop: Header=BB26_21 Depth=1
	v_mul_f32_e32 v60, v55, v55
	v_fmamk_f32 v61, v60, 0xbbbac73d, v34
	v_fmaak_f32 v61, v60, v61, 0xbd5c1c4e
	v_fmaak_f32 v61, v60, v61, 0x3e088382
	;; [unrolled: 1-line block ×3, first 2 shown]
	v_mul_f32_e64 v61, |v55|, v61
	v_fma_f32 v62, v60, v61, |v55|
; %bb.37:                               ;   in Loop: Header=BB26_21 Depth=1
	s_or_b64 exec, exec, s[6:7]
	global_load_ushort v64, v[0:1], off offset:192
	v_bfi_b32 v0, s29, v56, v52
	s_waitcnt vmcnt(3)
	v_fma_mix_f32 v60, s10, v0, v2 op_sel_hi:[0,0,1]
	v_bfi_b32 v0, s29, v57, v53
	s_waitcnt vmcnt(2)
	v_fma_mix_f32 v0, s10, v0, v3 op_sel_hi:[0,0,1]
	v_add_f32_e32 v1, 0x40051340, v60
	v_add_f32_e32 v52, 0x40051340, v0
	v_max3_f32 v53, v49, v1, v52
	v_bfi_b32 v1, s29, v59, v54
	s_waitcnt vmcnt(1)
	v_fma_mix_f32 v59, s10, v1, v58 op_sel_hi:[0,0,1]
	v_and_b32_e32 v1, 0x60, v19
	v_add_u32_e32 v52, 32, v1
	v_xor_b32_e32 v57, 16, v19
	v_cmp_lt_i32_e32 vcc, v57, v52
	v_add_f32_e32 v54, 0x40051340, v59
	v_cmp_nlt_f32_e64 s[6:7], |v22|, s8
	v_cndmask_b32_e32 v1, v19, v57, vcc
	v_lshlrev_b32_e32 v61, 2, v1
	v_bfi_b32 v1, s29, v62, v55
                                        ; implicit-def: $vgpr69
	s_waitcnt vmcnt(0)
	v_fma_mix_f32 v1, s10, v1, v64 op_sel_hi:[0,0,1]
	v_add_f32_e32 v55, 0x40051340, v1
	v_max3_f32 v54, v53, v54, v55
	ds_bpermute_b32 v55, v61, v54
	v_xor_b32_e32 v53, 8, v19
	v_cmp_lt_i32_e32 vcc, v53, v52
	s_waitcnt lgkmcnt(0)
	v_max_f32_e32 v55, v55, v55
	v_cndmask_b32_e32 v56, v19, v53, vcc
	v_lshlrev_b32_e32 v63, 2, v56
	v_max_f32_e32 v55, v54, v55
	ds_bpermute_b32 v56, v63, v55
	v_xor_b32_e32 v54, 4, v19
	v_cmp_lt_i32_e32 vcc, v54, v52
	s_waitcnt lgkmcnt(0)
	v_max_f32_e32 v56, v56, v56
	v_cndmask_b32_e32 v62, v19, v54, vcc
	v_lshlrev_b32_e32 v65, 2, v62
	v_max_f32_e32 v56, v55, v56
	;; [unrolled: 8-line block ×4, first 2 shown]
	ds_bpermute_b32 v68, v62, v67
	s_and_saveexec_b64 s[34:35], s[6:7]
	s_xor_b64 s[6:7], exec, s[34:35]
	s_cbranch_execz .LBB26_39
; %bb.38:                               ;   in Loop: Header=BB26_21 Depth=1
	v_add_f32_e64 v69, |v22|, |v22|
	v_mul_f32_e32 v70, 0x3fb8aa3b, v69
	v_rndne_f32_e32 v71, v70
	v_sub_f32_e32 v72, v70, v71
	v_fma_f32 v70, v69, s9, -v70
	v_fmac_f32_e32 v70, 0x32a5705f, v69
	v_add_f32_e32 v70, v72, v70
	v_cvt_i32_f32_e32 v71, v71
	v_exp_f32_e32 v70, v70
	v_cmp_ngt_f32_e32 vcc, s21, v69
	v_ldexp_f32 v70, v70, v71
	s_nop 0
	v_cndmask_b32_e32 v70, 0, v70, vcc
	v_cmp_nlt_f32_e32 vcc, s28, v69
	s_nop 1
	v_cndmask_b32_e32 v69, v35, v70, vcc
	v_add_f32_e32 v69, 1.0, v69
	v_rcp_f32_e32 v69, v69
	s_nop 0
	v_fma_f32 v69, v69, -2.0, 1.0
.LBB26_39:                              ;   in Loop: Header=BB26_21 Depth=1
	s_andn2_saveexec_b64 s[6:7], s[6:7]
; %bb.40:                               ;   in Loop: Header=BB26_21 Depth=1
	v_mul_f32_e32 v69, v22, v22
	v_fmamk_f32 v70, v69, 0xbbbac73d, v34
	v_fmaak_f32 v70, v69, v70, 0xbd5c1c4e
	v_fmaak_f32 v70, v69, v70, 0x3e088382
	v_fmaak_f32 v70, v69, v70, 0xbeaaaa99
	v_mul_f32_e64 v70, |v22|, v70
	v_fma_f32 v69, v69, v70, |v22|
; %bb.41:                               ;   in Loop: Header=BB26_21 Depth=1
	s_or_b64 exec, exec, s[6:7]
	v_cmp_nlt_f32_e64 s[6:7], |v23|, s8
                                        ; implicit-def: $vgpr70
	s_and_saveexec_b64 s[34:35], s[6:7]
	s_xor_b64 s[6:7], exec, s[34:35]
	s_cbranch_execz .LBB26_43
; %bb.42:                               ;   in Loop: Header=BB26_21 Depth=1
	v_add_f32_e64 v70, |v23|, |v23|
	v_mul_f32_e32 v71, 0x3fb8aa3b, v70
	v_rndne_f32_e32 v72, v71
	v_sub_f32_e32 v73, v71, v72
	v_fma_f32 v71, v70, s9, -v71
	v_fmac_f32_e32 v71, 0x32a5705f, v70
	v_add_f32_e32 v71, v73, v71
	v_cvt_i32_f32_e32 v72, v72
	v_exp_f32_e32 v71, v71
	v_cmp_ngt_f32_e32 vcc, s21, v70
	v_ldexp_f32 v71, v71, v72
	s_nop 0
	v_cndmask_b32_e32 v71, 0, v71, vcc
	v_cmp_nlt_f32_e32 vcc, s28, v70
	s_nop 1
	v_cndmask_b32_e32 v70, v35, v71, vcc
	v_add_f32_e32 v70, 1.0, v70
	v_rcp_f32_e32 v70, v70
	s_nop 0
	v_fma_f32 v70, v70, -2.0, 1.0
.LBB26_43:                              ;   in Loop: Header=BB26_21 Depth=1
	s_andn2_saveexec_b64 s[6:7], s[6:7]
; %bb.44:                               ;   in Loop: Header=BB26_21 Depth=1
	v_mul_f32_e32 v70, v23, v23
	v_fmamk_f32 v71, v70, 0xbbbac73d, v34
	v_fmaak_f32 v71, v70, v71, 0xbd5c1c4e
	v_fmaak_f32 v71, v70, v71, 0x3e088382
	;; [unrolled: 1-line block ×3, first 2 shown]
	v_mul_f32_e64 v71, |v23|, v71
	v_fma_f32 v70, v70, v71, |v23|
; %bb.45:                               ;   in Loop: Header=BB26_21 Depth=1
	s_or_b64 exec, exec, s[6:7]
	v_cmp_nlt_f32_e64 s[6:7], |v50|, s8
                                        ; implicit-def: $vgpr71
	s_and_saveexec_b64 s[34:35], s[6:7]
	s_xor_b64 s[6:7], exec, s[34:35]
	s_cbranch_execz .LBB26_47
; %bb.46:                               ;   in Loop: Header=BB26_21 Depth=1
	v_add_f32_e64 v71, |v50|, |v50|
	v_mul_f32_e32 v72, 0x3fb8aa3b, v71
	v_rndne_f32_e32 v73, v72
	v_sub_f32_e32 v74, v72, v73
	v_fma_f32 v72, v71, s9, -v72
	v_fmac_f32_e32 v72, 0x32a5705f, v71
	v_add_f32_e32 v72, v74, v72
	v_cvt_i32_f32_e32 v73, v73
	v_exp_f32_e32 v72, v72
	v_cmp_ngt_f32_e32 vcc, s21, v71
	v_ldexp_f32 v72, v72, v73
	s_nop 0
	v_cndmask_b32_e32 v72, 0, v72, vcc
	v_cmp_nlt_f32_e32 vcc, s28, v71
	s_nop 1
	v_cndmask_b32_e32 v71, v35, v72, vcc
	v_add_f32_e32 v71, 1.0, v71
	v_rcp_f32_e32 v71, v71
	s_nop 0
	v_fma_f32 v71, v71, -2.0, 1.0
.LBB26_47:                              ;   in Loop: Header=BB26_21 Depth=1
	s_andn2_saveexec_b64 s[6:7], s[6:7]
; %bb.48:                               ;   in Loop: Header=BB26_21 Depth=1
	v_mul_f32_e32 v71, v50, v50
	v_fmamk_f32 v72, v71, 0xbbbac73d, v34
	v_fmaak_f32 v72, v71, v72, 0xbd5c1c4e
	v_fmaak_f32 v72, v71, v72, 0x3e088382
	;; [unrolled: 1-line block ×3, first 2 shown]
	v_mul_f32_e64 v72, |v50|, v72
	v_fma_f32 v71, v71, v72, |v50|
; %bb.49:                               ;   in Loop: Header=BB26_21 Depth=1
	s_or_b64 exec, exec, s[6:7]
	v_cmp_nlt_f32_e64 s[6:7], |v51|, s8
                                        ; implicit-def: $vgpr72
	s_and_saveexec_b64 s[34:35], s[6:7]
	s_xor_b64 s[6:7], exec, s[34:35]
	s_cbranch_execz .LBB26_51
; %bb.50:                               ;   in Loop: Header=BB26_21 Depth=1
	v_add_f32_e64 v72, |v51|, |v51|
	v_mul_f32_e32 v73, 0x3fb8aa3b, v72
	v_rndne_f32_e32 v74, v73
	v_sub_f32_e32 v75, v73, v74
	v_fma_f32 v73, v72, s9, -v73
	v_fmac_f32_e32 v73, 0x32a5705f, v72
	v_add_f32_e32 v73, v75, v73
	v_cvt_i32_f32_e32 v74, v74
	v_exp_f32_e32 v73, v73
	v_cmp_ngt_f32_e32 vcc, s21, v72
	v_ldexp_f32 v73, v73, v74
	s_nop 0
	v_cndmask_b32_e32 v73, 0, v73, vcc
	v_cmp_nlt_f32_e32 vcc, s28, v72
	s_nop 1
	v_cndmask_b32_e32 v72, v35, v73, vcc
	v_add_f32_e32 v72, 1.0, v72
	v_rcp_f32_e32 v72, v72
	s_nop 0
	v_fma_f32 v72, v72, -2.0, 1.0
.LBB26_51:                              ;   in Loop: Header=BB26_21 Depth=1
	s_andn2_saveexec_b64 s[6:7], s[6:7]
; %bb.52:                               ;   in Loop: Header=BB26_21 Depth=1
	v_mul_f32_e32 v72, v51, v51
	v_fmamk_f32 v73, v72, 0xbbbac73d, v34
	v_fmaak_f32 v73, v72, v73, 0xbd5c1c4e
	v_fmaak_f32 v73, v72, v73, 0x3e088382
	;; [unrolled: 1-line block ×3, first 2 shown]
	v_mul_f32_e64 v73, |v51|, v73
	v_fma_f32 v72, v72, v73, |v51|
; %bb.53:                               ;   in Loop: Header=BB26_21 Depth=1
	s_or_b64 exec, exec, s[6:7]
	v_cvt_f32_f16_e32 v73, v2
	v_cvt_f32_f16_e32 v3, v3
	;; [unrolled: 1-line block ×4, first 2 shown]
	v_bfi_b32 v2, s29, v69, v22
	v_bfi_b32 v22, s29, v70, v23
	v_fmac_f32_e32 v73, s10, v2
	v_fmac_f32_e32 v3, s10, v22
	v_add_f32_e32 v2, 0x40051340, v73
	v_add_f32_e32 v22, 0x40051340, v3
	v_max3_f32 v2, v4, v2, v22
	v_bfi_b32 v22, s29, v71, v50
	v_bfi_b32 v23, s29, v72, v51
	v_fmac_f32_e32 v74, s10, v22
	v_fmac_f32_e32 v64, s10, v23
	v_add_f32_e32 v22, 0x40051340, v74
	v_add_f32_e32 v23, 0x40051340, v64
	v_max3_f32 v2, v2, v22, v23
	ds_bpermute_b32 v22, v61, v2
	s_waitcnt lgkmcnt(1)
	v_max_f32_e32 v23, v68, v68
	v_max_f32_e32 v50, v67, v67
	s_mul_hi_i32 s7, s2, s11
	s_mul_i32 s6, s2, s11
	s_waitcnt lgkmcnt(0)
	v_max_f32_e32 v22, v22, v22
	v_max_f32_e32 v2, v2, v22
	ds_bpermute_b32 v22, v63, v2
	s_waitcnt lgkmcnt(0)
	s_barrier
	v_max_f32_e32 v22, v22, v22
	v_max_f32_e32 v2, v2, v22
	ds_bpermute_b32 v22, v65, v2
	s_waitcnt lgkmcnt(0)
	v_max_f32_e32 v22, v22, v22
	v_max_f32_e32 v2, v2, v22
	ds_bpermute_b32 v51, v66, v2
	v_max_f32_e32 v22, v50, v23
	v_sub_f32_e32 v50, v60, v22
	v_mul_f32_e32 v23, 0x3fb8aa3b, v50
	v_fma_f32 v58, v50, s9, -v23
	s_waitcnt lgkmcnt(0)
	v_max_f32_e32 v51, v51, v51
	v_max_f32_e32 v2, v2, v51
	ds_bpermute_b32 v51, v62, v2
	v_rndne_f32_e32 v60, v23
	v_fmac_f32_e32 v58, 0x32a5705f, v50
	v_sub_f32_e32 v61, v23, v60
	v_cmp_ngt_f32_e32 vcc, s21, v50
	s_waitcnt lgkmcnt(0)
	v_max_f32_e32 v23, v51, v51
	v_max_f32_e32 v23, v2, v23
	v_add_f32_e32 v2, v61, v58
	v_exp_f32_e32 v2, v2
	v_cvt_i32_f32_e32 v51, v60
	v_sub_f32_e32 v1, v1, v22
	v_sub_f32_e32 v49, v49, v22
	;; [unrolled: 1-line block ×3, first 2 shown]
	v_ldexp_f32 v2, v2, v51
	v_sub_f32_e32 v51, v0, v22
	v_mul_f32_e32 v0, 0x3fb8aa3b, v51
	v_fma_f32 v58, v51, s9, -v0
	v_rndne_f32_e32 v60, v0
	v_fmac_f32_e32 v58, 0x32a5705f, v51
	v_sub_f32_e32 v0, v0, v60
	v_add_f32_e32 v0, v0, v58
	v_exp_f32_e32 v58, v0
	v_cvt_i32_f32_e32 v60, v60
	v_cndmask_b32_e32 v0, 0, v2, vcc
	v_cmp_nlt_f32_e32 vcc, s28, v50
	v_sub_f32_e32 v50, v59, v22
	v_ldexp_f32 v2, v58, v60
	v_mul_f32_e32 v58, 0x3fb8aa3b, v50
	v_fma_f32 v59, v50, s9, -v58
	v_rndne_f32_e32 v60, v58
	v_fmac_f32_e32 v59, 0x32a5705f, v50
	v_sub_f32_e32 v58, v58, v60
	v_add_f32_e32 v58, v58, v59
	v_exp_f32_e32 v58, v58
	v_cvt_i32_f32_e32 v59, v60
	v_cndmask_b32_e32 v0, v35, v0, vcc
	v_cmp_ngt_f32_e32 vcc, s21, v51
	v_sub_f32_e32 v4, v4, v23
	s_nop 0
	v_cndmask_b32_e32 v2, 0, v2, vcc
	v_cmp_nlt_f32_e32 vcc, s28, v51
	v_ldexp_f32 v51, v58, v59
	v_mul_f32_e32 v58, 0x3fb8aa3b, v1
	v_fma_f32 v59, v1, s9, -v58
	v_rndne_f32_e32 v60, v58
	v_fmac_f32_e32 v59, 0x32a5705f, v1
	v_sub_f32_e32 v58, v58, v60
	v_add_f32_e32 v58, v58, v59
	v_cvt_i32_f32_e32 v59, v60
	v_mul_f32_e32 v60, 0x3fb8aa3b, v49
	v_fma_f32 v61, v49, s9, -v60
	v_rndne_f32_e32 v62, v60
	v_fmac_f32_e32 v61, 0x32a5705f, v49
	v_sub_f32_e32 v60, v60, v62
	v_add_f32_e32 v60, v60, v61
	v_exp_f32_e32 v58, v58
	v_exp_f32_e32 v60, v60
	v_cvt_i32_f32_e32 v61, v62
	v_cndmask_b32_e32 v2, v35, v2, vcc
	v_cmp_ngt_f32_e32 vcc, s21, v50
	v_lshl_add_u64 v[62:63], s[6:7], 2, v[20:21]
	s_or_b32 s6, s2, 16
	v_cndmask_b32_e32 v51, 0, v51, vcc
	v_cmp_nlt_f32_e32 vcc, s28, v50
	s_mul_hi_i32 s7, s6, s11
	s_mul_i32 s6, s6, s11
	v_cndmask_b32_e32 v50, v35, v51, vcc
	v_ldexp_f32 v51, v58, v59
	v_ldexp_f32 v58, v60, v61
	v_cmp_ngt_f32_e32 vcc, s21, v49
	v_mul_f32_e32 v59, 0x3fb8aa3b, v3
	v_fma_f32 v61, v3, s9, -v59
	v_cndmask_b32_e32 v58, 0, v58, vcc
	v_cmp_nlt_f32_e32 vcc, s28, v49
	v_fmac_f32_e32 v61, 0x32a5705f, v3
	s_nop 0
	v_cndmask_b32_e32 v58, v35, v58, vcc
	v_cvt_f16_f32_e32 v49, v58
	v_cmp_ngt_f32_e32 vcc, s21, v1
	v_mul_u32_u24_e32 v66, 0x10001, v49
	s_nop 0
	v_cndmask_b32_e32 v51, 0, v51, vcc
	v_cmp_nlt_f32_e32 vcc, s28, v1
	v_sub_f32_e32 v1, v73, v23
	v_pk_mul_f16 v71, v44, v66
	v_mul_f32_e32 v44, 0x3fb8aa3b, v1
	v_pk_mul_f16 v69, v46, v66
	v_pk_mul_f16 v70, v45, v66
	v_fma_f32 v45, v1, s9, -v44
	v_rndne_f32_e32 v46, v44
	v_fmac_f32_e32 v45, 0x32a5705f, v1
	v_sub_f32_e32 v44, v44, v46
	v_add_f32_e32 v44, v44, v45
	v_exp_f32_e32 v44, v44
	v_cvt_i32_f32_e32 v45, v46
	v_cndmask_b32_e32 v60, v35, v51, vcc
	v_pk_mul_f16 v67, v48, v66
	v_pk_mul_f16 v68, v47, v66
	;; [unrolled: 1-line block ×4, first 2 shown]
	v_ldexp_f32 v51, v44, v45
	global_load_dwordx4 v[42:45], v[62:63], off
	global_load_dwordx4 v[46:49], v[62:63], off offset:512
	v_rndne_f32_e32 v62, v59
	v_sub_f32_e32 v59, v59, v62
	v_add_f32_e32 v59, v59, v61
	v_exp_f32_e32 v59, v59
	v_cvt_i32_f32_e32 v61, v62
	v_cmp_ngt_f32_e32 vcc, s21, v1
	s_nop 1
	v_cndmask_b32_e32 v51, 0, v51, vcc
	v_cmp_nlt_f32_e32 vcc, s28, v1
	s_nop 1
	v_cndmask_b32_e32 v1, v35, v51, vcc
	v_ldexp_f32 v51, v59, v61
	v_sub_f32_e32 v59, v74, v23
	v_mul_f32_e32 v61, 0x3fb8aa3b, v59
	v_fma_f32 v62, v59, s9, -v61
	v_rndne_f32_e32 v63, v61
	v_fmac_f32_e32 v62, 0x32a5705f, v59
	v_sub_f32_e32 v61, v61, v63
	v_add_f32_e32 v61, v61, v62
	v_exp_f32_e32 v61, v61
	v_cvt_i32_f32_e32 v62, v63
	v_cmp_ngt_f32_e32 vcc, s21, v3
	s_nop 1
	v_cndmask_b32_e32 v51, 0, v51, vcc
	v_cmp_nlt_f32_e32 vcc, s28, v3
	s_nop 1
	v_cndmask_b32_e32 v3, v35, v51, vcc
	v_ldexp_f32 v51, v61, v62
	v_sub_f32_e32 v61, v64, v23
	v_mul_f32_e32 v62, 0x3fb8aa3b, v61
	v_fma_f32 v63, v61, s9, -v62
	v_rndne_f32_e32 v64, v62
	v_fmac_f32_e32 v63, 0x32a5705f, v61
	v_sub_f32_e32 v62, v62, v64
	v_add_f32_e32 v62, v62, v63
	v_exp_f32_e32 v62, v62
	v_cvt_i32_f32_e32 v63, v64
	v_cmp_ngt_f32_e32 vcc, s21, v59
	s_nop 1
	v_cndmask_b32_e32 v51, 0, v51, vcc
	v_cmp_nlt_f32_e32 vcc, s28, v59
	v_ldexp_f32 v59, v62, v63
	v_mul_f32_e32 v62, 0x3fb8aa3b, v4
	v_fma_f32 v63, v4, s9, -v62
	v_rndne_f32_e32 v64, v62
	v_fmac_f32_e32 v63, 0x32a5705f, v4
	v_sub_f32_e32 v62, v62, v64
	v_add_f32_e32 v62, v62, v63
	v_exp_f32_e32 v62, v62
	v_cvt_i32_f32_e32 v63, v64
	v_cndmask_b32_e32 v51, v35, v51, vcc
	v_cmp_ngt_f32_e32 vcc, s21, v61
	s_nop 1
	v_cndmask_b32_e32 v59, 0, v59, vcc
	v_cmp_nlt_f32_e32 vcc, s28, v61
	s_nop 1
	v_cndmask_b32_e32 v61, v35, v59, vcc
	v_ldexp_f32 v59, v62, v63
	v_cmp_ngt_f32_e32 vcc, s21, v4
	v_pk_add_f32 v[62:63], v[0:1], v[2:3]
	v_cvt_pk_f16_f32 v0, v0, v1
	v_cndmask_b32_e32 v59, 0, v59, vcc
	v_cmp_nlt_f32_e32 vcc, s28, v4
	v_pk_add_f32 v[62:63], v[50:51], v[62:63]
	v_cvt_pk_f16_f32 v1, v2, v3
	v_cndmask_b32_e32 v59, v35, v59, vcc
	v_cvt_f16_f32_e32 v4, v59
	v_pk_add_f32 v[62:63], v[60:61], v[62:63]
	v_mul_u32_u24_e32 v74, 0x10001, v4
	v_add_u32_e32 v4, v30, v25
	ds_write2_b32 v4, v0, v1 offset1:32
	v_cvt_pk_f16_f32 v0, v50, v51
	v_cvt_pk_f16_f32 v1, v60, v61
	v_pk_fma_f32 v[10:11], v[10:11], v[58:59], v[62:63]
	v_pk_mul_f16 v75, v7, v74
	v_pk_mul_f16 v76, v6, v74
	;; [unrolled: 1-line block ×3, first 2 shown]
	ds_write2_b32 v4, v0, v1 offset0:64 offset1:96
	s_waitcnt vmcnt(1)
	ds_write_b128 v31, v[42:45]
	s_waitcnt vmcnt(0)
	ds_write_b128 v32, v[46:49]
	s_waitcnt lgkmcnt(0)
	s_barrier
	ds_read2_b64 v[42:45], v33 offset1:32
	ds_read_b128 v[46:49], v30
	ds_read2_b64 v[58:61], v33 offset0:64 offset1:96
	ds_read_b128 v[62:65], v30 offset:16
	ds_read_b128 v[4:7], v30 offset:32
	;; [unrolled: 1-line block ×3, first 2 shown]
	s_waitcnt lgkmcnt(4)
	v_mul_u32_u24_sdwa v50, v46, s31 dst_sel:DWORD dst_unused:UNUSED_PAD src0_sel:WORD_0 src1_sel:DWORD
	v_mul_u32_u24_sdwa v46, v46, s31 dst_sel:DWORD dst_unused:UNUSED_PAD src0_sel:WORD_1 src1_sel:DWORD
	v_pk_mul_f16 v51, v42, v50
	v_pk_mul_f16 v39, v39, v74
	;; [unrolled: 1-line block ×4, first 2 shown]
	v_pk_fma_f16 v51, v41, v66, v51
	v_pk_mul_f16 v41, v42, v46
	v_pk_mul_f16 v40, v40, v74
	v_pk_fma_f16 v66, v37, v74, v41
	v_pk_fma_f16 v68, v44, v50, v68
	;; [unrolled: 1-line block ×5, first 2 shown]
	s_waitcnt lgkmcnt(3)
	v_pk_fma_f16 v71, v59, v50, v71
	v_pk_fma_f16 v59, v59, v46, v36
	ds_read2_b64 v[36:39], v33 offset0:128 offset1:160
	v_pk_fma_f16 v67, v43, v50, v67
	v_pk_fma_f16 v74, v43, v46, v40
	ds_read2_b64 v[40:43], v33 offset0:192 offset1:224
	v_pk_fma_f16 v70, v58, v50, v70
	v_pk_fma_f16 v58, v58, v46, v75
	;; [unrolled: 1-line block ×6, first 2 shown]
	v_mul_u32_u24_sdwa v61, v47, s31 dst_sel:DWORD dst_unused:UNUSED_PAD src0_sel:WORD_0 src1_sel:DWORD
	v_mul_u32_u24_sdwa v47, v47, s31 dst_sel:DWORD dst_unused:UNUSED_PAD src0_sel:WORD_1 src1_sel:DWORD
	s_waitcnt lgkmcnt(1)
	v_pk_fma_f16 v51, v36, v61, v51
	v_pk_fma_f16 v66, v36, v47, v66
	v_add_u32_e32 v36, 0x800, v33
	v_pk_fma_f16 v67, v37, v61, v67
	v_pk_fma_f16 v37, v37, v47, v74
	v_pk_fma_f16 v68, v38, v61, v68
	v_pk_fma_f16 v73, v38, v47, v44
	v_pk_fma_f16 v69, v39, v61, v69
	v_pk_fma_f16 v74, v39, v47, v45
	s_waitcnt lgkmcnt(0)
	v_pk_fma_f16 v70, v40, v61, v70
	v_pk_fma_f16 v58, v40, v47, v58
	;; [unrolled: 1-line block ×4, first 2 shown]
	ds_read2_b64 v[38:41], v36 offset1:32
	v_pk_fma_f16 v72, v42, v61, v72
	v_pk_fma_f16 v60, v42, v47, v60
	;; [unrolled: 1-line block ×4, first 2 shown]
	ds_read2_b64 v[42:45], v36 offset0:64 offset1:96
	v_mul_u32_u24_sdwa v47, v48, s31 dst_sel:DWORD dst_unused:UNUSED_PAD src0_sel:WORD_0 src1_sel:DWORD
	v_mul_u32_u24_sdwa v48, v48, s31 dst_sel:DWORD dst_unused:UNUSED_PAD src0_sel:WORD_1 src1_sel:DWORD
	s_waitcnt lgkmcnt(1)
	v_pk_fma_f16 v51, v38, v47, v51
	v_pk_fma_f16 v61, v38, v48, v66
	;; [unrolled: 1-line block ×8, first 2 shown]
	ds_read2_b64 v[38:41], v36 offset0:128 offset1:160
	s_waitcnt lgkmcnt(1)
	v_pk_fma_f16 v70, v42, v47, v70
	v_pk_fma_f16 v58, v42, v48, v58
	;; [unrolled: 1-line block ×8, first 2 shown]
	ds_read2_b64 v[42:45], v36 offset0:192 offset1:224
	v_mul_u32_u24_sdwa v48, v49, s31 dst_sel:DWORD dst_unused:UNUSED_PAD src0_sel:WORD_0 src1_sel:DWORD
	v_mul_u32_u24_sdwa v49, v49, s31 dst_sel:DWORD dst_unused:UNUSED_PAD src0_sel:WORD_1 src1_sel:DWORD
	s_waitcnt lgkmcnt(1)
	v_pk_fma_f16 v50, v38, v48, v51
	v_pk_fma_f16 v51, v38, v49, v61
	v_pk_fma_f16 v61, v39, v48, v66
	v_pk_fma_f16 v66, v39, v49, v37
	v_add_u32_e32 v37, 0x1000, v33
	v_pk_fma_f16 v67, v40, v48, v67
	v_pk_fma_f16 v68, v40, v49, v68
	v_pk_fma_f16 v69, v41, v48, v69
	v_pk_fma_f16 v73, v41, v49, v73
	ds_read2_b64 v[38:41], v37 offset1:32
	s_waitcnt lgkmcnt(1)
	v_pk_fma_f16 v70, v42, v48, v70
	v_pk_fma_f16 v58, v42, v49, v58
	;; [unrolled: 1-line block ×8, first 2 shown]
	ds_read2_b64 v[42:45], v37 offset0:64 offset1:96
	v_mul_u32_u24_sdwa v48, v62, s31 dst_sel:DWORD dst_unused:UNUSED_PAD src0_sel:WORD_0 src1_sel:DWORD
	v_mul_u32_u24_sdwa v49, v62, s31 dst_sel:DWORD dst_unused:UNUSED_PAD src0_sel:WORD_1 src1_sel:DWORD
	s_waitcnt lgkmcnt(1)
	v_pk_fma_f16 v50, v38, v48, v50
	v_pk_fma_f16 v51, v38, v49, v51
	;; [unrolled: 1-line block ×8, first 2 shown]
	ds_read2_b64 v[38:41], v37 offset0:128 offset1:160
	s_waitcnt lgkmcnt(1)
	v_pk_fma_f16 v70, v42, v48, v70
	v_pk_fma_f16 v58, v42, v49, v58
	;; [unrolled: 1-line block ×8, first 2 shown]
	ds_read2_b64 v[42:45], v37 offset0:192 offset1:224
	v_mul_u32_u24_sdwa v48, v63, s31 dst_sel:DWORD dst_unused:UNUSED_PAD src0_sel:WORD_0 src1_sel:DWORD
	v_mul_u32_u24_sdwa v49, v63, s31 dst_sel:DWORD dst_unused:UNUSED_PAD src0_sel:WORD_1 src1_sel:DWORD
	s_waitcnt lgkmcnt(1)
	v_pk_fma_f16 v50, v38, v48, v50
	v_pk_fma_f16 v51, v38, v49, v51
	v_add_u32_e32 v38, 0x1800, v33
	v_pk_fma_f16 v61, v39, v48, v61
	v_pk_fma_f16 v39, v39, v49, v62
	v_pk_fma_f16 v62, v40, v48, v66
	v_pk_fma_f16 v63, v40, v49, v67
	v_pk_fma_f16 v66, v41, v48, v68
	v_pk_fma_f16 v67, v41, v49, v69
	s_waitcnt lgkmcnt(0)
	v_pk_fma_f16 v68, v42, v48, v70
	v_pk_fma_f16 v58, v42, v49, v58
	v_pk_fma_f16 v69, v43, v48, v71
	v_pk_fma_f16 v59, v43, v49, v59
	ds_read2_b64 v[40:43], v38 offset1:32
	v_pk_fma_f16 v70, v44, v48, v72
	v_pk_fma_f16 v60, v44, v49, v60
	;; [unrolled: 1-line block ×4, first 2 shown]
	ds_read2_b64 v[44:47], v38 offset0:64 offset1:96
	v_mul_u32_u24_sdwa v71, v64, s31 dst_sel:DWORD dst_unused:UNUSED_PAD src0_sel:WORD_0 src1_sel:DWORD
	v_mul_u32_u24_sdwa v64, v64, s31 dst_sel:DWORD dst_unused:UNUSED_PAD src0_sel:WORD_1 src1_sel:DWORD
	s_waitcnt lgkmcnt(1)
	v_pk_fma_f16 v50, v40, v71, v50
	v_pk_fma_f16 v51, v40, v64, v51
	;; [unrolled: 1-line block ×8, first 2 shown]
	ds_read2_b64 v[40:43], v38 offset0:128 offset1:160
	s_waitcnt lgkmcnt(1)
	v_pk_fma_f16 v68, v44, v71, v68
	v_pk_fma_f16 v58, v44, v64, v58
	v_pk_fma_f16 v69, v45, v71, v69
	v_pk_fma_f16 v59, v45, v64, v59
	v_pk_fma_f16 v70, v46, v71, v70
	v_pk_fma_f16 v60, v46, v64, v60
	v_pk_fma_f16 v48, v47, v71, v48
	v_pk_fma_f16 v49, v47, v64, v49
	ds_read2_b64 v[44:47], v38 offset0:192 offset1:224
	v_mul_u32_u24_sdwa v64, v65, s31 dst_sel:DWORD dst_unused:UNUSED_PAD src0_sel:WORD_0 src1_sel:DWORD
	v_mul_u32_u24_sdwa v65, v65, s31 dst_sel:DWORD dst_unused:UNUSED_PAD src0_sel:WORD_1 src1_sel:DWORD
	s_waitcnt lgkmcnt(1)
	v_pk_fma_f16 v71, v41, v65, v39
	v_add_u32_e32 v39, 0x2000, v33
	v_pk_fma_f16 v50, v40, v64, v50
	v_pk_fma_f16 v51, v40, v65, v51
	;; [unrolled: 1-line block ×7, first 2 shown]
	ds_read2_b64 v[40:43], v39 offset1:32
	s_waitcnt lgkmcnt(1)
	v_pk_fma_f16 v68, v44, v64, v68
	v_pk_fma_f16 v58, v44, v65, v58
	;; [unrolled: 1-line block ×8, first 2 shown]
	ds_read2_b64 v[44:47], v39 offset0:64 offset1:96
	v_mul_u32_u24_sdwa v64, v4, s31 dst_sel:DWORD dst_unused:UNUSED_PAD src0_sel:WORD_0 src1_sel:DWORD
	v_mul_u32_u24_sdwa v4, v4, s31 dst_sel:DWORD dst_unused:UNUSED_PAD src0_sel:WORD_1 src1_sel:DWORD
	s_waitcnt lgkmcnt(1)
	v_pk_fma_f16 v50, v40, v64, v50
	v_pk_fma_f16 v51, v40, v4, v51
	;; [unrolled: 1-line block ×8, first 2 shown]
	ds_read2_b64 v[40:43], v39 offset0:128 offset1:160
	s_waitcnt lgkmcnt(1)
	v_pk_fma_f16 v68, v44, v64, v68
	v_pk_fma_f16 v58, v44, v4, v58
	;; [unrolled: 1-line block ×8, first 2 shown]
	ds_read2_b64 v[44:47], v39 offset0:192 offset1:224
	v_mul_u32_u24_sdwa v49, v5, s31 dst_sel:DWORD dst_unused:UNUSED_PAD src0_sel:WORD_0 src1_sel:DWORD
	v_mul_u32_u24_sdwa v5, v5, s31 dst_sel:DWORD dst_unused:UNUSED_PAD src0_sel:WORD_1 src1_sel:DWORD
	s_waitcnt lgkmcnt(1)
	v_pk_fma_f16 v50, v40, v49, v50
	v_pk_fma_f16 v51, v40, v5, v51
	v_add_u32_e32 v40, 0x2800, v33
	v_pk_fma_f16 v61, v41, v49, v61
	v_pk_fma_f16 v41, v41, v5, v65
	v_pk_fma_f16 v62, v42, v49, v62
	v_pk_fma_f16 v63, v42, v5, v63
	v_pk_fma_f16 v64, v43, v49, v66
	v_pk_fma_f16 v65, v43, v5, v67
	s_waitcnt lgkmcnt(0)
	v_pk_fma_f16 v66, v44, v49, v68
	v_pk_fma_f16 v58, v44, v5, v58
	;; [unrolled: 1-line block ×4, first 2 shown]
	ds_read2_b64 v[42:45], v40 offset1:32
	v_pk_fma_f16 v68, v46, v49, v70
	v_pk_fma_f16 v60, v46, v5, v60
	v_pk_fma_f16 v69, v47, v49, v48
	v_pk_fma_f16 v4, v47, v5, v4
	ds_read2_b64 v[46:49], v40 offset0:64 offset1:96
	v_mul_u32_u24_sdwa v5, v6, s31 dst_sel:DWORD dst_unused:UNUSED_PAD src0_sel:WORD_0 src1_sel:DWORD
	v_mul_u32_u24_sdwa v6, v6, s31 dst_sel:DWORD dst_unused:UNUSED_PAD src0_sel:WORD_1 src1_sel:DWORD
	s_waitcnt lgkmcnt(1)
	v_pk_fma_f16 v50, v42, v5, v50
	v_pk_fma_f16 v51, v42, v6, v51
	;; [unrolled: 1-line block ×8, first 2 shown]
	ds_read2_b64 v[42:45], v40 offset0:128 offset1:160
	s_waitcnt lgkmcnt(1)
	v_pk_fma_f16 v66, v46, v5, v66
	v_pk_fma_f16 v58, v46, v6, v58
	;; [unrolled: 1-line block ×8, first 2 shown]
	ds_read2_b64 v[46:49], v40 offset0:192 offset1:224
	v_mul_u32_u24_sdwa v100, v7, s31 dst_sel:DWORD dst_unused:UNUSED_PAD src0_sel:WORD_0 src1_sel:DWORD
	v_mul_u32_u24_sdwa v101, v7, s31 dst_sel:DWORD dst_unused:UNUSED_PAD src0_sel:WORD_1 src1_sel:DWORD
	s_waitcnt lgkmcnt(1)
	v_pk_fma_f16 v50, v42, v100, v50
	v_pk_fma_f16 v51, v42, v101, v51
	;; [unrolled: 1-line block ×8, first 2 shown]
	v_add_u32_e32 v42, 0x3000, v33
	v_add_u32_e32 v41, 0x3800, v33
	v_lshl_add_u64 v[44:45], s[6:7], 2, v[20:21]
	s_waitcnt lgkmcnt(0)
	v_pk_fma_f16 v107, v46, v100, v66
	v_pk_fma_f16 v46, v46, v101, v58
	ds_read2_b64 v[4:7], v42 offset1:32
	ds_read2_b64 v[58:61], v42 offset0:64 offset1:96
	ds_read2_b64 v[62:65], v42 offset0:128 offset1:160
	;; [unrolled: 1-line block ×3, first 2 shown]
	ds_read2_b64 v[70:73], v41 offset1:32
	ds_read2_b64 v[74:77], v41 offset0:64 offset1:96
	ds_read2_b64 v[78:81], v41 offset0:128 offset1:160
	;; [unrolled: 1-line block ×3, first 2 shown]
	s_waitcnt lgkmcnt(0)
	s_barrier
	global_load_dwordx4 v[86:89], v[44:45], off
	global_load_dwordx4 v[90:93], v[44:45], off offset:512
	v_pk_fma_f16 v44, v47, v100, v94
	v_pk_fma_f16 v45, v47, v101, v95
	v_pk_fma_f16 v47, v48, v100, v96
	v_pk_fma_f16 v48, v48, v101, v97
	v_pk_fma_f16 v94, v49, v100, v98
	v_pk_fma_f16 v49, v49, v101, v99
	v_mul_u32_u24_sdwa v95, v0, s31 dst_sel:DWORD dst_unused:UNUSED_PAD src0_sel:WORD_0 src1_sel:DWORD
	v_mul_u32_u24_sdwa v0, v0, s31 dst_sel:DWORD dst_unused:UNUSED_PAD src0_sel:WORD_1 src1_sel:DWORD
	v_pk_fma_f16 v50, v4, v95, v50
	v_pk_fma_f16 v4, v4, v0, v51
	v_pk_fma_f16 v51, v5, v95, v102
	v_pk_fma_f16 v5, v5, v0, v43
	v_pk_fma_f16 v43, v6, v95, v103
	v_pk_fma_f16 v6, v6, v0, v104
	v_pk_fma_f16 v96, v7, v95, v105
	v_pk_fma_f16 v7, v7, v0, v106
	v_pk_fma_f16 v97, v58, v95, v107
	v_pk_fma_f16 v46, v58, v0, v46
	v_pk_fma_f16 v44, v59, v95, v44
	v_pk_fma_f16 v45, v59, v0, v45
	v_pk_fma_f16 v47, v60, v95, v47
	v_pk_fma_f16 v48, v60, v0, v48
	v_pk_fma_f16 v58, v61, v95, v94
	v_pk_fma_f16 v0, v61, v0, v49
	v_mul_u32_u24_sdwa v49, v1, s31 dst_sel:DWORD dst_unused:UNUSED_PAD src0_sel:WORD_0 src1_sel:DWORD
	v_mul_u32_u24_sdwa v1, v1, s31 dst_sel:DWORD dst_unused:UNUSED_PAD src0_sel:WORD_1 src1_sel:DWORD
	v_pk_fma_f16 v50, v62, v49, v50
	v_pk_fma_f16 v4, v62, v1, v4
	v_pk_fma_f16 v51, v63, v49, v51
	v_pk_fma_f16 v5, v63, v1, v5
	v_pk_fma_f16 v43, v64, v49, v43
	v_pk_fma_f16 v6, v64, v1, v6
	v_pk_fma_f16 v59, v65, v49, v96
	v_pk_fma_f16 v7, v65, v1, v7
	v_pk_fma_f16 v60, v66, v49, v97
	v_pk_fma_f16 v46, v66, v1, v46
	;; [unrolled: 18-line block ×4, first 2 shown]
	v_pk_fma_f16 v75, v83, v2, v44
	v_pk_fma_f16 v76, v83, v3, v45
	;; [unrolled: 1-line block ×6, first 2 shown]
	s_waitcnt vmcnt(1)
	ds_write_b128 v31, v[86:89]
	s_waitcnt vmcnt(0)
	ds_write_b128 v32, v[90:93]
	s_waitcnt lgkmcnt(0)
	s_barrier
	ds_read2_b64 v[44:47], v33 offset1:32
	ds_read_b128 v[48:51], v30 offset:64
	ds_read2_b64 v[58:61], v33 offset0:64 offset1:96
	ds_read_b128 v[62:65], v30 offset:80
	ds_read_b128 v[4:7], v30 offset:96
	;; [unrolled: 1-line block ×3, first 2 shown]
	s_waitcnt lgkmcnt(4)
	v_mul_u32_u24_sdwa v81, v48, s31 dst_sel:DWORD dst_unused:UNUSED_PAD src0_sel:WORD_0 src1_sel:DWORD
	v_mul_u32_u24_sdwa v48, v48, s31 dst_sel:DWORD dst_unused:UNUSED_PAD src0_sel:WORD_1 src1_sel:DWORD
	v_pk_fma_f16 v66, v44, v81, v66
	v_pk_fma_f16 v67, v44, v48, v67
	v_pk_fma_f16 v68, v45, v81, v68
	v_pk_fma_f16 v69, v45, v48, v69
	v_pk_fma_f16 v43, v46, v81, v43
	v_pk_fma_f16 v70, v46, v48, v70
	v_pk_fma_f16 v71, v47, v81, v71
	v_pk_fma_f16 v72, v47, v48, v72
	s_waitcnt lgkmcnt(3)
	v_pk_fma_f16 v73, v58, v81, v73
	v_pk_fma_f16 v74, v58, v48, v74
	v_pk_fma_f16 v75, v59, v81, v75
	v_pk_fma_f16 v76, v59, v48, v76
	v_pk_fma_f16 v77, v60, v81, v77
	v_pk_fma_f16 v78, v60, v48, v78
	v_pk_fma_f16 v79, v61, v81, v79
	ds_read2_b64 v[44:47], v33 offset0:128 offset1:160
	v_pk_fma_f16 v48, v61, v48, v80
	ds_read2_b64 v[58:61], v33 offset0:192 offset1:224
	v_mul_u32_u24_sdwa v80, v49, s31 dst_sel:DWORD dst_unused:UNUSED_PAD src0_sel:WORD_0 src1_sel:DWORD
	v_mul_u32_u24_sdwa v49, v49, s31 dst_sel:DWORD dst_unused:UNUSED_PAD src0_sel:WORD_1 src1_sel:DWORD
	s_waitcnt lgkmcnt(1)
	v_pk_fma_f16 v66, v44, v80, v66
	v_pk_fma_f16 v67, v44, v49, v67
	v_pk_fma_f16 v68, v45, v80, v68
	v_pk_fma_f16 v69, v45, v49, v69
	v_pk_fma_f16 v43, v46, v80, v43
	v_pk_fma_f16 v70, v46, v49, v70
	v_pk_fma_f16 v71, v47, v80, v71
	v_pk_fma_f16 v72, v47, v49, v72
	s_waitcnt lgkmcnt(0)
	v_pk_fma_f16 v73, v58, v80, v73
	v_pk_fma_f16 v74, v58, v49, v74
	v_pk_fma_f16 v75, v59, v80, v75
	v_pk_fma_f16 v76, v59, v49, v76
	v_pk_fma_f16 v77, v60, v80, v77
	v_pk_fma_f16 v78, v60, v49, v78
	v_pk_fma_f16 v79, v61, v80, v79
	ds_read2_b64 v[44:47], v36 offset1:32
	v_pk_fma_f16 v48, v61, v49, v48
	ds_read2_b64 v[58:61], v36 offset0:64 offset1:96
	v_mul_u32_u24_sdwa v49, v50, s31 dst_sel:DWORD dst_unused:UNUSED_PAD src0_sel:WORD_0 src1_sel:DWORD
	v_mul_u32_u24_sdwa v50, v50, s31 dst_sel:DWORD dst_unused:UNUSED_PAD src0_sel:WORD_1 src1_sel:DWORD
	s_waitcnt lgkmcnt(1)
	v_pk_fma_f16 v66, v44, v49, v66
	v_pk_fma_f16 v67, v44, v50, v67
	v_pk_fma_f16 v68, v45, v49, v68
	v_pk_fma_f16 v69, v45, v50, v69
	v_pk_fma_f16 v43, v46, v49, v43
	v_pk_fma_f16 v70, v46, v50, v70
	v_pk_fma_f16 v71, v47, v49, v71
	v_pk_fma_f16 v72, v47, v50, v72
	s_waitcnt lgkmcnt(0)
	v_pk_fma_f16 v73, v58, v49, v73
	v_pk_fma_f16 v74, v58, v50, v74
	v_pk_fma_f16 v75, v59, v49, v75
	v_pk_fma_f16 v76, v59, v50, v76
	v_pk_fma_f16 v77, v60, v49, v77
	v_pk_fma_f16 v78, v60, v50, v78
	v_pk_fma_f16 v49, v61, v49, v79
	ds_read2_b64 v[44:47], v36 offset0:128 offset1:160
	v_pk_fma_f16 v48, v61, v50, v48
	ds_read2_b64 v[58:61], v36 offset0:192 offset1:224
	v_mul_u32_u24_sdwa v50, v51, s31 dst_sel:DWORD dst_unused:UNUSED_PAD src0_sel:WORD_0 src1_sel:DWORD
	v_mul_u32_u24_sdwa v51, v51, s31 dst_sel:DWORD dst_unused:UNUSED_PAD src0_sel:WORD_1 src1_sel:DWORD
	s_waitcnt lgkmcnt(1)
	v_pk_fma_f16 v66, v44, v50, v66
	v_pk_fma_f16 v67, v44, v51, v67
	v_pk_fma_f16 v68, v45, v50, v68
	v_pk_fma_f16 v69, v45, v51, v69
	v_pk_fma_f16 v43, v46, v50, v43
	v_pk_fma_f16 v70, v46, v51, v70
	v_pk_fma_f16 v71, v47, v50, v71
	v_pk_fma_f16 v72, v47, v51, v72
	s_waitcnt lgkmcnt(0)
	v_pk_fma_f16 v73, v58, v50, v73
	v_pk_fma_f16 v58, v58, v51, v74
	v_pk_fma_f16 v74, v59, v50, v75
	v_pk_fma_f16 v59, v59, v51, v76
	v_pk_fma_f16 v75, v60, v50, v77
	v_pk_fma_f16 v60, v60, v51, v78
	v_pk_fma_f16 v76, v61, v50, v49
	ds_read2_b64 v[44:47], v37 offset1:32
	v_pk_fma_f16 v61, v61, v51, v48
	ds_read2_b64 v[48:51], v37 offset0:64 offset1:96
	v_mul_u32_u24_sdwa v77, v62, s31 dst_sel:DWORD dst_unused:UNUSED_PAD src0_sel:WORD_0 src1_sel:DWORD
	v_mul_u32_u24_sdwa v62, v62, s31 dst_sel:DWORD dst_unused:UNUSED_PAD src0_sel:WORD_1 src1_sel:DWORD
	s_waitcnt lgkmcnt(1)
	;; [unrolled: 44-line block ×5, first 2 shown]
	v_pk_fma_f16 v62, v44, v5, v63
	v_pk_fma_f16 v63, v44, v6, v64
	;; [unrolled: 1-line block ×8, first 2 shown]
	s_waitcnt lgkmcnt(0)
	v_pk_fma_f16 v69, v48, v5, v70
	v_pk_fma_f16 v58, v48, v6, v58
	;; [unrolled: 1-line block ×7, first 2 shown]
	ds_read2_b64 v[44:47], v40 offset0:128 offset1:160
	v_pk_fma_f16 v97, v51, v6, v4
	ds_read2_b64 v[48:51], v40 offset0:192 offset1:224
	s_or_b32 s6, s2, 32
	s_mul_hi_i32 s7, s6, s11
	s_mul_i32 s6, s6, s11
	v_mul_u32_u24_sdwa v98, v7, s31 dst_sel:DWORD dst_unused:UNUSED_PAD src0_sel:WORD_0 src1_sel:DWORD
	v_mul_u32_u24_sdwa v99, v7, s31 dst_sel:DWORD dst_unused:UNUSED_PAD src0_sel:WORD_1 src1_sel:DWORD
	v_lshl_add_u64 v[90:91], s[6:7], 2, v[20:21]
	s_waitcnt lgkmcnt(1)
	v_pk_fma_f16 v100, v44, v98, v62
	v_pk_fma_f16 v101, v44, v99, v63
	;; [unrolled: 1-line block ×8, first 2 shown]
	s_waitcnt lgkmcnt(0)
	v_pk_fma_f16 v107, v48, v98, v69
	v_pk_fma_f16 v48, v48, v99, v58
	ds_read2_b64 v[4:7], v42 offset1:32
	ds_read2_b64 v[44:47], v42 offset0:64 offset1:96
	ds_read2_b64 v[58:61], v42 offset0:128 offset1:160
	;; [unrolled: 1-line block ×3, first 2 shown]
	ds_read2_b64 v[66:69], v41 offset1:32
	ds_read2_b64 v[70:73], v41 offset0:64 offset1:96
	ds_read2_b64 v[74:77], v41 offset0:128 offset1:160
	;; [unrolled: 1-line block ×3, first 2 shown]
	s_waitcnt lgkmcnt(0)
	s_barrier
	global_load_dwordx4 v[82:85], v[90:91], off
	global_load_dwordx4 v[86:89], v[90:91], off offset:512
	v_pk_fma_f16 v90, v49, v98, v92
	v_pk_fma_f16 v49, v49, v99, v93
	v_pk_fma_f16 v91, v50, v98, v94
	v_pk_fma_f16 v50, v50, v99, v95
	v_pk_fma_f16 v92, v51, v98, v96
	v_pk_fma_f16 v51, v51, v99, v97
	v_mul_u32_u24_sdwa v93, v0, s31 dst_sel:DWORD dst_unused:UNUSED_PAD src0_sel:WORD_0 src1_sel:DWORD
	v_mul_u32_u24_sdwa v0, v0, s31 dst_sel:DWORD dst_unused:UNUSED_PAD src0_sel:WORD_1 src1_sel:DWORD
	v_pk_fma_f16 v94, v4, v93, v100
	v_pk_fma_f16 v4, v4, v0, v101
	v_pk_fma_f16 v95, v5, v93, v102
	v_pk_fma_f16 v5, v5, v0, v103
	v_pk_fma_f16 v43, v6, v93, v43
	v_pk_fma_f16 v6, v6, v0, v104
	v_pk_fma_f16 v96, v7, v93, v105
	v_pk_fma_f16 v7, v7, v0, v106
	v_pk_fma_f16 v97, v44, v93, v107
	v_pk_fma_f16 v44, v44, v0, v48
	v_pk_fma_f16 v48, v45, v93, v90
	v_pk_fma_f16 v45, v45, v0, v49
	v_pk_fma_f16 v49, v46, v93, v91
	v_pk_fma_f16 v46, v46, v0, v50
	v_pk_fma_f16 v50, v47, v93, v92
	v_pk_fma_f16 v0, v47, v0, v51
	v_mul_u32_u24_sdwa v47, v1, s31 dst_sel:DWORD dst_unused:UNUSED_PAD src0_sel:WORD_0 src1_sel:DWORD
	v_mul_u32_u24_sdwa v1, v1, s31 dst_sel:DWORD dst_unused:UNUSED_PAD src0_sel:WORD_1 src1_sel:DWORD
	v_pk_fma_f16 v51, v58, v47, v94
	v_pk_fma_f16 v4, v58, v1, v4
	v_pk_fma_f16 v58, v59, v47, v95
	v_pk_fma_f16 v5, v59, v1, v5
	v_pk_fma_f16 v43, v60, v47, v43
	v_pk_fma_f16 v6, v60, v1, v6
	v_pk_fma_f16 v59, v61, v47, v96
	v_pk_fma_f16 v7, v61, v1, v7
	v_pk_fma_f16 v60, v62, v47, v97
	v_pk_fma_f16 v44, v62, v1, v44
	;; [unrolled: 18-line block ×4, first 2 shown]
	v_pk_fma_f16 v75, v79, v2, v48
	v_pk_fma_f16 v76, v79, v3, v45
	;; [unrolled: 1-line block ×6, first 2 shown]
	s_waitcnt vmcnt(1)
	ds_write_b128 v31, v[82:85]
	s_waitcnt vmcnt(0)
	ds_write_b128 v32, v[86:89]
	s_waitcnt lgkmcnt(0)
	s_barrier
	ds_read2_b64 v[44:47], v33 offset1:32
	ds_read_b128 v[48:51], v30 offset:128
	ds_read2_b64 v[58:61], v33 offset0:64 offset1:96
	ds_read_b128 v[62:65], v30 offset:144
	ds_read_b128 v[4:7], v30 offset:160
	;; [unrolled: 1-line block ×3, first 2 shown]
	s_waitcnt lgkmcnt(4)
	v_mul_u32_u24_sdwa v81, v48, s31 dst_sel:DWORD dst_unused:UNUSED_PAD src0_sel:WORD_0 src1_sel:DWORD
	v_mul_u32_u24_sdwa v48, v48, s31 dst_sel:DWORD dst_unused:UNUSED_PAD src0_sel:WORD_1 src1_sel:DWORD
	v_pk_fma_f16 v66, v44, v81, v66
	v_pk_fma_f16 v67, v44, v48, v67
	v_pk_fma_f16 v68, v45, v81, v68
	v_pk_fma_f16 v69, v45, v48, v69
	v_pk_fma_f16 v43, v46, v81, v43
	v_pk_fma_f16 v70, v46, v48, v70
	v_pk_fma_f16 v71, v47, v81, v71
	v_pk_fma_f16 v72, v47, v48, v72
	s_waitcnt lgkmcnt(3)
	v_pk_fma_f16 v73, v58, v81, v73
	v_pk_fma_f16 v74, v58, v48, v74
	v_pk_fma_f16 v75, v59, v81, v75
	v_pk_fma_f16 v76, v59, v48, v76
	v_pk_fma_f16 v77, v60, v81, v77
	v_pk_fma_f16 v78, v60, v48, v78
	v_pk_fma_f16 v79, v61, v81, v79
	ds_read2_b64 v[44:47], v33 offset0:128 offset1:160
	v_pk_fma_f16 v48, v61, v48, v80
	ds_read2_b64 v[58:61], v33 offset0:192 offset1:224
	v_mul_u32_u24_sdwa v80, v49, s31 dst_sel:DWORD dst_unused:UNUSED_PAD src0_sel:WORD_0 src1_sel:DWORD
	v_mul_u32_u24_sdwa v49, v49, s31 dst_sel:DWORD dst_unused:UNUSED_PAD src0_sel:WORD_1 src1_sel:DWORD
	s_waitcnt lgkmcnt(1)
	v_pk_fma_f16 v66, v44, v80, v66
	v_pk_fma_f16 v67, v44, v49, v67
	v_pk_fma_f16 v68, v45, v80, v68
	v_pk_fma_f16 v69, v45, v49, v69
	v_pk_fma_f16 v43, v46, v80, v43
	v_pk_fma_f16 v70, v46, v49, v70
	v_pk_fma_f16 v71, v47, v80, v71
	v_pk_fma_f16 v72, v47, v49, v72
	s_waitcnt lgkmcnt(0)
	v_pk_fma_f16 v73, v58, v80, v73
	v_pk_fma_f16 v74, v58, v49, v74
	v_pk_fma_f16 v75, v59, v80, v75
	v_pk_fma_f16 v76, v59, v49, v76
	v_pk_fma_f16 v77, v60, v80, v77
	v_pk_fma_f16 v78, v60, v49, v78
	v_pk_fma_f16 v79, v61, v80, v79
	ds_read2_b64 v[44:47], v36 offset1:32
	v_pk_fma_f16 v48, v61, v49, v48
	ds_read2_b64 v[58:61], v36 offset0:64 offset1:96
	v_mul_u32_u24_sdwa v49, v50, s31 dst_sel:DWORD dst_unused:UNUSED_PAD src0_sel:WORD_0 src1_sel:DWORD
	v_mul_u32_u24_sdwa v50, v50, s31 dst_sel:DWORD dst_unused:UNUSED_PAD src0_sel:WORD_1 src1_sel:DWORD
	s_waitcnt lgkmcnt(1)
	v_pk_fma_f16 v66, v44, v49, v66
	v_pk_fma_f16 v67, v44, v50, v67
	v_pk_fma_f16 v68, v45, v49, v68
	v_pk_fma_f16 v69, v45, v50, v69
	v_pk_fma_f16 v43, v46, v49, v43
	v_pk_fma_f16 v70, v46, v50, v70
	v_pk_fma_f16 v71, v47, v49, v71
	v_pk_fma_f16 v72, v47, v50, v72
	s_waitcnt lgkmcnt(0)
	v_pk_fma_f16 v73, v58, v49, v73
	v_pk_fma_f16 v74, v58, v50, v74
	v_pk_fma_f16 v75, v59, v49, v75
	v_pk_fma_f16 v76, v59, v50, v76
	v_pk_fma_f16 v77, v60, v49, v77
	v_pk_fma_f16 v78, v60, v50, v78
	v_pk_fma_f16 v49, v61, v49, v79
	ds_read2_b64 v[44:47], v36 offset0:128 offset1:160
	v_pk_fma_f16 v48, v61, v50, v48
	ds_read2_b64 v[58:61], v36 offset0:192 offset1:224
	v_mul_u32_u24_sdwa v50, v51, s31 dst_sel:DWORD dst_unused:UNUSED_PAD src0_sel:WORD_0 src1_sel:DWORD
	v_mul_u32_u24_sdwa v51, v51, s31 dst_sel:DWORD dst_unused:UNUSED_PAD src0_sel:WORD_1 src1_sel:DWORD
	s_waitcnt lgkmcnt(1)
	v_pk_fma_f16 v66, v44, v50, v66
	v_pk_fma_f16 v67, v44, v51, v67
	v_pk_fma_f16 v68, v45, v50, v68
	v_pk_fma_f16 v69, v45, v51, v69
	v_pk_fma_f16 v43, v46, v50, v43
	v_pk_fma_f16 v70, v46, v51, v70
	v_pk_fma_f16 v71, v47, v50, v71
	v_pk_fma_f16 v72, v47, v51, v72
	s_waitcnt lgkmcnt(0)
	v_pk_fma_f16 v73, v58, v50, v73
	v_pk_fma_f16 v58, v58, v51, v74
	v_pk_fma_f16 v74, v59, v50, v75
	v_pk_fma_f16 v59, v59, v51, v76
	v_pk_fma_f16 v75, v60, v50, v77
	v_pk_fma_f16 v60, v60, v51, v78
	v_pk_fma_f16 v76, v61, v50, v49
	ds_read2_b64 v[44:47], v37 offset1:32
	v_pk_fma_f16 v61, v61, v51, v48
	ds_read2_b64 v[48:51], v37 offset0:64 offset1:96
	v_mul_u32_u24_sdwa v77, v62, s31 dst_sel:DWORD dst_unused:UNUSED_PAD src0_sel:WORD_0 src1_sel:DWORD
	v_mul_u32_u24_sdwa v62, v62, s31 dst_sel:DWORD dst_unused:UNUSED_PAD src0_sel:WORD_1 src1_sel:DWORD
	s_waitcnt lgkmcnt(1)
	;; [unrolled: 44-line block ×5, first 2 shown]
	v_pk_fma_f16 v62, v44, v5, v63
	v_pk_fma_f16 v63, v44, v6, v64
	;; [unrolled: 1-line block ×8, first 2 shown]
	s_waitcnt lgkmcnt(0)
	v_pk_fma_f16 v69, v48, v5, v70
	v_pk_fma_f16 v58, v48, v6, v58
	;; [unrolled: 1-line block ×7, first 2 shown]
	ds_read2_b64 v[44:47], v40 offset0:128 offset1:160
	v_pk_fma_f16 v97, v51, v6, v4
	ds_read2_b64 v[48:51], v40 offset0:192 offset1:224
	s_or_b32 s6, s2, 48
	s_mul_hi_i32 s7, s6, s11
	s_mul_i32 s6, s6, s11
	v_mul_u32_u24_sdwa v98, v7, s31 dst_sel:DWORD dst_unused:UNUSED_PAD src0_sel:WORD_0 src1_sel:DWORD
	v_mul_u32_u24_sdwa v99, v7, s31 dst_sel:DWORD dst_unused:UNUSED_PAD src0_sel:WORD_1 src1_sel:DWORD
	v_lshl_add_u64 v[90:91], s[6:7], 2, v[20:21]
	s_waitcnt lgkmcnt(1)
	v_pk_fma_f16 v100, v44, v98, v62
	v_pk_fma_f16 v101, v44, v99, v63
	;; [unrolled: 1-line block ×8, first 2 shown]
	s_waitcnt lgkmcnt(0)
	v_pk_fma_f16 v107, v48, v98, v69
	v_pk_fma_f16 v48, v48, v99, v58
	ds_read2_b64 v[4:7], v42 offset1:32
	ds_read2_b64 v[44:47], v42 offset0:64 offset1:96
	ds_read2_b64 v[58:61], v42 offset0:128 offset1:160
	;; [unrolled: 1-line block ×3, first 2 shown]
	ds_read2_b64 v[66:69], v41 offset1:32
	ds_read2_b64 v[70:73], v41 offset0:64 offset1:96
	ds_read2_b64 v[74:77], v41 offset0:128 offset1:160
	;; [unrolled: 1-line block ×3, first 2 shown]
	s_waitcnt lgkmcnt(0)
	s_barrier
	global_load_dwordx4 v[82:85], v[90:91], off
	global_load_dwordx4 v[86:89], v[90:91], off offset:512
	v_pk_fma_f16 v90, v49, v98, v92
	v_pk_fma_f16 v49, v49, v99, v93
	v_pk_fma_f16 v91, v50, v98, v94
	v_pk_fma_f16 v50, v50, v99, v95
	v_pk_fma_f16 v92, v51, v98, v96
	v_pk_fma_f16 v51, v51, v99, v97
	v_mul_u32_u24_sdwa v93, v0, s31 dst_sel:DWORD dst_unused:UNUSED_PAD src0_sel:WORD_0 src1_sel:DWORD
	v_mul_u32_u24_sdwa v0, v0, s31 dst_sel:DWORD dst_unused:UNUSED_PAD src0_sel:WORD_1 src1_sel:DWORD
	v_pk_fma_f16 v94, v4, v93, v100
	v_pk_fma_f16 v4, v4, v0, v101
	v_pk_fma_f16 v95, v5, v93, v102
	v_pk_fma_f16 v5, v5, v0, v103
	v_pk_fma_f16 v43, v6, v93, v43
	v_pk_fma_f16 v6, v6, v0, v104
	v_pk_fma_f16 v96, v7, v93, v105
	v_pk_fma_f16 v7, v7, v0, v106
	v_pk_fma_f16 v97, v44, v93, v107
	v_pk_fma_f16 v44, v44, v0, v48
	v_pk_fma_f16 v48, v45, v93, v90
	v_pk_fma_f16 v45, v45, v0, v49
	v_pk_fma_f16 v49, v46, v93, v91
	v_pk_fma_f16 v46, v46, v0, v50
	v_pk_fma_f16 v50, v47, v93, v92
	v_pk_fma_f16 v0, v47, v0, v51
	v_mul_u32_u24_sdwa v47, v1, s31 dst_sel:DWORD dst_unused:UNUSED_PAD src0_sel:WORD_0 src1_sel:DWORD
	v_mul_u32_u24_sdwa v1, v1, s31 dst_sel:DWORD dst_unused:UNUSED_PAD src0_sel:WORD_1 src1_sel:DWORD
	v_pk_fma_f16 v51, v58, v47, v94
	v_pk_fma_f16 v4, v58, v1, v4
	v_pk_fma_f16 v58, v59, v47, v95
	v_pk_fma_f16 v5, v59, v1, v5
	v_pk_fma_f16 v43, v60, v47, v43
	v_pk_fma_f16 v6, v60, v1, v6
	v_pk_fma_f16 v59, v61, v47, v96
	v_pk_fma_f16 v7, v61, v1, v7
	v_pk_fma_f16 v60, v62, v47, v97
	v_pk_fma_f16 v44, v62, v1, v44
	;; [unrolled: 18-line block ×4, first 2 shown]
	v_pk_fma_f16 v75, v79, v2, v48
	v_pk_fma_f16 v76, v79, v3, v45
	;; [unrolled: 1-line block ×6, first 2 shown]
	s_waitcnt vmcnt(1)
	ds_write_b128 v31, v[82:85]
	s_waitcnt vmcnt(0)
	ds_write_b128 v32, v[86:89]
	s_waitcnt lgkmcnt(0)
	s_barrier
	ds_read2_b64 v[44:47], v33 offset1:32
	ds_read_b128 v[48:51], v30 offset:192
	ds_read2_b64 v[58:61], v33 offset0:64 offset1:96
	ds_read_b128 v[62:65], v30 offset:208
	ds_read_b128 v[4:7], v30 offset:224
	;; [unrolled: 1-line block ×3, first 2 shown]
	s_waitcnt lgkmcnt(4)
	v_mul_u32_u24_sdwa v81, v48, s31 dst_sel:DWORD dst_unused:UNUSED_PAD src0_sel:WORD_0 src1_sel:DWORD
	v_mul_u32_u24_sdwa v48, v48, s31 dst_sel:DWORD dst_unused:UNUSED_PAD src0_sel:WORD_1 src1_sel:DWORD
	v_pk_fma_f16 v66, v44, v81, v66
	v_pk_fma_f16 v67, v44, v48, v67
	v_pk_fma_f16 v68, v45, v81, v68
	v_pk_fma_f16 v69, v45, v48, v69
	v_pk_fma_f16 v43, v46, v81, v43
	v_pk_fma_f16 v70, v46, v48, v70
	v_pk_fma_f16 v71, v47, v81, v71
	v_pk_fma_f16 v72, v47, v48, v72
	s_waitcnt lgkmcnt(3)
	v_pk_fma_f16 v73, v58, v81, v73
	v_pk_fma_f16 v74, v58, v48, v74
	v_pk_fma_f16 v75, v59, v81, v75
	v_pk_fma_f16 v76, v59, v48, v76
	v_pk_fma_f16 v77, v60, v81, v77
	v_pk_fma_f16 v78, v60, v48, v78
	v_pk_fma_f16 v79, v61, v81, v79
	ds_read2_b64 v[44:47], v33 offset0:128 offset1:160
	v_pk_fma_f16 v48, v61, v48, v80
	ds_read2_b64 v[58:61], v33 offset0:192 offset1:224
	v_mul_u32_u24_sdwa v80, v49, s31 dst_sel:DWORD dst_unused:UNUSED_PAD src0_sel:WORD_0 src1_sel:DWORD
	v_mul_u32_u24_sdwa v49, v49, s31 dst_sel:DWORD dst_unused:UNUSED_PAD src0_sel:WORD_1 src1_sel:DWORD
	s_waitcnt lgkmcnt(1)
	v_pk_fma_f16 v66, v44, v80, v66
	v_pk_fma_f16 v67, v44, v49, v67
	v_pk_fma_f16 v68, v45, v80, v68
	v_pk_fma_f16 v69, v45, v49, v69
	v_pk_fma_f16 v43, v46, v80, v43
	v_pk_fma_f16 v70, v46, v49, v70
	v_pk_fma_f16 v71, v47, v80, v71
	v_pk_fma_f16 v72, v47, v49, v72
	s_waitcnt lgkmcnt(0)
	v_pk_fma_f16 v73, v58, v80, v73
	v_pk_fma_f16 v74, v58, v49, v74
	v_pk_fma_f16 v75, v59, v80, v75
	v_pk_fma_f16 v76, v59, v49, v76
	v_pk_fma_f16 v77, v60, v80, v77
	v_pk_fma_f16 v78, v60, v49, v78
	v_pk_fma_f16 v79, v61, v80, v79
	ds_read2_b64 v[44:47], v36 offset1:32
	v_pk_fma_f16 v48, v61, v49, v48
	ds_read2_b64 v[58:61], v36 offset0:64 offset1:96
	v_mul_u32_u24_sdwa v49, v50, s31 dst_sel:DWORD dst_unused:UNUSED_PAD src0_sel:WORD_0 src1_sel:DWORD
	v_mul_u32_u24_sdwa v50, v50, s31 dst_sel:DWORD dst_unused:UNUSED_PAD src0_sel:WORD_1 src1_sel:DWORD
	s_waitcnt lgkmcnt(1)
	v_pk_fma_f16 v66, v44, v49, v66
	v_pk_fma_f16 v67, v44, v50, v67
	v_pk_fma_f16 v68, v45, v49, v68
	v_pk_fma_f16 v69, v45, v50, v69
	v_pk_fma_f16 v43, v46, v49, v43
	v_pk_fma_f16 v70, v46, v50, v70
	v_pk_fma_f16 v71, v47, v49, v71
	v_pk_fma_f16 v72, v47, v50, v72
	s_waitcnt lgkmcnt(0)
	v_pk_fma_f16 v73, v58, v49, v73
	v_pk_fma_f16 v74, v58, v50, v74
	v_pk_fma_f16 v75, v59, v49, v75
	v_pk_fma_f16 v76, v59, v50, v76
	v_pk_fma_f16 v77, v60, v49, v77
	v_pk_fma_f16 v78, v60, v50, v78
	v_pk_fma_f16 v49, v61, v49, v79
	ds_read2_b64 v[44:47], v36 offset0:128 offset1:160
	v_pk_fma_f16 v48, v61, v50, v48
	ds_read2_b64 v[58:61], v36 offset0:192 offset1:224
	v_mul_u32_u24_sdwa v50, v51, s31 dst_sel:DWORD dst_unused:UNUSED_PAD src0_sel:WORD_0 src1_sel:DWORD
	v_mul_u32_u24_sdwa v51, v51, s31 dst_sel:DWORD dst_unused:UNUSED_PAD src0_sel:WORD_1 src1_sel:DWORD
	s_waitcnt lgkmcnt(1)
	v_pk_fma_f16 v66, v44, v50, v66
	v_pk_fma_f16 v67, v44, v51, v67
	v_pk_fma_f16 v68, v45, v50, v68
	v_pk_fma_f16 v69, v45, v51, v69
	v_pk_fma_f16 v43, v46, v50, v43
	v_pk_fma_f16 v70, v46, v51, v70
	v_pk_fma_f16 v71, v47, v50, v71
	v_pk_fma_f16 v72, v47, v51, v72
	s_waitcnt lgkmcnt(0)
	v_pk_fma_f16 v73, v58, v50, v73
	v_pk_fma_f16 v58, v58, v51, v74
	v_pk_fma_f16 v74, v59, v50, v75
	v_pk_fma_f16 v59, v59, v51, v76
	v_pk_fma_f16 v75, v60, v50, v77
	v_pk_fma_f16 v60, v60, v51, v78
	v_pk_fma_f16 v76, v61, v50, v49
	ds_read2_b64 v[44:47], v37 offset1:32
	v_pk_fma_f16 v61, v61, v51, v48
	ds_read2_b64 v[48:51], v37 offset0:64 offset1:96
	v_mul_u32_u24_sdwa v77, v62, s31 dst_sel:DWORD dst_unused:UNUSED_PAD src0_sel:WORD_0 src1_sel:DWORD
	v_mul_u32_u24_sdwa v62, v62, s31 dst_sel:DWORD dst_unused:UNUSED_PAD src0_sel:WORD_1 src1_sel:DWORD
	s_waitcnt lgkmcnt(1)
	;; [unrolled: 44-line block ×5, first 2 shown]
	v_pk_fma_f16 v62, v44, v5, v63
	v_pk_fma_f16 v63, v44, v6, v64
	;; [unrolled: 1-line block ×8, first 2 shown]
	s_waitcnt lgkmcnt(0)
	v_pk_fma_f16 v69, v48, v5, v70
	v_pk_fma_f16 v58, v48, v6, v58
	;; [unrolled: 1-line block ×7, first 2 shown]
	ds_read2_b64 v[44:47], v40 offset0:128 offset1:160
	v_pk_fma_f16 v97, v51, v6, v4
	ds_read2_b64 v[48:51], v40 offset0:192 offset1:224
	s_or_b32 s6, s2, 64
	s_mul_hi_i32 s7, s6, s11
	s_mul_i32 s6, s6, s11
	v_mul_u32_u24_sdwa v98, v7, s31 dst_sel:DWORD dst_unused:UNUSED_PAD src0_sel:WORD_0 src1_sel:DWORD
	v_mul_u32_u24_sdwa v99, v7, s31 dst_sel:DWORD dst_unused:UNUSED_PAD src0_sel:WORD_1 src1_sel:DWORD
	v_lshl_add_u64 v[90:91], s[6:7], 2, v[20:21]
	s_waitcnt lgkmcnt(1)
	v_pk_fma_f16 v100, v44, v98, v62
	v_pk_fma_f16 v101, v44, v99, v63
	;; [unrolled: 1-line block ×8, first 2 shown]
	s_waitcnt lgkmcnt(0)
	v_pk_fma_f16 v107, v48, v98, v69
	v_pk_fma_f16 v48, v48, v99, v58
	ds_read2_b64 v[4:7], v42 offset1:32
	ds_read2_b64 v[44:47], v42 offset0:64 offset1:96
	ds_read2_b64 v[58:61], v42 offset0:128 offset1:160
	;; [unrolled: 1-line block ×3, first 2 shown]
	ds_read2_b64 v[66:69], v41 offset1:32
	ds_read2_b64 v[70:73], v41 offset0:64 offset1:96
	ds_read2_b64 v[74:77], v41 offset0:128 offset1:160
	;; [unrolled: 1-line block ×3, first 2 shown]
	s_waitcnt lgkmcnt(0)
	s_barrier
	global_load_dwordx4 v[82:85], v[90:91], off
	global_load_dwordx4 v[86:89], v[90:91], off offset:512
	v_pk_fma_f16 v90, v49, v98, v92
	v_pk_fma_f16 v49, v49, v99, v93
	v_pk_fma_f16 v91, v50, v98, v94
	v_pk_fma_f16 v50, v50, v99, v95
	v_pk_fma_f16 v92, v51, v98, v96
	v_pk_fma_f16 v51, v51, v99, v97
	v_mul_u32_u24_sdwa v93, v0, s31 dst_sel:DWORD dst_unused:UNUSED_PAD src0_sel:WORD_0 src1_sel:DWORD
	v_mul_u32_u24_sdwa v0, v0, s31 dst_sel:DWORD dst_unused:UNUSED_PAD src0_sel:WORD_1 src1_sel:DWORD
	v_pk_fma_f16 v94, v4, v93, v100
	v_pk_fma_f16 v4, v4, v0, v101
	v_pk_fma_f16 v95, v5, v93, v102
	v_pk_fma_f16 v5, v5, v0, v103
	v_pk_fma_f16 v43, v6, v93, v43
	v_pk_fma_f16 v6, v6, v0, v104
	v_pk_fma_f16 v96, v7, v93, v105
	v_pk_fma_f16 v7, v7, v0, v106
	v_pk_fma_f16 v97, v44, v93, v107
	v_pk_fma_f16 v44, v44, v0, v48
	v_pk_fma_f16 v48, v45, v93, v90
	v_pk_fma_f16 v45, v45, v0, v49
	v_pk_fma_f16 v49, v46, v93, v91
	v_pk_fma_f16 v46, v46, v0, v50
	v_pk_fma_f16 v50, v47, v93, v92
	v_pk_fma_f16 v0, v47, v0, v51
	v_mul_u32_u24_sdwa v47, v1, s31 dst_sel:DWORD dst_unused:UNUSED_PAD src0_sel:WORD_0 src1_sel:DWORD
	v_mul_u32_u24_sdwa v1, v1, s31 dst_sel:DWORD dst_unused:UNUSED_PAD src0_sel:WORD_1 src1_sel:DWORD
	v_pk_fma_f16 v51, v58, v47, v94
	v_pk_fma_f16 v4, v58, v1, v4
	v_pk_fma_f16 v58, v59, v47, v95
	v_pk_fma_f16 v5, v59, v1, v5
	v_pk_fma_f16 v43, v60, v47, v43
	v_pk_fma_f16 v6, v60, v1, v6
	v_pk_fma_f16 v59, v61, v47, v96
	v_pk_fma_f16 v7, v61, v1, v7
	v_pk_fma_f16 v60, v62, v47, v97
	v_pk_fma_f16 v44, v62, v1, v44
	;; [unrolled: 18-line block ×4, first 2 shown]
	v_pk_fma_f16 v75, v79, v2, v48
	v_pk_fma_f16 v76, v79, v3, v45
	;; [unrolled: 1-line block ×6, first 2 shown]
	s_waitcnt vmcnt(1)
	ds_write_b128 v31, v[82:85]
	s_waitcnt vmcnt(0)
	ds_write_b128 v32, v[86:89]
	s_waitcnt lgkmcnt(0)
	s_barrier
	ds_read2_b64 v[44:47], v33 offset1:32
	ds_read_b128 v[48:51], v30 offset:256
	ds_read2_b64 v[58:61], v33 offset0:64 offset1:96
	ds_read_b128 v[62:65], v30 offset:272
	ds_read_b128 v[4:7], v30 offset:288
	;; [unrolled: 1-line block ×3, first 2 shown]
	s_waitcnt lgkmcnt(4)
	v_mul_u32_u24_sdwa v81, v48, s31 dst_sel:DWORD dst_unused:UNUSED_PAD src0_sel:WORD_0 src1_sel:DWORD
	v_mul_u32_u24_sdwa v48, v48, s31 dst_sel:DWORD dst_unused:UNUSED_PAD src0_sel:WORD_1 src1_sel:DWORD
	v_pk_fma_f16 v66, v44, v81, v66
	v_pk_fma_f16 v67, v44, v48, v67
	v_pk_fma_f16 v68, v45, v81, v68
	v_pk_fma_f16 v69, v45, v48, v69
	v_pk_fma_f16 v43, v46, v81, v43
	v_pk_fma_f16 v70, v46, v48, v70
	v_pk_fma_f16 v71, v47, v81, v71
	v_pk_fma_f16 v72, v47, v48, v72
	s_waitcnt lgkmcnt(3)
	v_pk_fma_f16 v73, v58, v81, v73
	v_pk_fma_f16 v74, v58, v48, v74
	v_pk_fma_f16 v75, v59, v81, v75
	v_pk_fma_f16 v76, v59, v48, v76
	v_pk_fma_f16 v77, v60, v81, v77
	v_pk_fma_f16 v78, v60, v48, v78
	v_pk_fma_f16 v79, v61, v81, v79
	ds_read2_b64 v[44:47], v33 offset0:128 offset1:160
	v_pk_fma_f16 v48, v61, v48, v80
	ds_read2_b64 v[58:61], v33 offset0:192 offset1:224
	v_mul_u32_u24_sdwa v80, v49, s31 dst_sel:DWORD dst_unused:UNUSED_PAD src0_sel:WORD_0 src1_sel:DWORD
	v_mul_u32_u24_sdwa v49, v49, s31 dst_sel:DWORD dst_unused:UNUSED_PAD src0_sel:WORD_1 src1_sel:DWORD
	s_waitcnt lgkmcnt(1)
	v_pk_fma_f16 v66, v44, v80, v66
	v_pk_fma_f16 v67, v44, v49, v67
	v_pk_fma_f16 v68, v45, v80, v68
	v_pk_fma_f16 v69, v45, v49, v69
	v_pk_fma_f16 v43, v46, v80, v43
	v_pk_fma_f16 v70, v46, v49, v70
	v_pk_fma_f16 v71, v47, v80, v71
	v_pk_fma_f16 v72, v47, v49, v72
	s_waitcnt lgkmcnt(0)
	v_pk_fma_f16 v73, v58, v80, v73
	v_pk_fma_f16 v74, v58, v49, v74
	v_pk_fma_f16 v75, v59, v80, v75
	v_pk_fma_f16 v76, v59, v49, v76
	v_pk_fma_f16 v77, v60, v80, v77
	v_pk_fma_f16 v78, v60, v49, v78
	v_pk_fma_f16 v79, v61, v80, v79
	ds_read2_b64 v[44:47], v36 offset1:32
	v_pk_fma_f16 v48, v61, v49, v48
	ds_read2_b64 v[58:61], v36 offset0:64 offset1:96
	v_mul_u32_u24_sdwa v49, v50, s31 dst_sel:DWORD dst_unused:UNUSED_PAD src0_sel:WORD_0 src1_sel:DWORD
	v_mul_u32_u24_sdwa v50, v50, s31 dst_sel:DWORD dst_unused:UNUSED_PAD src0_sel:WORD_1 src1_sel:DWORD
	s_waitcnt lgkmcnt(1)
	v_pk_fma_f16 v66, v44, v49, v66
	v_pk_fma_f16 v67, v44, v50, v67
	v_pk_fma_f16 v68, v45, v49, v68
	v_pk_fma_f16 v69, v45, v50, v69
	v_pk_fma_f16 v43, v46, v49, v43
	v_pk_fma_f16 v70, v46, v50, v70
	v_pk_fma_f16 v71, v47, v49, v71
	v_pk_fma_f16 v72, v47, v50, v72
	s_waitcnt lgkmcnt(0)
	v_pk_fma_f16 v73, v58, v49, v73
	v_pk_fma_f16 v74, v58, v50, v74
	v_pk_fma_f16 v75, v59, v49, v75
	v_pk_fma_f16 v76, v59, v50, v76
	v_pk_fma_f16 v77, v60, v49, v77
	v_pk_fma_f16 v78, v60, v50, v78
	v_pk_fma_f16 v49, v61, v49, v79
	ds_read2_b64 v[44:47], v36 offset0:128 offset1:160
	v_pk_fma_f16 v48, v61, v50, v48
	ds_read2_b64 v[58:61], v36 offset0:192 offset1:224
	v_mul_u32_u24_sdwa v50, v51, s31 dst_sel:DWORD dst_unused:UNUSED_PAD src0_sel:WORD_0 src1_sel:DWORD
	v_mul_u32_u24_sdwa v51, v51, s31 dst_sel:DWORD dst_unused:UNUSED_PAD src0_sel:WORD_1 src1_sel:DWORD
	s_waitcnt lgkmcnt(1)
	v_pk_fma_f16 v66, v44, v50, v66
	v_pk_fma_f16 v67, v44, v51, v67
	v_pk_fma_f16 v68, v45, v50, v68
	v_pk_fma_f16 v69, v45, v51, v69
	v_pk_fma_f16 v43, v46, v50, v43
	v_pk_fma_f16 v70, v46, v51, v70
	v_pk_fma_f16 v71, v47, v50, v71
	v_pk_fma_f16 v72, v47, v51, v72
	s_waitcnt lgkmcnt(0)
	v_pk_fma_f16 v73, v58, v50, v73
	v_pk_fma_f16 v58, v58, v51, v74
	v_pk_fma_f16 v74, v59, v50, v75
	v_pk_fma_f16 v59, v59, v51, v76
	v_pk_fma_f16 v75, v60, v50, v77
	v_pk_fma_f16 v60, v60, v51, v78
	v_pk_fma_f16 v76, v61, v50, v49
	ds_read2_b64 v[44:47], v37 offset1:32
	v_pk_fma_f16 v61, v61, v51, v48
	ds_read2_b64 v[48:51], v37 offset0:64 offset1:96
	v_mul_u32_u24_sdwa v77, v62, s31 dst_sel:DWORD dst_unused:UNUSED_PAD src0_sel:WORD_0 src1_sel:DWORD
	v_mul_u32_u24_sdwa v62, v62, s31 dst_sel:DWORD dst_unused:UNUSED_PAD src0_sel:WORD_1 src1_sel:DWORD
	s_waitcnt lgkmcnt(1)
	v_pk_fma_f16 v66, v44, v77, v66
	v_pk_fma_f16 v67, v44, v62, v67
	v_pk_fma_f16 v68, v45, v77, v68
	v_pk_fma_f16 v69, v45, v62, v69
	v_pk_fma_f16 v43, v46, v77, v43
	v_pk_fma_f16 v70, v46, v62, v70
	v_pk_fma_f16 v71, v47, v77, v71
	v_pk_fma_f16 v72, v47, v62, v72
	s_waitcnt lgkmcnt(0)
	v_pk_fma_f16 v73, v48, v77, v73
	v_pk_fma_f16 v58, v48, v62, v58
	v_pk_fma_f16 v74, v49, v77, v74
	v_pk_fma_f16 v59, v49, v62, v59
	v_pk_fma_f16 v75, v50, v77, v75
	v_pk_fma_f16 v60, v50, v62, v60
	v_pk_fma_f16 v76, v51, v77, v76
	ds_read2_b64 v[44:47], v37 offset0:128 offset1:160
	v_pk_fma_f16 v61, v51, v62, v61
	ds_read2_b64 v[48:51], v37 offset0:192 offset1:224
	v_mul_u32_u24_sdwa v62, v63, s31 dst_sel:DWORD dst_unused:UNUSED_PAD src0_sel:WORD_0 src1_sel:DWORD
	v_mul_u32_u24_sdwa v63, v63, s31 dst_sel:DWORD dst_unused:UNUSED_PAD src0_sel:WORD_1 src1_sel:DWORD
	s_waitcnt lgkmcnt(1)
	v_pk_fma_f16 v66, v44, v62, v66
	v_pk_fma_f16 v67, v44, v63, v67
	v_pk_fma_f16 v68, v45, v62, v68
	v_pk_fma_f16 v69, v45, v63, v69
	v_pk_fma_f16 v43, v46, v62, v43
	v_pk_fma_f16 v70, v46, v63, v70
	v_pk_fma_f16 v71, v47, v62, v71
	v_pk_fma_f16 v72, v47, v63, v72
	s_waitcnt lgkmcnt(0)
	v_pk_fma_f16 v73, v48, v62, v73
	v_pk_fma_f16 v58, v48, v63, v58
	v_pk_fma_f16 v74, v49, v62, v74
	v_pk_fma_f16 v59, v49, v63, v59
	v_pk_fma_f16 v75, v50, v62, v75
	v_pk_fma_f16 v60, v50, v63, v60
	v_pk_fma_f16 v62, v51, v62, v76
	ds_read2_b64 v[44:47], v38 offset1:32
	v_pk_fma_f16 v61, v51, v63, v61
	ds_read2_b64 v[48:51], v38 offset0:64 offset1:96
	v_mul_u32_u24_sdwa v63, v64, s31 dst_sel:DWORD dst_unused:UNUSED_PAD src0_sel:WORD_0 src1_sel:DWORD
	v_mul_u32_u24_sdwa v64, v64, s31 dst_sel:DWORD dst_unused:UNUSED_PAD src0_sel:WORD_1 src1_sel:DWORD
	s_waitcnt lgkmcnt(1)
	v_pk_fma_f16 v66, v44, v63, v66
	v_pk_fma_f16 v67, v44, v64, v67
	v_pk_fma_f16 v68, v45, v63, v68
	v_pk_fma_f16 v69, v45, v64, v69
	v_pk_fma_f16 v43, v46, v63, v43
	v_pk_fma_f16 v70, v46, v64, v70
	v_pk_fma_f16 v71, v47, v63, v71
	v_pk_fma_f16 v72, v47, v64, v72
	s_waitcnt lgkmcnt(0)
	v_pk_fma_f16 v73, v48, v63, v73
	v_pk_fma_f16 v58, v48, v64, v58
	v_pk_fma_f16 v74, v49, v63, v74
	v_pk_fma_f16 v59, v49, v64, v59
	v_pk_fma_f16 v75, v50, v63, v75
	v_pk_fma_f16 v60, v50, v64, v60
	v_pk_fma_f16 v62, v51, v63, v62
	ds_read2_b64 v[44:47], v38 offset0:128 offset1:160
	v_pk_fma_f16 v61, v51, v64, v61
	ds_read2_b64 v[48:51], v38 offset0:192 offset1:224
	v_mul_u32_u24_sdwa v63, v65, s31 dst_sel:DWORD dst_unused:UNUSED_PAD src0_sel:WORD_0 src1_sel:DWORD
	v_mul_u32_u24_sdwa v64, v65, s31 dst_sel:DWORD dst_unused:UNUSED_PAD src0_sel:WORD_1 src1_sel:DWORD
	s_waitcnt lgkmcnt(1)
	v_pk_fma_f16 v65, v44, v63, v66
	v_pk_fma_f16 v66, v44, v64, v67
	v_pk_fma_f16 v67, v45, v63, v68
	v_pk_fma_f16 v68, v45, v64, v69
	v_pk_fma_f16 v43, v46, v63, v43
	v_pk_fma_f16 v69, v46, v64, v70
	v_pk_fma_f16 v70, v47, v63, v71
	v_pk_fma_f16 v71, v47, v64, v72
	s_waitcnt lgkmcnt(0)
	v_pk_fma_f16 v72, v48, v63, v73
	v_pk_fma_f16 v58, v48, v64, v58
	v_pk_fma_f16 v73, v49, v63, v74
	v_pk_fma_f16 v59, v49, v64, v59
	v_pk_fma_f16 v74, v50, v63, v75
	v_pk_fma_f16 v60, v50, v64, v60
	v_pk_fma_f16 v62, v51, v63, v62
	ds_read2_b64 v[44:47], v39 offset1:32
	v_pk_fma_f16 v61, v51, v64, v61
	ds_read2_b64 v[48:51], v39 offset0:64 offset1:96
	v_mul_u32_u24_sdwa v63, v4, s31 dst_sel:DWORD dst_unused:UNUSED_PAD src0_sel:WORD_0 src1_sel:DWORD
	v_mul_u32_u24_sdwa v4, v4, s31 dst_sel:DWORD dst_unused:UNUSED_PAD src0_sel:WORD_1 src1_sel:DWORD
	s_waitcnt lgkmcnt(1)
	v_pk_fma_f16 v64, v44, v63, v65
	v_pk_fma_f16 v65, v44, v4, v66
	v_pk_fma_f16 v66, v45, v63, v67
	v_pk_fma_f16 v67, v45, v4, v68
	v_pk_fma_f16 v43, v46, v63, v43
	v_pk_fma_f16 v68, v46, v4, v69
	v_pk_fma_f16 v69, v47, v63, v70
	v_pk_fma_f16 v70, v47, v4, v71
	s_waitcnt lgkmcnt(0)
	v_pk_fma_f16 v71, v48, v63, v72
	v_pk_fma_f16 v58, v48, v4, v58
	v_pk_fma_f16 v72, v49, v63, v73
	v_pk_fma_f16 v59, v49, v4, v59
	v_pk_fma_f16 v73, v50, v63, v74
	v_pk_fma_f16 v60, v50, v4, v60
	v_pk_fma_f16 v62, v51, v63, v62
	ds_read2_b64 v[44:47], v39 offset0:128 offset1:160
	v_pk_fma_f16 v4, v51, v4, v61
	ds_read2_b64 v[48:51], v39 offset0:192 offset1:224
	v_mul_u32_u24_sdwa v61, v5, s31 dst_sel:DWORD dst_unused:UNUSED_PAD src0_sel:WORD_0 src1_sel:DWORD
	v_mul_u32_u24_sdwa v5, v5, s31 dst_sel:DWORD dst_unused:UNUSED_PAD src0_sel:WORD_1 src1_sel:DWORD
	s_waitcnt lgkmcnt(1)
	v_pk_fma_f16 v63, v44, v61, v64
	v_pk_fma_f16 v64, v44, v5, v65
	v_pk_fma_f16 v65, v45, v61, v66
	v_pk_fma_f16 v66, v45, v5, v67
	v_pk_fma_f16 v43, v46, v61, v43
	v_pk_fma_f16 v67, v46, v5, v68
	v_pk_fma_f16 v68, v47, v61, v69
	v_pk_fma_f16 v69, v47, v5, v70
	s_waitcnt lgkmcnt(0)
	v_pk_fma_f16 v70, v48, v61, v71
	v_pk_fma_f16 v58, v48, v5, v58
	v_pk_fma_f16 v71, v49, v61, v72
	v_pk_fma_f16 v59, v49, v5, v59
	v_pk_fma_f16 v72, v50, v61, v73
	v_pk_fma_f16 v60, v50, v5, v60
	v_pk_fma_f16 v61, v51, v61, v62
	ds_read2_b64 v[44:47], v40 offset1:32
	v_pk_fma_f16 v4, v51, v5, v4
	ds_read2_b64 v[48:51], v40 offset0:64 offset1:96
	v_mul_u32_u24_sdwa v5, v6, s31 dst_sel:DWORD dst_unused:UNUSED_PAD src0_sel:WORD_0 src1_sel:DWORD
	v_mul_u32_u24_sdwa v6, v6, s31 dst_sel:DWORD dst_unused:UNUSED_PAD src0_sel:WORD_1 src1_sel:DWORD
	s_waitcnt lgkmcnt(1)
	v_pk_fma_f16 v62, v44, v5, v63
	v_pk_fma_f16 v63, v44, v6, v64
	v_pk_fma_f16 v64, v45, v5, v65
	v_pk_fma_f16 v65, v45, v6, v66
	v_pk_fma_f16 v43, v46, v5, v43
	v_pk_fma_f16 v66, v46, v6, v67
	v_pk_fma_f16 v67, v47, v5, v68
	v_pk_fma_f16 v68, v47, v6, v69
	s_waitcnt lgkmcnt(0)
	v_pk_fma_f16 v69, v48, v5, v70
	v_pk_fma_f16 v58, v48, v6, v58
	;; [unrolled: 1-line block ×7, first 2 shown]
	ds_read2_b64 v[44:47], v40 offset0:128 offset1:160
	v_pk_fma_f16 v97, v51, v6, v4
	ds_read2_b64 v[48:51], v40 offset0:192 offset1:224
	s_or_b32 s6, s2, 0x50
	s_mul_hi_i32 s7, s6, s11
	s_mul_i32 s6, s6, s11
	v_mul_u32_u24_sdwa v98, v7, s31 dst_sel:DWORD dst_unused:UNUSED_PAD src0_sel:WORD_0 src1_sel:DWORD
	v_mul_u32_u24_sdwa v99, v7, s31 dst_sel:DWORD dst_unused:UNUSED_PAD src0_sel:WORD_1 src1_sel:DWORD
	v_lshl_add_u64 v[90:91], s[6:7], 2, v[20:21]
	s_waitcnt lgkmcnt(1)
	v_pk_fma_f16 v100, v44, v98, v62
	v_pk_fma_f16 v101, v44, v99, v63
	;; [unrolled: 1-line block ×8, first 2 shown]
	s_waitcnt lgkmcnt(0)
	v_pk_fma_f16 v107, v48, v98, v69
	v_pk_fma_f16 v48, v48, v99, v58
	ds_read2_b64 v[4:7], v42 offset1:32
	ds_read2_b64 v[44:47], v42 offset0:64 offset1:96
	ds_read2_b64 v[58:61], v42 offset0:128 offset1:160
	ds_read2_b64 v[62:65], v42 offset0:192 offset1:224
	ds_read2_b64 v[66:69], v41 offset1:32
	ds_read2_b64 v[70:73], v41 offset0:64 offset1:96
	ds_read2_b64 v[74:77], v41 offset0:128 offset1:160
	;; [unrolled: 1-line block ×3, first 2 shown]
	s_waitcnt lgkmcnt(0)
	s_barrier
	global_load_dwordx4 v[82:85], v[90:91], off
	global_load_dwordx4 v[86:89], v[90:91], off offset:512
	v_pk_fma_f16 v90, v49, v98, v92
	v_pk_fma_f16 v49, v49, v99, v93
	v_pk_fma_f16 v91, v50, v98, v94
	v_pk_fma_f16 v50, v50, v99, v95
	v_pk_fma_f16 v92, v51, v98, v96
	v_pk_fma_f16 v51, v51, v99, v97
	v_mul_u32_u24_sdwa v93, v0, s31 dst_sel:DWORD dst_unused:UNUSED_PAD src0_sel:WORD_0 src1_sel:DWORD
	v_mul_u32_u24_sdwa v0, v0, s31 dst_sel:DWORD dst_unused:UNUSED_PAD src0_sel:WORD_1 src1_sel:DWORD
	v_pk_fma_f16 v94, v4, v93, v100
	v_pk_fma_f16 v4, v4, v0, v101
	v_pk_fma_f16 v95, v5, v93, v102
	v_pk_fma_f16 v5, v5, v0, v103
	v_pk_fma_f16 v43, v6, v93, v43
	v_pk_fma_f16 v6, v6, v0, v104
	v_pk_fma_f16 v96, v7, v93, v105
	v_pk_fma_f16 v7, v7, v0, v106
	v_pk_fma_f16 v97, v44, v93, v107
	v_pk_fma_f16 v44, v44, v0, v48
	v_pk_fma_f16 v48, v45, v93, v90
	v_pk_fma_f16 v45, v45, v0, v49
	v_pk_fma_f16 v49, v46, v93, v91
	v_pk_fma_f16 v46, v46, v0, v50
	v_pk_fma_f16 v50, v47, v93, v92
	v_pk_fma_f16 v0, v47, v0, v51
	v_mul_u32_u24_sdwa v47, v1, s31 dst_sel:DWORD dst_unused:UNUSED_PAD src0_sel:WORD_0 src1_sel:DWORD
	v_mul_u32_u24_sdwa v1, v1, s31 dst_sel:DWORD dst_unused:UNUSED_PAD src0_sel:WORD_1 src1_sel:DWORD
	v_pk_fma_f16 v51, v58, v47, v94
	v_pk_fma_f16 v4, v58, v1, v4
	v_pk_fma_f16 v58, v59, v47, v95
	v_pk_fma_f16 v5, v59, v1, v5
	v_pk_fma_f16 v43, v60, v47, v43
	v_pk_fma_f16 v6, v60, v1, v6
	v_pk_fma_f16 v59, v61, v47, v96
	v_pk_fma_f16 v7, v61, v1, v7
	v_pk_fma_f16 v60, v62, v47, v97
	v_pk_fma_f16 v44, v62, v1, v44
	;; [unrolled: 18-line block ×4, first 2 shown]
	v_pk_fma_f16 v75, v79, v2, v48
	v_pk_fma_f16 v76, v79, v3, v45
	;; [unrolled: 1-line block ×6, first 2 shown]
	s_waitcnt vmcnt(1)
	ds_write_b128 v31, v[82:85]
	s_waitcnt vmcnt(0)
	ds_write_b128 v32, v[86:89]
	s_waitcnt lgkmcnt(0)
	s_barrier
	ds_read2_b64 v[44:47], v33 offset1:32
	ds_read_b128 v[48:51], v30 offset:320
	ds_read2_b64 v[58:61], v33 offset0:64 offset1:96
	ds_read_b128 v[62:65], v30 offset:336
	ds_read_b128 v[4:7], v30 offset:352
	;; [unrolled: 1-line block ×3, first 2 shown]
	s_waitcnt lgkmcnt(4)
	v_mul_u32_u24_sdwa v81, v48, s31 dst_sel:DWORD dst_unused:UNUSED_PAD src0_sel:WORD_0 src1_sel:DWORD
	v_mul_u32_u24_sdwa v48, v48, s31 dst_sel:DWORD dst_unused:UNUSED_PAD src0_sel:WORD_1 src1_sel:DWORD
	v_pk_fma_f16 v66, v44, v81, v66
	v_pk_fma_f16 v67, v44, v48, v67
	v_pk_fma_f16 v68, v45, v81, v68
	v_pk_fma_f16 v69, v45, v48, v69
	v_pk_fma_f16 v43, v46, v81, v43
	v_pk_fma_f16 v70, v46, v48, v70
	v_pk_fma_f16 v71, v47, v81, v71
	v_pk_fma_f16 v72, v47, v48, v72
	s_waitcnt lgkmcnt(3)
	v_pk_fma_f16 v73, v58, v81, v73
	v_pk_fma_f16 v74, v58, v48, v74
	v_pk_fma_f16 v75, v59, v81, v75
	v_pk_fma_f16 v76, v59, v48, v76
	v_pk_fma_f16 v77, v60, v81, v77
	v_pk_fma_f16 v78, v60, v48, v78
	v_pk_fma_f16 v79, v61, v81, v79
	ds_read2_b64 v[44:47], v33 offset0:128 offset1:160
	v_pk_fma_f16 v48, v61, v48, v80
	ds_read2_b64 v[58:61], v33 offset0:192 offset1:224
	v_mul_u32_u24_sdwa v80, v49, s31 dst_sel:DWORD dst_unused:UNUSED_PAD src0_sel:WORD_0 src1_sel:DWORD
	v_mul_u32_u24_sdwa v49, v49, s31 dst_sel:DWORD dst_unused:UNUSED_PAD src0_sel:WORD_1 src1_sel:DWORD
	s_waitcnt lgkmcnt(1)
	v_pk_fma_f16 v66, v44, v80, v66
	v_pk_fma_f16 v67, v44, v49, v67
	v_pk_fma_f16 v68, v45, v80, v68
	v_pk_fma_f16 v69, v45, v49, v69
	v_pk_fma_f16 v43, v46, v80, v43
	v_pk_fma_f16 v70, v46, v49, v70
	v_pk_fma_f16 v71, v47, v80, v71
	v_pk_fma_f16 v72, v47, v49, v72
	s_waitcnt lgkmcnt(0)
	v_pk_fma_f16 v73, v58, v80, v73
	v_pk_fma_f16 v74, v58, v49, v74
	v_pk_fma_f16 v75, v59, v80, v75
	v_pk_fma_f16 v76, v59, v49, v76
	v_pk_fma_f16 v77, v60, v80, v77
	v_pk_fma_f16 v78, v60, v49, v78
	v_pk_fma_f16 v79, v61, v80, v79
	ds_read2_b64 v[44:47], v36 offset1:32
	v_pk_fma_f16 v48, v61, v49, v48
	ds_read2_b64 v[58:61], v36 offset0:64 offset1:96
	v_mul_u32_u24_sdwa v49, v50, s31 dst_sel:DWORD dst_unused:UNUSED_PAD src0_sel:WORD_0 src1_sel:DWORD
	v_mul_u32_u24_sdwa v50, v50, s31 dst_sel:DWORD dst_unused:UNUSED_PAD src0_sel:WORD_1 src1_sel:DWORD
	s_waitcnt lgkmcnt(1)
	v_pk_fma_f16 v66, v44, v49, v66
	v_pk_fma_f16 v67, v44, v50, v67
	v_pk_fma_f16 v68, v45, v49, v68
	v_pk_fma_f16 v69, v45, v50, v69
	v_pk_fma_f16 v43, v46, v49, v43
	v_pk_fma_f16 v70, v46, v50, v70
	v_pk_fma_f16 v71, v47, v49, v71
	v_pk_fma_f16 v72, v47, v50, v72
	s_waitcnt lgkmcnt(0)
	v_pk_fma_f16 v73, v58, v49, v73
	v_pk_fma_f16 v74, v58, v50, v74
	v_pk_fma_f16 v75, v59, v49, v75
	v_pk_fma_f16 v76, v59, v50, v76
	v_pk_fma_f16 v77, v60, v49, v77
	v_pk_fma_f16 v78, v60, v50, v78
	v_pk_fma_f16 v49, v61, v49, v79
	ds_read2_b64 v[44:47], v36 offset0:128 offset1:160
	v_pk_fma_f16 v48, v61, v50, v48
	ds_read2_b64 v[58:61], v36 offset0:192 offset1:224
	v_mul_u32_u24_sdwa v50, v51, s31 dst_sel:DWORD dst_unused:UNUSED_PAD src0_sel:WORD_0 src1_sel:DWORD
	v_mul_u32_u24_sdwa v51, v51, s31 dst_sel:DWORD dst_unused:UNUSED_PAD src0_sel:WORD_1 src1_sel:DWORD
	s_waitcnt lgkmcnt(1)
	v_pk_fma_f16 v66, v44, v50, v66
	v_pk_fma_f16 v67, v44, v51, v67
	v_pk_fma_f16 v68, v45, v50, v68
	v_pk_fma_f16 v69, v45, v51, v69
	v_pk_fma_f16 v43, v46, v50, v43
	v_pk_fma_f16 v70, v46, v51, v70
	v_pk_fma_f16 v71, v47, v50, v71
	v_pk_fma_f16 v72, v47, v51, v72
	s_waitcnt lgkmcnt(0)
	v_pk_fma_f16 v73, v58, v50, v73
	v_pk_fma_f16 v58, v58, v51, v74
	v_pk_fma_f16 v74, v59, v50, v75
	v_pk_fma_f16 v59, v59, v51, v76
	v_pk_fma_f16 v75, v60, v50, v77
	v_pk_fma_f16 v60, v60, v51, v78
	v_pk_fma_f16 v76, v61, v50, v49
	ds_read2_b64 v[44:47], v37 offset1:32
	v_pk_fma_f16 v61, v61, v51, v48
	ds_read2_b64 v[48:51], v37 offset0:64 offset1:96
	v_mul_u32_u24_sdwa v77, v62, s31 dst_sel:DWORD dst_unused:UNUSED_PAD src0_sel:WORD_0 src1_sel:DWORD
	v_mul_u32_u24_sdwa v62, v62, s31 dst_sel:DWORD dst_unused:UNUSED_PAD src0_sel:WORD_1 src1_sel:DWORD
	s_waitcnt lgkmcnt(1)
	;; [unrolled: 44-line block ×5, first 2 shown]
	v_pk_fma_f16 v62, v44, v5, v63
	v_pk_fma_f16 v63, v44, v6, v64
	;; [unrolled: 1-line block ×8, first 2 shown]
	s_waitcnt lgkmcnt(0)
	v_pk_fma_f16 v69, v48, v5, v70
	v_pk_fma_f16 v58, v48, v6, v58
	;; [unrolled: 1-line block ×7, first 2 shown]
	ds_read2_b64 v[44:47], v40 offset0:128 offset1:160
	v_pk_fma_f16 v97, v51, v6, v4
	ds_read2_b64 v[48:51], v40 offset0:192 offset1:224
	s_or_b32 s6, s2, 0x60
	s_mul_hi_i32 s7, s6, s11
	s_mul_i32 s6, s6, s11
	v_mul_u32_u24_sdwa v98, v7, s31 dst_sel:DWORD dst_unused:UNUSED_PAD src0_sel:WORD_0 src1_sel:DWORD
	v_mul_u32_u24_sdwa v99, v7, s31 dst_sel:DWORD dst_unused:UNUSED_PAD src0_sel:WORD_1 src1_sel:DWORD
	v_lshl_add_u64 v[90:91], s[6:7], 2, v[20:21]
	s_waitcnt lgkmcnt(1)
	v_pk_fma_f16 v100, v44, v98, v62
	v_pk_fma_f16 v101, v44, v99, v63
	;; [unrolled: 1-line block ×8, first 2 shown]
	s_waitcnt lgkmcnt(0)
	v_pk_fma_f16 v107, v48, v98, v69
	v_pk_fma_f16 v48, v48, v99, v58
	ds_read2_b64 v[4:7], v42 offset1:32
	ds_read2_b64 v[44:47], v42 offset0:64 offset1:96
	ds_read2_b64 v[58:61], v42 offset0:128 offset1:160
	;; [unrolled: 1-line block ×3, first 2 shown]
	ds_read2_b64 v[66:69], v41 offset1:32
	ds_read2_b64 v[70:73], v41 offset0:64 offset1:96
	ds_read2_b64 v[74:77], v41 offset0:128 offset1:160
	;; [unrolled: 1-line block ×3, first 2 shown]
	s_waitcnt lgkmcnt(0)
	s_barrier
	global_load_dwordx4 v[82:85], v[90:91], off
	global_load_dwordx4 v[86:89], v[90:91], off offset:512
	v_pk_fma_f16 v90, v49, v98, v92
	v_pk_fma_f16 v49, v49, v99, v93
	v_pk_fma_f16 v91, v50, v98, v94
	v_pk_fma_f16 v50, v50, v99, v95
	v_pk_fma_f16 v92, v51, v98, v96
	v_pk_fma_f16 v51, v51, v99, v97
	v_mul_u32_u24_sdwa v93, v0, s31 dst_sel:DWORD dst_unused:UNUSED_PAD src0_sel:WORD_0 src1_sel:DWORD
	v_mul_u32_u24_sdwa v0, v0, s31 dst_sel:DWORD dst_unused:UNUSED_PAD src0_sel:WORD_1 src1_sel:DWORD
	v_pk_fma_f16 v94, v4, v93, v100
	v_pk_fma_f16 v4, v4, v0, v101
	v_pk_fma_f16 v95, v5, v93, v102
	v_pk_fma_f16 v5, v5, v0, v103
	v_pk_fma_f16 v43, v6, v93, v43
	v_pk_fma_f16 v6, v6, v0, v104
	v_pk_fma_f16 v96, v7, v93, v105
	v_pk_fma_f16 v7, v7, v0, v106
	v_pk_fma_f16 v97, v44, v93, v107
	v_pk_fma_f16 v44, v44, v0, v48
	v_pk_fma_f16 v48, v45, v93, v90
	v_pk_fma_f16 v45, v45, v0, v49
	v_pk_fma_f16 v49, v46, v93, v91
	v_pk_fma_f16 v46, v46, v0, v50
	v_pk_fma_f16 v50, v47, v93, v92
	v_pk_fma_f16 v0, v47, v0, v51
	v_mul_u32_u24_sdwa v47, v1, s31 dst_sel:DWORD dst_unused:UNUSED_PAD src0_sel:WORD_0 src1_sel:DWORD
	v_mul_u32_u24_sdwa v1, v1, s31 dst_sel:DWORD dst_unused:UNUSED_PAD src0_sel:WORD_1 src1_sel:DWORD
	v_pk_fma_f16 v51, v58, v47, v94
	v_pk_fma_f16 v4, v58, v1, v4
	v_pk_fma_f16 v58, v59, v47, v95
	v_pk_fma_f16 v5, v59, v1, v5
	v_pk_fma_f16 v43, v60, v47, v43
	v_pk_fma_f16 v6, v60, v1, v6
	v_pk_fma_f16 v59, v61, v47, v96
	v_pk_fma_f16 v7, v61, v1, v7
	v_pk_fma_f16 v60, v62, v47, v97
	v_pk_fma_f16 v44, v62, v1, v44
	;; [unrolled: 18-line block ×4, first 2 shown]
	v_pk_fma_f16 v75, v79, v2, v48
	v_pk_fma_f16 v76, v79, v3, v45
	;; [unrolled: 1-line block ×6, first 2 shown]
	s_waitcnt vmcnt(1)
	ds_write_b128 v31, v[82:85]
	s_waitcnt vmcnt(0)
	ds_write_b128 v32, v[86:89]
	s_waitcnt lgkmcnt(0)
	s_barrier
	ds_read2_b64 v[44:47], v33 offset1:32
	ds_read_b128 v[48:51], v30 offset:384
	ds_read2_b64 v[58:61], v33 offset0:64 offset1:96
	ds_read_b128 v[62:65], v30 offset:400
	ds_read_b128 v[4:7], v30 offset:416
	;; [unrolled: 1-line block ×3, first 2 shown]
	s_waitcnt lgkmcnt(4)
	v_mul_u32_u24_sdwa v81, v48, s31 dst_sel:DWORD dst_unused:UNUSED_PAD src0_sel:WORD_0 src1_sel:DWORD
	v_mul_u32_u24_sdwa v48, v48, s31 dst_sel:DWORD dst_unused:UNUSED_PAD src0_sel:WORD_1 src1_sel:DWORD
	v_pk_fma_f16 v66, v44, v81, v66
	v_pk_fma_f16 v67, v44, v48, v67
	v_pk_fma_f16 v68, v45, v81, v68
	v_pk_fma_f16 v69, v45, v48, v69
	v_pk_fma_f16 v43, v46, v81, v43
	v_pk_fma_f16 v70, v46, v48, v70
	v_pk_fma_f16 v71, v47, v81, v71
	v_pk_fma_f16 v72, v47, v48, v72
	s_waitcnt lgkmcnt(3)
	v_pk_fma_f16 v73, v58, v81, v73
	v_pk_fma_f16 v74, v58, v48, v74
	v_pk_fma_f16 v75, v59, v81, v75
	v_pk_fma_f16 v76, v59, v48, v76
	v_pk_fma_f16 v77, v60, v81, v77
	v_pk_fma_f16 v78, v60, v48, v78
	v_pk_fma_f16 v79, v61, v81, v79
	ds_read2_b64 v[44:47], v33 offset0:128 offset1:160
	v_pk_fma_f16 v48, v61, v48, v80
	ds_read2_b64 v[58:61], v33 offset0:192 offset1:224
	v_mul_u32_u24_sdwa v80, v49, s31 dst_sel:DWORD dst_unused:UNUSED_PAD src0_sel:WORD_0 src1_sel:DWORD
	v_mul_u32_u24_sdwa v49, v49, s31 dst_sel:DWORD dst_unused:UNUSED_PAD src0_sel:WORD_1 src1_sel:DWORD
	s_waitcnt lgkmcnt(1)
	v_pk_fma_f16 v66, v44, v80, v66
	v_pk_fma_f16 v67, v44, v49, v67
	v_pk_fma_f16 v68, v45, v80, v68
	v_pk_fma_f16 v69, v45, v49, v69
	v_pk_fma_f16 v43, v46, v80, v43
	v_pk_fma_f16 v70, v46, v49, v70
	v_pk_fma_f16 v71, v47, v80, v71
	v_pk_fma_f16 v72, v47, v49, v72
	s_waitcnt lgkmcnt(0)
	v_pk_fma_f16 v73, v58, v80, v73
	v_pk_fma_f16 v74, v58, v49, v74
	v_pk_fma_f16 v75, v59, v80, v75
	v_pk_fma_f16 v76, v59, v49, v76
	v_pk_fma_f16 v77, v60, v80, v77
	v_pk_fma_f16 v78, v60, v49, v78
	v_pk_fma_f16 v79, v61, v80, v79
	ds_read2_b64 v[44:47], v36 offset1:32
	v_pk_fma_f16 v48, v61, v49, v48
	ds_read2_b64 v[58:61], v36 offset0:64 offset1:96
	v_mul_u32_u24_sdwa v49, v50, s31 dst_sel:DWORD dst_unused:UNUSED_PAD src0_sel:WORD_0 src1_sel:DWORD
	v_mul_u32_u24_sdwa v50, v50, s31 dst_sel:DWORD dst_unused:UNUSED_PAD src0_sel:WORD_1 src1_sel:DWORD
	s_waitcnt lgkmcnt(1)
	v_pk_fma_f16 v66, v44, v49, v66
	v_pk_fma_f16 v67, v44, v50, v67
	v_pk_fma_f16 v68, v45, v49, v68
	v_pk_fma_f16 v69, v45, v50, v69
	v_pk_fma_f16 v43, v46, v49, v43
	v_pk_fma_f16 v70, v46, v50, v70
	v_pk_fma_f16 v71, v47, v49, v71
	v_pk_fma_f16 v72, v47, v50, v72
	s_waitcnt lgkmcnt(0)
	v_pk_fma_f16 v73, v58, v49, v73
	v_pk_fma_f16 v74, v58, v50, v74
	v_pk_fma_f16 v75, v59, v49, v75
	v_pk_fma_f16 v76, v59, v50, v76
	v_pk_fma_f16 v77, v60, v49, v77
	v_pk_fma_f16 v78, v60, v50, v78
	v_pk_fma_f16 v49, v61, v49, v79
	ds_read2_b64 v[44:47], v36 offset0:128 offset1:160
	v_pk_fma_f16 v48, v61, v50, v48
	ds_read2_b64 v[58:61], v36 offset0:192 offset1:224
	v_mul_u32_u24_sdwa v50, v51, s31 dst_sel:DWORD dst_unused:UNUSED_PAD src0_sel:WORD_0 src1_sel:DWORD
	v_mul_u32_u24_sdwa v51, v51, s31 dst_sel:DWORD dst_unused:UNUSED_PAD src0_sel:WORD_1 src1_sel:DWORD
	s_waitcnt lgkmcnt(1)
	v_pk_fma_f16 v66, v44, v50, v66
	v_pk_fma_f16 v67, v44, v51, v67
	v_pk_fma_f16 v68, v45, v50, v68
	v_pk_fma_f16 v69, v45, v51, v69
	v_pk_fma_f16 v43, v46, v50, v43
	v_pk_fma_f16 v70, v46, v51, v70
	v_pk_fma_f16 v71, v47, v50, v71
	v_pk_fma_f16 v72, v47, v51, v72
	s_waitcnt lgkmcnt(0)
	v_pk_fma_f16 v73, v58, v50, v73
	v_pk_fma_f16 v58, v58, v51, v74
	v_pk_fma_f16 v74, v59, v50, v75
	v_pk_fma_f16 v59, v59, v51, v76
	v_pk_fma_f16 v75, v60, v50, v77
	v_pk_fma_f16 v60, v60, v51, v78
	v_pk_fma_f16 v76, v61, v50, v49
	ds_read2_b64 v[44:47], v37 offset1:32
	v_pk_fma_f16 v61, v61, v51, v48
	ds_read2_b64 v[48:51], v37 offset0:64 offset1:96
	v_mul_u32_u24_sdwa v77, v62, s31 dst_sel:DWORD dst_unused:UNUSED_PAD src0_sel:WORD_0 src1_sel:DWORD
	v_mul_u32_u24_sdwa v62, v62, s31 dst_sel:DWORD dst_unused:UNUSED_PAD src0_sel:WORD_1 src1_sel:DWORD
	s_waitcnt lgkmcnt(1)
	;; [unrolled: 44-line block ×5, first 2 shown]
	v_pk_fma_f16 v62, v44, v5, v63
	v_pk_fma_f16 v63, v44, v6, v64
	;; [unrolled: 1-line block ×8, first 2 shown]
	s_waitcnt lgkmcnt(0)
	v_pk_fma_f16 v69, v48, v5, v70
	v_pk_fma_f16 v58, v48, v6, v58
	v_pk_fma_f16 v92, v49, v5, v71
	v_pk_fma_f16 v93, v49, v6, v59
	v_pk_fma_f16 v94, v50, v5, v72
	v_pk_fma_f16 v95, v50, v6, v60
	v_pk_fma_f16 v96, v51, v5, v61
	ds_read2_b64 v[44:47], v40 offset0:128 offset1:160
	v_pk_fma_f16 v97, v51, v6, v4
	ds_read2_b64 v[48:51], v40 offset0:192 offset1:224
	s_or_b32 s6, s2, 0x70
	s_mul_hi_i32 s7, s6, s11
	s_mul_i32 s6, s6, s11
	v_mul_u32_u24_sdwa v98, v7, s31 dst_sel:DWORD dst_unused:UNUSED_PAD src0_sel:WORD_0 src1_sel:DWORD
	v_mul_u32_u24_sdwa v99, v7, s31 dst_sel:DWORD dst_unused:UNUSED_PAD src0_sel:WORD_1 src1_sel:DWORD
	v_lshl_add_u64 v[90:91], s[6:7], 2, v[20:21]
	s_waitcnt lgkmcnt(1)
	v_pk_fma_f16 v100, v44, v98, v62
	v_pk_fma_f16 v101, v44, v99, v63
	;; [unrolled: 1-line block ×8, first 2 shown]
	s_waitcnt lgkmcnt(0)
	v_pk_fma_f16 v107, v48, v98, v69
	v_pk_fma_f16 v48, v48, v99, v58
	ds_read2_b64 v[4:7], v42 offset1:32
	ds_read2_b64 v[44:47], v42 offset0:64 offset1:96
	ds_read2_b64 v[58:61], v42 offset0:128 offset1:160
	;; [unrolled: 1-line block ×3, first 2 shown]
	ds_read2_b64 v[66:69], v41 offset1:32
	ds_read2_b64 v[70:73], v41 offset0:64 offset1:96
	ds_read2_b64 v[74:77], v41 offset0:128 offset1:160
	;; [unrolled: 1-line block ×3, first 2 shown]
	s_waitcnt lgkmcnt(0)
	s_barrier
	global_load_dwordx4 v[82:85], v[90:91], off
	global_load_dwordx4 v[86:89], v[90:91], off offset:512
	v_pk_fma_f16 v90, v49, v98, v92
	v_pk_fma_f16 v49, v49, v99, v93
	v_pk_fma_f16 v91, v50, v98, v94
	v_pk_fma_f16 v50, v50, v99, v95
	v_pk_fma_f16 v92, v51, v98, v96
	v_pk_fma_f16 v51, v51, v99, v97
	v_mul_u32_u24_sdwa v93, v0, s31 dst_sel:DWORD dst_unused:UNUSED_PAD src0_sel:WORD_0 src1_sel:DWORD
	v_mul_u32_u24_sdwa v0, v0, s31 dst_sel:DWORD dst_unused:UNUSED_PAD src0_sel:WORD_1 src1_sel:DWORD
	v_pk_fma_f16 v94, v4, v93, v100
	v_pk_fma_f16 v4, v4, v0, v101
	v_pk_fma_f16 v95, v5, v93, v102
	v_pk_fma_f16 v5, v5, v0, v103
	v_pk_fma_f16 v43, v6, v93, v43
	v_pk_fma_f16 v6, v6, v0, v104
	v_pk_fma_f16 v96, v7, v93, v105
	v_pk_fma_f16 v7, v7, v0, v106
	v_pk_fma_f16 v97, v44, v93, v107
	v_pk_fma_f16 v44, v44, v0, v48
	v_pk_fma_f16 v48, v45, v93, v90
	v_pk_fma_f16 v45, v45, v0, v49
	v_pk_fma_f16 v49, v46, v93, v91
	v_pk_fma_f16 v46, v46, v0, v50
	v_pk_fma_f16 v50, v47, v93, v92
	v_pk_fma_f16 v0, v47, v0, v51
	v_mul_u32_u24_sdwa v47, v1, s31 dst_sel:DWORD dst_unused:UNUSED_PAD src0_sel:WORD_0 src1_sel:DWORD
	v_mul_u32_u24_sdwa v1, v1, s31 dst_sel:DWORD dst_unused:UNUSED_PAD src0_sel:WORD_1 src1_sel:DWORD
	v_pk_fma_f16 v51, v58, v47, v94
	v_pk_fma_f16 v4, v58, v1, v4
	v_pk_fma_f16 v58, v59, v47, v95
	v_pk_fma_f16 v5, v59, v1, v5
	v_pk_fma_f16 v43, v60, v47, v43
	v_pk_fma_f16 v6, v60, v1, v6
	v_pk_fma_f16 v59, v61, v47, v96
	v_pk_fma_f16 v7, v61, v1, v7
	v_pk_fma_f16 v60, v62, v47, v97
	v_pk_fma_f16 v44, v62, v1, v44
	;; [unrolled: 18-line block ×4, first 2 shown]
	v_pk_fma_f16 v75, v79, v2, v48
	v_pk_fma_f16 v76, v79, v3, v45
	;; [unrolled: 1-line block ×6, first 2 shown]
	s_waitcnt vmcnt(1)
	ds_write_b128 v31, v[82:85]
	s_waitcnt vmcnt(0)
	ds_write_b128 v32, v[86:89]
	s_waitcnt lgkmcnt(0)
	s_barrier
	ds_read2_b64 v[44:47], v33 offset1:32
	ds_read_b128 v[48:51], v30 offset:448
	ds_read2_b64 v[58:61], v33 offset0:64 offset1:96
	ds_read_b128 v[62:65], v30 offset:464
	ds_read_b128 v[4:7], v30 offset:480
	;; [unrolled: 1-line block ×3, first 2 shown]
	s_waitcnt lgkmcnt(4)
	v_mul_u32_u24_sdwa v81, v48, s31 dst_sel:DWORD dst_unused:UNUSED_PAD src0_sel:WORD_0 src1_sel:DWORD
	v_mul_u32_u24_sdwa v48, v48, s31 dst_sel:DWORD dst_unused:UNUSED_PAD src0_sel:WORD_1 src1_sel:DWORD
	v_pk_fma_f16 v66, v44, v81, v66
	v_pk_fma_f16 v67, v44, v48, v67
	v_pk_fma_f16 v68, v45, v81, v68
	v_pk_fma_f16 v69, v45, v48, v69
	v_pk_fma_f16 v43, v46, v81, v43
	v_pk_fma_f16 v70, v46, v48, v70
	v_pk_fma_f16 v71, v47, v81, v71
	v_pk_fma_f16 v72, v47, v48, v72
	s_waitcnt lgkmcnt(3)
	v_pk_fma_f16 v73, v58, v81, v73
	v_pk_fma_f16 v74, v58, v48, v74
	v_pk_fma_f16 v75, v59, v81, v75
	v_pk_fma_f16 v76, v59, v48, v76
	v_pk_fma_f16 v77, v60, v81, v77
	v_pk_fma_f16 v78, v60, v48, v78
	v_pk_fma_f16 v79, v61, v81, v79
	ds_read2_b64 v[44:47], v33 offset0:128 offset1:160
	v_pk_fma_f16 v48, v61, v48, v80
	ds_read2_b64 v[58:61], v33 offset0:192 offset1:224
	v_mul_u32_u24_sdwa v80, v49, s31 dst_sel:DWORD dst_unused:UNUSED_PAD src0_sel:WORD_0 src1_sel:DWORD
	v_mul_u32_u24_sdwa v49, v49, s31 dst_sel:DWORD dst_unused:UNUSED_PAD src0_sel:WORD_1 src1_sel:DWORD
	s_waitcnt lgkmcnt(1)
	v_pk_fma_f16 v66, v44, v80, v66
	v_pk_fma_f16 v67, v44, v49, v67
	v_pk_fma_f16 v68, v45, v80, v68
	v_pk_fma_f16 v69, v45, v49, v69
	v_pk_fma_f16 v43, v46, v80, v43
	v_pk_fma_f16 v70, v46, v49, v70
	v_pk_fma_f16 v71, v47, v80, v71
	v_pk_fma_f16 v72, v47, v49, v72
	s_waitcnt lgkmcnt(0)
	v_pk_fma_f16 v73, v58, v80, v73
	v_pk_fma_f16 v74, v58, v49, v74
	v_pk_fma_f16 v75, v59, v80, v75
	v_pk_fma_f16 v76, v59, v49, v76
	v_pk_fma_f16 v77, v60, v80, v77
	v_pk_fma_f16 v78, v60, v49, v78
	v_pk_fma_f16 v79, v61, v80, v79
	ds_read2_b64 v[44:47], v36 offset1:32
	v_pk_fma_f16 v48, v61, v49, v48
	ds_read2_b64 v[58:61], v36 offset0:64 offset1:96
	v_mul_u32_u24_sdwa v49, v50, s31 dst_sel:DWORD dst_unused:UNUSED_PAD src0_sel:WORD_0 src1_sel:DWORD
	v_mul_u32_u24_sdwa v50, v50, s31 dst_sel:DWORD dst_unused:UNUSED_PAD src0_sel:WORD_1 src1_sel:DWORD
	s_waitcnt lgkmcnt(1)
	v_pk_fma_f16 v66, v44, v49, v66
	v_pk_fma_f16 v67, v44, v50, v67
	v_pk_fma_f16 v68, v45, v49, v68
	v_pk_fma_f16 v69, v45, v50, v69
	v_pk_fma_f16 v43, v46, v49, v43
	v_pk_fma_f16 v70, v46, v50, v70
	v_pk_fma_f16 v71, v47, v49, v71
	v_pk_fma_f16 v72, v47, v50, v72
	s_waitcnt lgkmcnt(0)
	v_pk_fma_f16 v73, v58, v49, v73
	v_pk_fma_f16 v74, v58, v50, v74
	v_pk_fma_f16 v75, v59, v49, v75
	v_pk_fma_f16 v76, v59, v50, v76
	v_pk_fma_f16 v77, v60, v49, v77
	v_pk_fma_f16 v78, v60, v50, v78
	v_pk_fma_f16 v49, v61, v49, v79
	ds_read2_b64 v[44:47], v36 offset0:128 offset1:160
	v_pk_fma_f16 v48, v61, v50, v48
	ds_read2_b64 v[58:61], v36 offset0:192 offset1:224
	v_mul_u32_u24_sdwa v36, v51, s31 dst_sel:DWORD dst_unused:UNUSED_PAD src0_sel:WORD_0 src1_sel:DWORD
	v_mul_u32_u24_sdwa v50, v51, s31 dst_sel:DWORD dst_unused:UNUSED_PAD src0_sel:WORD_1 src1_sel:DWORD
	s_waitcnt lgkmcnt(1)
	v_pk_fma_f16 v66, v44, v36, v66
	v_pk_fma_f16 v67, v44, v50, v67
	v_pk_fma_f16 v68, v45, v36, v68
	v_pk_fma_f16 v69, v45, v50, v69
	v_pk_fma_f16 v43, v46, v36, v43
	v_pk_fma_f16 v70, v46, v50, v70
	v_pk_fma_f16 v71, v47, v36, v71
	v_pk_fma_f16 v72, v47, v50, v72
	s_waitcnt lgkmcnt(0)
	v_pk_fma_f16 v73, v58, v36, v73
	v_pk_fma_f16 v58, v58, v50, v74
	v_pk_fma_f16 v74, v59, v36, v75
	v_pk_fma_f16 v59, v59, v50, v76
	v_pk_fma_f16 v75, v60, v36, v77
	v_pk_fma_f16 v60, v60, v50, v78
	v_pk_fma_f16 v36, v61, v36, v49
	ds_read2_b64 v[44:47], v37 offset1:32
	v_pk_fma_f16 v61, v61, v50, v48
	ds_read2_b64 v[48:51], v37 offset0:64 offset1:96
	v_mul_u32_u24_sdwa v76, v62, s31 dst_sel:DWORD dst_unused:UNUSED_PAD src0_sel:WORD_0 src1_sel:DWORD
	v_mul_u32_u24_sdwa v62, v62, s31 dst_sel:DWORD dst_unused:UNUSED_PAD src0_sel:WORD_1 src1_sel:DWORD
	s_waitcnt lgkmcnt(1)
	;; [unrolled: 44-line block ×7, first 2 shown]
	v_pk_fma_f16 v42, v4, v1, v42
	v_pk_fma_f16 v44, v4, v2, v44
	;; [unrolled: 1-line block ×8, first 2 shown]
	s_waitcnt lgkmcnt(0)
	v_pk_fma_f16 v65, v37, v1, v58
	v_pk_fma_f16 v66, v38, v1, v59
	ds_read2_b64 v[4:7], v41 offset0:128 offset1:160
	ds_read2_b64 v[58:61], v41 offset0:192 offset1:224
	s_waitcnt lgkmcnt(0)
	s_barrier
	s_load_dword s6, s[4:5], 0x4
	v_pk_fma_f16 v62, v36, v1, v62
	v_pk_fma_f16 v36, v36, v2, v48
	;; [unrolled: 1-line block ×4, first 2 shown]
	s_waitcnt lgkmcnt(0)
	s_lshl_b32 s6, s6, 7
	v_pk_fma_f16 v1, v39, v1, v40
	v_pk_fma_f16 v0, v39, v2, v0
	v_mul_u32_u24_sdwa v2, v3, s31 dst_sel:DWORD dst_unused:UNUSED_PAD src0_sel:WORD_0 src1_sel:DWORD
	v_mul_u32_u24_sdwa v3, v3, s31 dst_sel:DWORD dst_unused:UNUSED_PAD src0_sel:WORD_1 src1_sel:DWORD
	s_add_i32 s2, s6, s2
	v_pk_fma_f16 v41, v4, v2, v42
	v_pk_fma_f16 v37, v4, v3, v44
	;; [unrolled: 1-line block ×15, first 2 shown]
	s_cmp_ge_i32 s2, s24
	v_pk_fma_f16 v5, v61, v3, v0
	s_cbranch_scc1 .LBB26_7
; %bb.54:                               ;   in Loop: Header=BB26_21 Depth=1
	v_mov_b32_e32 v49, v22
	v_mov_b32_e32 v4, v23
	s_branch .LBB26_21
	.section	.rodata,"a",@progbits
	.p2align	6, 0x0
	.amdhsa_kernel _ZL15flash_attn_tileILi512ELi512ELi4ELi8ELb1EEvPKcS1_S1_S1_S1_PKiPfP15HIP_vector_typeIfLj2EEffffjfiS5_IjLj3EEiiiiiiiiiiiliiliiiiil
		.amdhsa_group_segment_fixed_size 59392
		.amdhsa_private_segment_fixed_size 0
		.amdhsa_kernarg_size 464
		.amdhsa_user_sgpr_count 2
		.amdhsa_user_sgpr_dispatch_ptr 0
		.amdhsa_user_sgpr_queue_ptr 0
		.amdhsa_user_sgpr_kernarg_segment_ptr 1
		.amdhsa_user_sgpr_dispatch_id 0
		.amdhsa_user_sgpr_kernarg_preload_length 0
		.amdhsa_user_sgpr_kernarg_preload_offset 0
		.amdhsa_user_sgpr_private_segment_size 0
		.amdhsa_uses_dynamic_stack 0
		.amdhsa_enable_private_segment 0
		.amdhsa_system_sgpr_workgroup_id_x 1
		.amdhsa_system_sgpr_workgroup_id_y 1
		.amdhsa_system_sgpr_workgroup_id_z 1
		.amdhsa_system_sgpr_workgroup_info 0
		.amdhsa_system_vgpr_workitem_id 1
		.amdhsa_next_free_vgpr 108
		.amdhsa_next_free_sgpr 96
		.amdhsa_accum_offset 108
		.amdhsa_reserve_vcc 1
		.amdhsa_float_round_mode_32 0
		.amdhsa_float_round_mode_16_64 0
		.amdhsa_float_denorm_mode_32 3
		.amdhsa_float_denorm_mode_16_64 3
		.amdhsa_dx10_clamp 1
		.amdhsa_ieee_mode 1
		.amdhsa_fp16_overflow 0
		.amdhsa_tg_split 0
		.amdhsa_exception_fp_ieee_invalid_op 0
		.amdhsa_exception_fp_denorm_src 0
		.amdhsa_exception_fp_ieee_div_zero 0
		.amdhsa_exception_fp_ieee_overflow 0
		.amdhsa_exception_fp_ieee_underflow 0
		.amdhsa_exception_fp_ieee_inexact 0
		.amdhsa_exception_int_div_zero 0
	.end_amdhsa_kernel
	.section	.text._ZL15flash_attn_tileILi512ELi512ELi4ELi8ELb1EEvPKcS1_S1_S1_S1_PKiPfP15HIP_vector_typeIfLj2EEffffjfiS5_IjLj3EEiiiiiiiiiiiliiliiiiil,"axG",@progbits,_ZL15flash_attn_tileILi512ELi512ELi4ELi8ELb1EEvPKcS1_S1_S1_S1_PKiPfP15HIP_vector_typeIfLj2EEffffjfiS5_IjLj3EEiiiiiiiiiiiliiliiiiil,comdat
.Lfunc_end26:
	.size	_ZL15flash_attn_tileILi512ELi512ELi4ELi8ELb1EEvPKcS1_S1_S1_S1_PKiPfP15HIP_vector_typeIfLj2EEffffjfiS5_IjLj3EEiiiiiiiiiiiliiliiiiil, .Lfunc_end26-_ZL15flash_attn_tileILi512ELi512ELi4ELi8ELb1EEvPKcS1_S1_S1_S1_PKiPfP15HIP_vector_typeIfLj2EEffffjfiS5_IjLj3EEiiiiiiiiiiiliiliiiiil
                                        ; -- End function
	.set _ZL15flash_attn_tileILi512ELi512ELi4ELi8ELb1EEvPKcS1_S1_S1_S1_PKiPfP15HIP_vector_typeIfLj2EEffffjfiS5_IjLj3EEiiiiiiiiiiiliiliiiiil.num_vgpr, 108
	.set _ZL15flash_attn_tileILi512ELi512ELi4ELi8ELb1EEvPKcS1_S1_S1_S1_PKiPfP15HIP_vector_typeIfLj2EEffffjfiS5_IjLj3EEiiiiiiiiiiiliiliiiiil.num_agpr, 0
	.set _ZL15flash_attn_tileILi512ELi512ELi4ELi8ELb1EEvPKcS1_S1_S1_S1_PKiPfP15HIP_vector_typeIfLj2EEffffjfiS5_IjLj3EEiiiiiiiiiiiliiliiiiil.numbered_sgpr, 40
	.set _ZL15flash_attn_tileILi512ELi512ELi4ELi8ELb1EEvPKcS1_S1_S1_S1_PKiPfP15HIP_vector_typeIfLj2EEffffjfiS5_IjLj3EEiiiiiiiiiiiliiliiiiil.num_named_barrier, 0
	.set _ZL15flash_attn_tileILi512ELi512ELi4ELi8ELb1EEvPKcS1_S1_S1_S1_PKiPfP15HIP_vector_typeIfLj2EEffffjfiS5_IjLj3EEiiiiiiiiiiiliiliiiiil.private_seg_size, 0
	.set _ZL15flash_attn_tileILi512ELi512ELi4ELi8ELb1EEvPKcS1_S1_S1_S1_PKiPfP15HIP_vector_typeIfLj2EEffffjfiS5_IjLj3EEiiiiiiiiiiiliiliiiiil.uses_vcc, 1
	.set _ZL15flash_attn_tileILi512ELi512ELi4ELi8ELb1EEvPKcS1_S1_S1_S1_PKiPfP15HIP_vector_typeIfLj2EEffffjfiS5_IjLj3EEiiiiiiiiiiiliiliiiiil.uses_flat_scratch, 0
	.set _ZL15flash_attn_tileILi512ELi512ELi4ELi8ELb1EEvPKcS1_S1_S1_S1_PKiPfP15HIP_vector_typeIfLj2EEffffjfiS5_IjLj3EEiiiiiiiiiiiliiliiiiil.has_dyn_sized_stack, 0
	.set _ZL15flash_attn_tileILi512ELi512ELi4ELi8ELb1EEvPKcS1_S1_S1_S1_PKiPfP15HIP_vector_typeIfLj2EEffffjfiS5_IjLj3EEiiiiiiiiiiiliiliiiiil.has_recursion, 0
	.set _ZL15flash_attn_tileILi512ELi512ELi4ELi8ELb1EEvPKcS1_S1_S1_S1_PKiPfP15HIP_vector_typeIfLj2EEffffjfiS5_IjLj3EEiiiiiiiiiiiliiliiiiil.has_indirect_call, 0
	.section	.AMDGPU.csdata,"",@progbits
; Kernel info:
; codeLenInByte = 72236
; TotalNumSgprs: 46
; NumVgprs: 108
; NumAgprs: 0
; TotalNumVgprs: 108
; ScratchSize: 0
; MemoryBound: 0
; FloatMode: 240
; IeeeMode: 1
; LDSByteSize: 59392 bytes/workgroup (compile time only)
; SGPRBlocks: 12
; VGPRBlocks: 13
; NumSGPRsForWavesPerEU: 102
; NumVGPRsForWavesPerEU: 108
; AccumOffset: 108
; Occupancy: 4
; WaveLimiterHint : 1
; COMPUTE_PGM_RSRC2:SCRATCH_EN: 0
; COMPUTE_PGM_RSRC2:USER_SGPR: 2
; COMPUTE_PGM_RSRC2:TRAP_HANDLER: 0
; COMPUTE_PGM_RSRC2:TGID_X_EN: 1
; COMPUTE_PGM_RSRC2:TGID_Y_EN: 1
; COMPUTE_PGM_RSRC2:TGID_Z_EN: 1
; COMPUTE_PGM_RSRC2:TIDIG_COMP_CNT: 1
; COMPUTE_PGM_RSRC3_GFX90A:ACCUM_OFFSET: 26
; COMPUTE_PGM_RSRC3_GFX90A:TG_SPLIT: 0
	.section	.text._ZL15flash_attn_tileILi512ELi512ELi2ELi8ELb1EEvPKcS1_S1_S1_S1_PKiPfP15HIP_vector_typeIfLj2EEffffjfiS5_IjLj3EEiiiiiiiiiiiliiliiiiil,"axG",@progbits,_ZL15flash_attn_tileILi512ELi512ELi2ELi8ELb1EEvPKcS1_S1_S1_S1_PKiPfP15HIP_vector_typeIfLj2EEffffjfiS5_IjLj3EEiiiiiiiiiiiliiliiiiil,comdat
	.globl	_ZL15flash_attn_tileILi512ELi512ELi2ELi8ELb1EEvPKcS1_S1_S1_S1_PKiPfP15HIP_vector_typeIfLj2EEffffjfiS5_IjLj3EEiiiiiiiiiiiliiliiiiil ; -- Begin function _ZL15flash_attn_tileILi512ELi512ELi2ELi8ELb1EEvPKcS1_S1_S1_S1_PKiPfP15HIP_vector_typeIfLj2EEffffjfiS5_IjLj3EEiiiiiiiiiiiliiliiiiil
	.p2align	8
	.type	_ZL15flash_attn_tileILi512ELi512ELi2ELi8ELb1EEvPKcS1_S1_S1_S1_PKiPfP15HIP_vector_typeIfLj2EEffffjfiS5_IjLj3EEiiiiiiiiiiiliiliiiiil,@function
_ZL15flash_attn_tileILi512ELi512ELi2ELi8ELb1EEvPKcS1_S1_S1_S1_PKiPfP15HIP_vector_typeIfLj2EEffffjfiS5_IjLj3EEiiiiiiiiiiiliiliiiiil: ; @_ZL15flash_attn_tileILi512ELi512ELi2ELi8ELb1EEvPKcS1_S1_S1_S1_PKiPfP15HIP_vector_typeIfLj2EEffffjfiS5_IjLj3EEiiiiiiiiiiiliiliiiiil
; %bb.0:
	s_load_dwordx4 s[20:23], s[0:1], 0x5c
	s_load_dwordx2 s[24:25], s[0:1], 0x80
	s_load_dwordx2 s[28:29], s[0:1], 0xb8
	s_mov_b64 s[26:27], 0
	s_waitcnt lgkmcnt(0)
	s_ashr_i32 s5, s23, 31
	s_lshr_b32 s5, s5, 29
	s_add_i32 s5, s23, s5
	s_ashr_i32 s5, s5, 3
	v_cvt_f32_u32_e32 v1, s5
	s_sub_i32 s6, 0, s5
	v_rcp_iflag_f32_e32 v1, v1
	s_nop 0
	v_mul_f32_e32 v1, 0x4f7ffffe, v1
	v_cvt_u32_f32_e32 v1, v1
	s_nop 0
	v_readfirstlane_b32 s7, v1
	s_mul_i32 s6, s6, s7
	s_mul_hi_u32 s6, s7, s6
	s_add_i32 s7, s7, s6
	s_mul_hi_u32 s6, s4, s7
	s_mul_i32 s7, s6, s5
	s_sub_i32 s7, s4, s7
	s_add_i32 s8, s6, 1
	s_sub_i32 s9, s7, s5
	s_cmp_ge_u32 s7, s5
	s_cselect_b32 s6, s8, s6
	s_cselect_b32 s7, s9, s7
	s_add_i32 s8, s6, 1
	s_cmp_ge_u32 s7, s5
	s_cselect_b32 s30, s8, s6
	s_abs_i32 s5, s25
	v_cvt_f32_u32_e32 v1, s5
	s_lshl_b32 s4, s4, 3
	s_mul_i32 s8, s30, s23
	s_xor_b32 s6, s23, s25
	v_rcp_iflag_f32_e32 v1, v1
	s_sub_i32 s9, 0, s5
	s_sub_i32 s25, s4, s8
	s_abs_i32 s7, s23
	v_mul_f32_e32 v1, 0x4f7ffffe, v1
	v_cvt_u32_f32_e32 v1, v1
	s_ashr_i32 s6, s6, 31
	v_readfirstlane_b32 s4, v1
	s_mul_i32 s9, s9, s4
	s_mul_hi_u32 s8, s4, s9
	s_add_i32 s4, s4, s8
	s_mul_hi_u32 s4, s7, s4
	s_mul_i32 s8, s4, s5
	s_sub_i32 s7, s7, s8
	s_add_i32 s9, s4, 1
	s_sub_i32 s8, s7, s5
	s_cmp_ge_u32 s7, s5
	s_cselect_b32 s4, s9, s4
	s_cselect_b32 s7, s8, s7
	s_add_i32 s8, s4, 1
	s_cmp_ge_u32 s7, s5
	s_cselect_b32 s4, s8, s4
	s_xor_b32 s4, s4, s6
	s_sub_i32 s33, s4, s6
	s_abs_i32 s31, s33
	v_cvt_f32_u32_e32 v1, s31
	s_load_dwordx16 s[4:19], s[0:1], 0x0
	v_rcp_iflag_f32_e32 v1, v1
	s_waitcnt lgkmcnt(0)
	s_cmp_eq_u64 s[10:11], 0
	v_mul_f32_e32 v1, 0x4f7ffffe, v1
	v_cvt_u32_f32_e32 v1, v1
	s_nop 0
	v_readfirstlane_b32 s34, v1
	s_cbranch_scc1 .LBB27_2
; %bb.1:
	s_abs_i32 s28, s28
	v_cvt_f32_u32_e32 v1, s28
	s_sub_i32 s37, 0, s28
	s_abs_i32 s36, s30
	s_ashr_i32 s35, s30, 31
	v_rcp_iflag_f32_e32 v1, v1
	s_load_dwordx2 s[26:27], s[0:1], 0xc8
	v_mul_f32_e32 v1, 0x4f7ffffe, v1
	v_cvt_u32_f32_e32 v1, v1
	s_nop 0
	v_readfirstlane_b32 s38, v1
	s_mul_i32 s37, s37, s38
	s_mul_hi_u32 s37, s38, s37
	s_add_i32 s38, s38, s37
	s_mul_hi_u32 s37, s36, s38
	s_mul_i32 s37, s37, s28
	s_sub_i32 s36, s36, s37
	s_sub_i32 s37, s36, s28
	s_cmp_ge_u32 s36, s28
	s_cselect_b32 s36, s37, s36
	s_sub_i32 s37, s36, s28
	s_cmp_ge_u32 s36, s28
	s_cselect_b32 s28, s37, s36
	s_xor_b32 s28, s28, s35
	s_sub_i32 s28, s28, s35
	s_ashr_i32 s35, s28, 31
	s_waitcnt lgkmcnt(0)
	s_mul_hi_u32 s36, s26, s28
	s_mul_i32 s35, s26, s35
	s_mul_i32 s27, s27, s28
	s_add_i32 s35, s36, s35
	s_add_i32 s35, s35, s27
	s_mul_i32 s26, s26, s28
	s_add_u32 s26, s10, s26
	s_addc_u32 s27, s11, s35
.LBB27_2:
	s_load_dwordx4 s[36:39], s[0:1], 0x70
	v_lshrrev_b32_e32 v2, 10, v0
	v_bfe_u32 v2, v2, 2, 8
	v_lshl_add_u32 v5, s2, 1, v2
	v_mul_hi_u32 v2, s20, v5
	s_waitcnt lgkmcnt(0)
	s_mul_i32 s10, s30, s38
	s_ashr_i32 s28, s10, 31
	s_mul_i32 s11, s25, s37
	s_add_u32 s4, s4, s10
	s_addc_u32 s5, s5, s28
	s_ashr_i32 s10, s11, 31
	v_add_u32_e32 v2, v5, v2
	s_add_u32 s4, s4, s11
	v_lshrrev_b32_e32 v2, s21, v2
	s_addc_u32 s5, s5, s10
	s_ashr_i32 s11, s37, 31
	s_mov_b32 s10, s37
	v_mul_lo_u32 v2, v2, s22
	s_ashr_i32 s37, s36, 31
	v_sub_u32_e32 v2, v5, v2
	s_lshr_b64 s[20:21], s[36:37], 2
	v_mad_u64_u32 v[6:7], s[20:21], s20, v2, 0
	s_lshr_b64 s[38:39], s[10:11], 2
	v_mov_b32_e32 v4, v7
	s_lshr_b32 s10, s37, 2
	v_bfe_u32 v1, v0, 10, 10
	v_mad_u64_u32 v[8:9], s[20:21], s10, v2, v[4:5]
	v_lshlrev_b32_e32 v3, 1, v1
	v_mov_b32_e32 v7, v8
	v_and_b32_e32 v4, 0x3ff, v0
	v_mov_b32_e32 v9, 0
	v_lshl_add_u64 v[6:7], v[6:7], 2, s[4:5]
	v_lshlrev_b32_e32 v8, 4, v4
	v_and_b32_e32 v20, 6, v3
	v_lshl_add_u64 v[18:19], v[6:7], 0, v[8:9]
	v_mad_u64_u32 v[6:7], s[4:5], s38, v20, 0
	v_mov_b32_e32 v0, v7
	s_lshr_b32 s10, s11, 2
	v_mad_u64_u32 v[8:9], s[4:5], s10, v20, v[0:1]
	v_mov_b32_e32 v7, v8
	v_lshl_add_u64 v[22:23], v[6:7], 2, v[18:19]
	global_load_dwordx4 v[6:9], v[22:23], off
	global_load_dwordx4 v[10:13], v[22:23], off offset:512
	global_load_dwordx4 v[14:17], v[22:23], off offset:1024
	;; [unrolled: 1-line block ×3, first 2 shown]
	v_bitop3_b32 v21, v3, 7, 1 bitop3:0xc8
	v_mad_u64_u32 v[22:23], s[4:5], s38, v21, 0
	v_mov_b32_e32 v0, v23
	v_mad_u64_u32 v[28:29], s[4:5], s10, v21, v[0:1]
	v_mov_b32_e32 v23, v28
	v_lshl_add_u64 v[18:19], v[22:23], 2, v[18:19]
	global_load_dwordx4 v[28:31], v[18:19], off
	global_load_dwordx4 v[32:35], v[18:19], off offset:512
	global_load_dwordx4 v[36:39], v[18:19], off offset:1024
	;; [unrolled: 1-line block ×3, first 2 shown]
	s_load_dword s4, s[0:1], 0x40
	v_lshlrev_b32_e32 v0, 3, v4
	v_lshlrev_b32_e32 v22, 11, v1
	v_add_u32_e32 v21, v0, v22
	v_or_b32_e32 v3, 1, v3
	v_lshl_add_u32 v3, v3, 10, v0
	s_cmp_eq_u64 s[14:15], 0
	s_waitcnt vmcnt(7) lgkmcnt(0)
	v_fma_mixlo_f16 v6, s4, v6, 0
	v_fma_mixlo_f16 v7, s4, v7, 0
	;; [unrolled: 1-line block ×4, first 2 shown]
	s_waitcnt vmcnt(6)
	v_fma_mixlo_f16 v10, s4, v10, 0
	v_fma_mixlo_f16 v11, s4, v11, 0
	;; [unrolled: 1-line block ×4, first 2 shown]
	v_lshlrev_b32_e32 v7, 16, v7
	v_and_b32_e32 v6, 0xffff, v6
	v_lshlrev_b32_e32 v9, 16, v9
	v_and_b32_e32 v8, 0xffff, v8
	;; [unrolled: 2-line block ×4, first 2 shown]
	v_or_b32_e32 v6, v7, v6
	v_or3_b32 v7, v9, v8, 0
	v_or_b32_e32 v8, v11, v10
	s_waitcnt vmcnt(5)
	v_fma_mixlo_f16 v14, s4, v14, 0
	v_fma_mixlo_f16 v15, s4, v15, 0
	s_waitcnt vmcnt(4)
	v_fma_mixlo_f16 v18, s4, v24, 0
	v_fma_mixlo_f16 v19, s4, v25, 0
	v_or3_b32 v9, v13, v12, 0
	v_or3_b32 v6, 0, 0, v6
	;; [unrolled: 1-line block ×3, first 2 shown]
	v_fma_mixlo_f16 v16, s4, v16, 0
	v_fma_mixlo_f16 v17, s4, v17, 0
	v_lshlrev_b32_e32 v15, 16, v15
	v_and_b32_e32 v14, 0xffff, v14
	v_lshlrev_b32_e32 v19, 16, v19
	v_and_b32_e32 v18, 0xffff, v18
	ds_write2_b64 v21, v[6:7], v[8:9] offset1:32
	v_fma_mixlo_f16 v6, s4, v26, 0
	v_fma_mixlo_f16 v7, s4, v27, 0
	v_lshlrev_b32_e32 v17, 16, v17
	v_and_b32_e32 v16, 0xffff, v16
	v_or_b32_e32 v10, v15, v14
	v_or_b32_e32 v12, v19, v18
	v_lshlrev_b32_e32 v7, 16, v7
	v_and_b32_e32 v6, 0xffff, v6
	v_or3_b32 v11, v17, v16, 0
	v_or3_b32 v10, 0, 0, v10
	;; [unrolled: 1-line block ×4, first 2 shown]
	ds_write2_b64 v21, v[10:11], v[6:7] offset0:64 offset1:96
	s_waitcnt vmcnt(3)
	v_fma_mixlo_f16 v6, s4, v28, 0
	v_fma_mixlo_f16 v7, s4, v29, 0
	v_lshlrev_b32_e32 v7, 16, v7
	v_and_b32_e32 v6, 0xffff, v6
	v_or_b32_e32 v6, v7, v6
	v_fma_mixlo_f16 v7, s4, v30, 0
	v_fma_mixlo_f16 v8, s4, v31, 0
	v_lshlrev_b32_e32 v8, 16, v8
	v_and_b32_e32 v7, 0xffff, v7
	v_or3_b32 v7, v8, v7, 0
	s_waitcnt vmcnt(2)
	v_fma_mixlo_f16 v8, s4, v32, 0
	v_fma_mixlo_f16 v9, s4, v33, 0
	v_lshlrev_b32_e32 v9, 16, v9
	v_and_b32_e32 v8, 0xffff, v8
	v_or_b32_e32 v8, v9, v8
	v_fma_mixlo_f16 v9, s4, v34, 0
	v_fma_mixlo_f16 v10, s4, v35, 0
	v_lshlrev_b32_e32 v10, 16, v10
	v_and_b32_e32 v9, 0xffff, v9
	v_or3_b32 v6, 0, 0, v6
	v_or3_b32 v9, v10, v9, 0
	;; [unrolled: 1-line block ×3, first 2 shown]
	ds_write2_b64 v3, v[6:7], v[8:9] offset1:32
	s_waitcnt vmcnt(1)
	v_fma_mixlo_f16 v6, s4, v36, 0
	v_fma_mixlo_f16 v7, s4, v37, 0
	v_lshlrev_b32_e32 v7, 16, v7
	v_and_b32_e32 v6, 0xffff, v6
	v_or_b32_e32 v6, v7, v6
	v_fma_mixlo_f16 v7, s4, v38, 0
	v_fma_mixlo_f16 v8, s4, v39, 0
	v_lshlrev_b32_e32 v8, 16, v8
	v_and_b32_e32 v7, 0xffff, v7
	v_or3_b32 v7, v8, v7, 0
	s_waitcnt vmcnt(0)
	v_fma_mixlo_f16 v8, s4, v40, 0
	v_fma_mixlo_f16 v9, s4, v41, 0
	v_lshlrev_b32_e32 v9, 16, v9
	v_and_b32_e32 v8, 0xffff, v8
	v_or_b32_e32 v8, v9, v8
	v_fma_mixlo_f16 v9, s4, v42, 0
	v_fma_mixlo_f16 v10, s4, v43, 0
	v_lshlrev_b32_e32 v10, 16, v10
	v_and_b32_e32 v9, 0xffff, v9
	v_or3_b32 v6, 0, 0, v6
	v_or3_b32 v9, v10, v9, 0
	;; [unrolled: 1-line block ×3, first 2 shown]
	ds_write2_b64 v3, v[6:7], v[8:9] offset0:64 offset1:96
	s_waitcnt lgkmcnt(0)
	s_barrier
	s_cbranch_scc1 .LBB27_4
; %bb.3:
	s_load_dword s4, s[0:1], 0xd0
	s_mov_b32 s5, 0
	s_waitcnt lgkmcnt(0)
	s_mul_i32 s4, s4, s30
	s_add_i32 s4, s4, s2
	s_lshl_b64 s[4:5], s[4:5], 2
	s_add_u32 s4, s14, s4
	s_addc_u32 s5, s15, s5
	s_load_dword s24, s[4:5], 0x0
.LBB27_4:
	s_lshl_b32 s2, s3, 6
	v_lshlrev_b32_e32 v21, 2, v4
	s_waitcnt lgkmcnt(0)
	s_cmp_lt_i32 s2, s24
	v_mbcnt_lo_u32_b32 v3, -1, 0
	s_cbranch_scc1 .LBB27_19
; %bb.5:
	v_mbcnt_hi_u32_b32 v15, -1, v3
	v_and_b32_e32 v6, 0x60, v15
	v_add_u32_e32 v50, 32, v6
	v_xor_b32_e32 v55, 16, v15
	v_xor_b32_e32 v51, 8, v15
	;; [unrolled: 1-line block ×5, first 2 shown]
	s_cbranch_execz .LBB27_20
; %bb.6:
	v_mov_b32_e32 v7, 0
	v_mov_b32_e32 v19, 0xfeffffff
	;; [unrolled: 1-line block ×20, first 2 shown]
.LBB27_7:
	v_cmp_lt_i32_e32 vcc, v55, v50
	s_cmp_lg_u64 s[12:13], 0
	s_cselect_b64 s[4:5], -1, 0
	v_cndmask_b32_e32 v0, v15, v55, vcc
	v_lshlrev_b32_e32 v1, 2, v0
	ds_bpermute_b32 v0, v1, v6
	ds_bpermute_b32 v1, v1, v7
	v_cmp_lt_i32_e32 vcc, v51, v50
	s_cmp_eq_u32 s3, 0
	s_cselect_b64 s[6:7], -1, 0
	v_cndmask_b32_e32 v2, v15, v51, vcc
	v_lshlrev_b32_e32 v3, 2, v2
	s_waitcnt lgkmcnt(0)
	v_pk_add_f32 v[0:1], v[6:7], v[0:1]
	ds_bpermute_b32 v2, v3, v0
	ds_bpermute_b32 v3, v3, v1
	v_cmp_lt_i32_e32 vcc, v52, v50
	s_and_b64 s[4:5], s[6:7], s[4:5]
	s_waitcnt lgkmcnt(0)
	v_pk_add_f32 v[0:1], v[0:1], v[2:3]
	v_cndmask_b32_e32 v6, v15, v52, vcc
	v_lshlrev_b32_e32 v6, 2, v6
	ds_bpermute_b32 v2, v6, v0
	ds_bpermute_b32 v3, v6, v1
	v_cmp_lt_i32_e32 vcc, v53, v50
	s_waitcnt lgkmcnt(0)
	v_pk_add_f32 v[0:1], v[0:1], v[2:3]
	v_cndmask_b32_e32 v6, v15, v53, vcc
	v_lshlrev_b32_e32 v6, 2, v6
	ds_bpermute_b32 v2, v6, v0
	ds_bpermute_b32 v3, v6, v1
	v_cmp_lt_i32_e32 vcc, v54, v50
	s_waitcnt lgkmcnt(0)
	v_pk_add_f32 v[0:1], v[0:1], v[2:3]
	v_cndmask_b32_e32 v6, v15, v54, vcc
	v_lshlrev_b32_e32 v6, 2, v6
	ds_bpermute_b32 v2, v6, v0
	ds_bpermute_b32 v3, v6, v1
	s_and_b64 vcc, exec, s[4:5]
	s_waitcnt lgkmcnt(0)
	v_pk_add_f32 v[0:1], v[0:1], v[2:3]
	s_cbranch_vccz .LBB27_9
; %bb.8:
	v_add_u32_e32 v2, s25, v20
	v_ashrrev_i32_e32 v3, 31, v2
	v_lshl_add_u64 v[2:3], v[2:3], 2, s[12:13]
	global_load_dwordx2 v[2:3], v[2:3], off
	v_max_f32_e32 v6, v18, v18
	v_max_f32_e32 v7, v19, v19
	s_mov_b32 s2, 0x3fb8aa3b
	s_mov_b32 s4, 0xc2ce8ed0
	s_mov_b32 s5, 0x42b17218
	v_mov_b32_e32 v9, 0x7f800000
	s_waitcnt vmcnt(0)
	v_max_f32_e32 v8, v2, v2
	v_max_f32_e32 v6, v6, v8
	;; [unrolled: 1-line block ×3, first 2 shown]
	v_sub_f32_e32 v8, v18, v6
	v_max_f32_e32 v7, v7, v10
	v_sub_f32_e32 v10, v2, v6
	v_mul_f32_e32 v2, 0x3fb8aa3b, v8
	v_sub_f32_e32 v11, v19, v7
	v_sub_f32_e32 v12, v3, v7
	v_mul_f32_e32 v3, 0x3fb8aa3b, v10
	v_fma_f32 v15, v8, s2, -v2
	v_rndne_f32_e32 v16, v2
	v_mul_f32_e32 v13, 0x3fb8aa3b, v11
	v_fma_f32 v17, v10, s2, -v3
	v_rndne_f32_e32 v18, v3
	v_fmac_f32_e32 v15, 0x32a5705f, v8
	v_sub_f32_e32 v2, v2, v16
	v_mul_f32_e32 v14, 0x3fb8aa3b, v12
	v_fma_f32 v19, v11, s2, -v13
	v_rndne_f32_e32 v22, v13
	v_fmac_f32_e32 v17, 0x32a5705f, v10
	v_sub_f32_e32 v3, v3, v18
	v_add_f32_e32 v2, v2, v15
	v_fma_f32 v23, v12, s2, -v14
	v_rndne_f32_e32 v24, v14
	v_cvt_i32_f32_e32 v16, v16
	v_fmac_f32_e32 v19, 0x32a5705f, v11
	v_sub_f32_e32 v13, v13, v22
	v_add_f32_e32 v3, v3, v17
	v_exp_f32_e32 v2, v2
	v_cvt_i32_f32_e32 v18, v18
	v_fmac_f32_e32 v23, 0x32a5705f, v12
	v_sub_f32_e32 v14, v14, v24
	v_add_f32_e32 v13, v13, v19
	v_exp_f32_e32 v3, v3
	v_cvt_i32_f32_e32 v22, v22
	v_add_f32_e32 v14, v14, v23
	v_exp_f32_e32 v13, v13
	v_cvt_i32_f32_e32 v24, v24
	v_exp_f32_e32 v14, v14
	v_ldexp_f32 v2, v2, v16
	v_cmp_ngt_f32_e32 vcc, s4, v8
	v_ldexp_f32 v3, v3, v18
	v_ldexp_f32 v13, v13, v22
	v_cndmask_b32_e32 v2, 0, v2, vcc
	v_cmp_ngt_f32_e32 vcc, s4, v10
	v_ldexp_f32 v14, v14, v24
	v_mov_b64_e32 v[18:19], v[6:7]
	v_cndmask_b32_e32 v3, 0, v3, vcc
	v_cmp_ngt_f32_e32 vcc, s4, v11
	s_nop 1
	v_cndmask_b32_e32 v13, 0, v13, vcc
	v_cmp_ngt_f32_e32 vcc, s4, v12
	s_nop 1
	v_cndmask_b32_e32 v14, 0, v14, vcc
	v_cmp_nlt_f32_e32 vcc, s5, v8
	s_nop 1
	v_cndmask_b32_e32 v2, v9, v2, vcc
	v_cmp_nlt_f32_e32 vcc, s5, v10
	v_cvt_f16_f32_e32 v10, v2
	s_nop 0
	v_cndmask_b32_e32 v8, v9, v3, vcc
	v_cmp_nlt_f32_e32 vcc, s5, v11
	s_nop 1
	v_cndmask_b32_e32 v3, v9, v13, vcc
	v_cvt_f16_f32_e32 v11, v3
	v_cmp_nlt_f32_e32 vcc, s5, v12
	s_nop 1
	v_cndmask_b32_e32 v9, v9, v14, vcc
	v_pk_fma_f32 v[0:1], v[0:1], v[2:3], v[8:9]
	v_mul_u32_u24_e32 v2, 0x10001, v10
	v_mul_u32_u24_e32 v3, 0x10001, v11
	v_pk_mul_f16 v40, v40, v2
	v_pk_mul_f16 v47, v47, v2
	;; [unrolled: 1-line block ×16, first 2 shown]
.LBB27_9:
	v_cmp_gt_i32_e32 vcc, s22, v5
	s_and_saveexec_b64 s[4:5], vcc
	s_cbranch_execz .LBB27_18
; %bb.10:
	s_load_dword s6, s[0:1], 0xd4
	v_mov_b32_e32 v6, 1.0
	s_waitcnt lgkmcnt(0)
	s_cmp_lg_u32 s6, 1
	s_cselect_b64 s[0:1], -1, 0
	s_cmp_eq_u32 s6, 1
	s_cselect_b64 s[4:5], -1, 0
	s_and_b64 vcc, exec, s[0:1]
	s_cbranch_vccnz .LBB27_12
; %bb.11:
	v_div_scale_f32 v2, s[8:9], v0, v0, 1.0
	v_rcp_f32_e32 v3, v2
	v_div_scale_f32 v6, vcc, 1.0, v0, 1.0
	v_fma_f32 v7, -v2, v3, 1.0
	v_fmac_f32_e32 v3, v7, v3
	v_mul_f32_e32 v7, v6, v3
	v_fma_f32 v8, -v2, v7, v6
	v_fmac_f32_e32 v7, v8, v3
	v_fma_f32 v2, -v2, v7, v6
	v_div_fmas_f32 v2, v2, v3, v7
	v_div_fixup_f32 v6, v2, v0, 1.0
.LBB27_12:
	s_mul_i32 s30, s30, s22
	v_add_u32_e32 v2, s30, v5
	v_mul_lo_u32 v2, v2, s23
	v_add3_u32 v2, s25, v20, v2
	v_cvt_f32_f16_sdwa v9, v40 dst_sel:DWORD dst_unused:UNUSED_PAD src0_sel:WORD_1
	v_cvt_f32_f16_e32 v8, v40
	v_cvt_f32_f16_sdwa v11, v47 dst_sel:DWORD dst_unused:UNUSED_PAD src0_sel:WORD_1
	v_cvt_f32_f16_e32 v10, v47
	v_mul_lo_u32 v2, s6, v2
	v_add_u32_e32 v2, s3, v2
	v_cmp_eq_u32_e32 vcc, 0, v4
	v_lshl_add_u32 v4, v2, 9, v21
	v_mov_b32_e32 v5, 0
	v_lshl_add_u64 v[12:13], v[4:5], 2, s[16:17]
	v_pk_mul_f32 v[8:9], v[6:7], v[8:9] op_sel_hi:[0,1]
	v_pk_mul_f32 v[10:11], v[6:7], v[10:11] op_sel_hi:[0,1]
	global_store_dwordx4 v[12:13], v[8:11], off
	v_cvt_f32_f16_sdwa v13, v45 dst_sel:DWORD dst_unused:UNUSED_PAD src0_sel:WORD_1
	v_cvt_f32_f16_e32 v12, v45
	v_cvt_f32_f16_sdwa v11, v46 dst_sel:DWORD dst_unused:UNUSED_PAD src0_sel:WORD_1
	v_cvt_f32_f16_e32 v10, v46
	v_add_u32_e32 v8, 0x80, v4
	v_mov_b32_e32 v9, v5
	v_lshl_add_u64 v[14:15], v[8:9], 2, s[16:17]
	v_pk_mul_f32 v[8:9], v[6:7], v[10:11] op_sel_hi:[0,1]
	v_pk_mul_f32 v[10:11], v[6:7], v[12:13] op_sel_hi:[0,1]
	global_store_dwordx4 v[14:15], v[8:11], off
	v_cvt_f32_f16_sdwa v13, v43 dst_sel:DWORD dst_unused:UNUSED_PAD src0_sel:WORD_1
	v_cvt_f32_f16_e32 v12, v43
	v_cvt_f32_f16_sdwa v11, v44 dst_sel:DWORD dst_unused:UNUSED_PAD src0_sel:WORD_1
	v_cvt_f32_f16_e32 v10, v44
	v_add_u32_e32 v8, 0x100, v4
	v_mov_b32_e32 v9, v5
	v_lshl_add_u64 v[14:15], v[8:9], 2, s[16:17]
	v_pk_mul_f32 v[8:9], v[6:7], v[10:11] op_sel_hi:[0,1]
	v_pk_mul_f32 v[10:11], v[6:7], v[12:13] op_sel_hi:[0,1]
	global_store_dwordx4 v[14:15], v[8:11], off
	v_add_u32_e32 v4, 0x180, v4
	s_and_b64 s[0:1], vcc, s[0:1]
	v_cvt_f32_f16_sdwa v9, v42 dst_sel:DWORD dst_unused:UNUSED_PAD src0_sel:WORD_1
	v_cvt_f32_f16_e32 v8, v42
	v_cvt_f32_f16_sdwa v11, v41 dst_sel:DWORD dst_unused:UNUSED_PAD src0_sel:WORD_1
	v_cvt_f32_f16_e32 v10, v41
	v_lshl_add_u64 v[12:13], v[4:5], 2, s[16:17]
	v_pk_mul_f32 v[4:5], v[6:7], v[8:9] op_sel_hi:[0,1]
	v_pk_mul_f32 v[6:7], v[6:7], v[10:11] op_sel_hi:[0,1]
	global_store_dwordx4 v[12:13], v[4:7], off
	s_and_saveexec_b64 s[2:3], s[0:1]
	s_cbranch_execz .LBB27_14
; %bb.13:
	v_ashrrev_i32_e32 v3, 31, v2
	v_lshl_add_u64 v[4:5], v[2:3], 3, s[18:19]
	v_mov_b32_e32 v6, v18
	v_mov_b32_e32 v7, v0
	global_store_dwordx2 v[4:5], v[6:7], off
.LBB27_14:
	s_or_b64 exec, exec, s[2:3]
	s_andn2_b64 vcc, exec, s[4:5]
	v_mov_b32_e32 v0, 1.0
	s_cbranch_vccnz .LBB27_16
; %bb.15:
	v_div_scale_f32 v0, s[2:3], v1, v1, 1.0
	v_rcp_f32_e32 v3, v0
	v_div_scale_f32 v4, vcc, 1.0, v1, 1.0
	v_fma_f32 v5, -v0, v3, 1.0
	v_fmac_f32_e32 v3, v5, v3
	v_mul_f32_e32 v5, v4, v3
	v_fma_f32 v6, -v0, v5, v4
	v_fmac_f32_e32 v5, v6, v3
	v_fma_f32 v0, -v0, v5, v4
	v_div_fmas_f32 v0, v0, v3, v5
	v_div_fixup_f32 v0, v0, v1, 1.0
.LBB27_16:
	v_cvt_f32_f16_sdwa v5, v36 dst_sel:DWORD dst_unused:UNUSED_PAD src0_sel:WORD_1
	v_cvt_f32_f16_e32 v4, v36
	v_cvt_f32_f16_sdwa v7, v39 dst_sel:DWORD dst_unused:UNUSED_PAD src0_sel:WORD_1
	v_cvt_f32_f16_e32 v6, v39
	v_add_u32_e32 v2, s6, v2
	v_lshl_add_u32 v8, v2, 9, v21
	v_mov_b32_e32 v9, 0
	v_lshl_add_u64 v[10:11], v[8:9], 2, s[16:17]
	v_pk_mul_f32 v[4:5], v[0:1], v[4:5] op_sel_hi:[0,1]
	v_pk_mul_f32 v[6:7], v[0:1], v[6:7] op_sel_hi:[0,1]
	global_store_dwordx4 v[10:11], v[4:7], off
	v_cvt_f32_f16_sdwa v11, v37 dst_sel:DWORD dst_unused:UNUSED_PAD src0_sel:WORD_1
	v_cvt_f32_f16_e32 v10, v37
	v_cvt_f32_f16_sdwa v7, v38 dst_sel:DWORD dst_unused:UNUSED_PAD src0_sel:WORD_1
	v_cvt_f32_f16_e32 v6, v38
	v_add_u32_e32 v4, 0x80, v8
	v_mov_b32_e32 v5, v9
	v_lshl_add_u64 v[12:13], v[4:5], 2, s[16:17]
	v_pk_mul_f32 v[4:5], v[0:1], v[6:7] op_sel_hi:[0,1]
	v_pk_mul_f32 v[6:7], v[0:1], v[10:11] op_sel_hi:[0,1]
	global_store_dwordx4 v[12:13], v[4:7], off
	v_cvt_f32_f16_sdwa v11, v35 dst_sel:DWORD dst_unused:UNUSED_PAD src0_sel:WORD_1
	v_cvt_f32_f16_e32 v10, v35
	v_cvt_f32_f16_sdwa v7, v34 dst_sel:DWORD dst_unused:UNUSED_PAD src0_sel:WORD_1
	v_cvt_f32_f16_e32 v6, v34
	v_add_u32_e32 v4, 0x100, v8
	v_mov_b32_e32 v5, v9
	v_lshl_add_u64 v[12:13], v[4:5], 2, s[16:17]
	v_pk_mul_f32 v[4:5], v[0:1], v[6:7] op_sel_hi:[0,1]
	v_pk_mul_f32 v[6:7], v[0:1], v[10:11] op_sel_hi:[0,1]
	global_store_dwordx4 v[12:13], v[4:7], off
	v_add_u32_e32 v8, 0x180, v8
	v_lshl_add_u64 v[8:9], v[8:9], 2, s[16:17]
	v_cvt_f32_f16_sdwa v5, v33 dst_sel:DWORD dst_unused:UNUSED_PAD src0_sel:WORD_1
	v_cvt_f32_f16_e32 v4, v33
	v_cvt_f32_f16_sdwa v7, v32 dst_sel:DWORD dst_unused:UNUSED_PAD src0_sel:WORD_1
	v_cvt_f32_f16_e32 v6, v32
	v_pk_mul_f32 v[4:5], v[0:1], v[4:5] op_sel_hi:[0,1]
	v_pk_mul_f32 v[6:7], v[0:1], v[6:7] op_sel_hi:[0,1]
	global_store_dwordx4 v[8:9], v[4:7], off
	s_and_b64 exec, exec, s[0:1]
	s_cbranch_execz .LBB27_18
; %bb.17:
	v_ashrrev_i32_e32 v3, 31, v2
	v_lshl_add_u64 v[2:3], v[2:3], 3, s[18:19]
	v_mov_b32_e32 v0, v19
	global_store_dwordx2 v[2:3], v[0:1], off
.LBB27_18:
	s_endpgm
.LBB27_19:
                                        ; implicit-def: $vgpr15
                                        ; implicit-def: $vgpr50
                                        ; implicit-def: $vgpr55
                                        ; implicit-def: $vgpr51
                                        ; implicit-def: $vgpr52
                                        ; implicit-def: $vgpr53
                                        ; implicit-def: $vgpr54
.LBB27_20:
	s_sub_i32 s4, 0, s31
	s_mul_i32 s4, s4, s34
	s_mul_hi_u32 s4, s34, s4
	s_add_i32 s34, s34, s4
	s_load_dwordx4 s[36:39], s[0:1], 0x98
	s_load_dword s10, s[0:1], 0x54
	s_load_dwordx2 s[4:5], s[0:1], 0x8c
	s_ashr_i32 s28, s33, 31
	s_abs_i32 s15, s25
	s_waitcnt lgkmcnt(0)
	s_ashr_i32 s11, s38, 2
	s_mul_hi_u32 s33, s36, s30
	s_ashr_i32 s14, s4, 2
	s_ashr_i32 s4, s30, 31
	s_mul_i32 s38, s36, s4
	s_add_i32 s33, s33, s38
	s_mul_i32 s37, s37, s30
	s_ashr_i32 s21, s25, 31
	s_ashr_i32 s29, s29, 1
	s_add_i32 s33, s33, s37
	s_mul_i32 s36, s36, s30
	s_mul_hi_u32 s20, s15, s34
	s_add_u32 s6, s6, s36
	s_addc_u32 s7, s7, s33
	s_xor_b32 s21, s21, s28
	s_mul_i32 s28, s20, s31
	s_sub_i32 s15, s15, s28
	s_add_i32 s28, s20, 1
	s_sub_i32 s33, s15, s31
	s_cmp_ge_u32 s15, s31
	s_cselect_b32 s20, s28, s20
	s_cselect_b32 s15, s33, s15
	s_add_i32 s28, s20, 1
	s_cmp_ge_u32 s15, s31
	s_load_dwordx2 s[34:35], s[0:1], 0xa8
	s_cselect_b32 s15, s28, s20
	s_xor_b32 s15, s15, s21
	s_sub_i32 s21, s15, s21
	s_mul_i32 s5, s21, s5
	s_ashr_i32 s20, s5, 31
	s_add_u32 s15, s6, s5
	s_waitcnt lgkmcnt(0)
	s_mul_hi_u32 s5, s34, s30
	s_mul_i32 s4, s34, s4
	s_addc_u32 s20, s7, s20
	s_add_i32 s4, s5, s4
	s_mul_i32 s5, s35, s30
	s_add_i32 s4, s4, s5
	s_mul_i32 s5, s34, s30
	s_add_u32 s5, s8, s5
	s_mul_i32 s21, s21, s39
	s_addc_u32 s6, s9, s4
	s_ashr_i32 s7, s21, 31
	v_lshrrev_b32_e32 v6, 3, v4
	s_add_u32 s4, s5, s21
	v_lshl_add_u32 v7, v1, 2, v6
	v_and_b32_e32 v6, 28, v21
	s_addc_u32 s5, s6, s7
	v_lshlrev_b32_e32 v8, 2, v6
	s_movk_i32 s6, 0x90
	v_mad_u32_u24 v8, v7, s6, v8
	v_mul_lo_u32 v10, s14, v7
	v_mov_b32_e32 v7, 0x4000
	v_mul_lo_u32 v16, s11, v1
	v_add_u32_e32 v23, 0x4000, v8
	v_add_u32_e32 v24, 0x5200, v8
	v_mad_u32_u24 v25, v4, s6, v7
	v_mad_u64_u32 v[14:15], s[6:7], v2, s29, v[4:5]
	v_mov_b32_e32 v2, 0x6400
	v_lshlrev_b32_e32 v8, 2, v21
	v_ashrrev_i32_e32 v17, 31, v16
	v_mov_b32_e32 v9, 0
	v_lshl_add_u32 v12, s14, 5, v10
	v_lshl_add_u32 v26, v1, 8, v2
	;; [unrolled: 1-line block ×3, first 2 shown]
	v_lshl_add_u64 v[16:17], v[16:17], 2, s[4:5]
	s_add_u32 s4, s0, 0xd0
	v_ashrrev_i32_e32 v11, 31, v10
	v_ashrrev_i32_e32 v13, 31, v12
	v_add_u32_e32 v27, 0x4000, v2
	v_add_u32_e32 v28, 0x4200, v2
	v_or_b32_e32 v29, 0x4000, v0
	s_addc_u32 s5, s1, 0
	v_lshl_add_u64 v[16:17], v[16:17], 0, v[8:9]
	v_mov_b32_e32 v49, 0xfeffffff
	v_lshlrev_b32_e32 v8, 2, v6
	s_mov_b32 s8, 0x3f200000
	s_mov_b32 s9, 0x3fb8aa3b
	;; [unrolled: 1-line block ×4, first 2 shown]
	v_mov_b32_e32 v30, 0x3ca908c9
	s_brev_b32 s29, -2
	s_mov_b32 s31, 0x10001
	v_mov_b32_e32 v31, 0x7f800000
	v_mbcnt_hi_u32_b32 v15, -1, v3
	v_mov_b32_e32 v32, v9
	v_mov_b32_e32 v33, v9
	;; [unrolled: 1-line block ×19, first 2 shown]
                                        ; implicit-def: $vgpr0
                                        ; implicit-def: $vgpr0
	;; [unrolled: 1-line block ×3, first 2 shown]
.LBB27_21:                              ; =>This Inner Loop Header: Depth=1
	s_mul_hi_i32 s7, s2, s14
	s_mul_i32 s6, s2, s14
	s_lshl_b64 s[6:7], s[6:7], 2
	s_add_u32 s6, s15, s6
	s_addc_u32 s7, s20, s7
	v_lshl_add_u64 v[0:1], v[10:11], 2, s[6:7]
	v_lshl_add_u64 v[0:1], v[0:1], 0, v[8:9]
	;; [unrolled: 1-line block ×4, first 2 shown]
	global_load_dwordx4 v[52:55], v[0:1], off
	global_load_dwordx4 v[56:59], v[2:3], off
	v_mov_b32_e32 v50, 0
	v_mov_b32_e32 v18, 0
	v_mov_b32_e32 v51, 0
	v_mov_b32_e32 v19, 0
	s_waitcnt vmcnt(1)
	ds_write_b128 v23, v[52:55]
	s_waitcnt vmcnt(0)
	ds_write_b128 v24, v[56:59]
	s_waitcnt lgkmcnt(0)
	s_barrier
	ds_read_b128 v[52:55], v25
	ds_read_b128 v[56:59], v22
	ds_read_b128 v[60:63], v25 offset:4608
	ds_read_b128 v[64:67], v22 offset:1024
	s_waitcnt lgkmcnt(2)
	;;#ASMSTART
	v_dot2_f32_f16 v50, v52, v56, v50
	;;#ASMEND
	s_nop 0
	;;#ASMSTART
	v_dot2_f32_f16 v50, v53, v57, v50
	;;#ASMEND
	s_nop 0
	;; [unrolled: 4-line block ×3, first 2 shown]
	;;#ASMSTART
	v_dot2_f32_f16 v50, v55, v59, v50
	;;#ASMEND
	s_waitcnt lgkmcnt(0)
	;;#ASMSTART
	v_dot2_f32_f16 v18, v52, v64, v18
	;;#ASMEND
	s_nop 0
	;;#ASMSTART
	v_dot2_f32_f16 v18, v53, v65, v18
	;;#ASMEND
	s_nop 0
	;;#ASMSTART
	v_dot2_f32_f16 v18, v54, v66, v18
	;;#ASMEND
	s_nop 0
	;;#ASMSTART
	v_dot2_f32_f16 v18, v55, v67, v18
	;;#ASMEND
	;;#ASMSTART
	v_dot2_f32_f16 v51, v60, v56, v51
	;;#ASMEND
	s_nop 0
	;;#ASMSTART
	v_dot2_f32_f16 v51, v61, v57, v51
	;;#ASMEND
	s_nop 0
	;;#ASMSTART
	v_dot2_f32_f16 v51, v62, v58, v51
	;;#ASMEND
	s_nop 0
	;;#ASMSTART
	v_dot2_f32_f16 v51, v63, v59, v51
	;;#ASMEND
	;; [unrolled: 15-line block ×3, first 2 shown]
	ds_read_b128 v[52:55], v22 offset:16
	ds_read_b128 v[56:59], v25 offset:16
	;; [unrolled: 1-line block ×4, first 2 shown]
	s_waitcnt lgkmcnt(2)
	;;#ASMSTART
	v_dot2_f32_f16 v50, v56, v52, v50
	;;#ASMEND
	s_nop 0
	;;#ASMSTART
	v_dot2_f32_f16 v50, v57, v53, v50
	;;#ASMEND
	s_nop 0
	;; [unrolled: 4-line block ×3, first 2 shown]
	;;#ASMSTART
	v_dot2_f32_f16 v50, v59, v55, v50
	;;#ASMEND
	s_waitcnt lgkmcnt(0)
	;;#ASMSTART
	v_dot2_f32_f16 v18, v56, v64, v18
	;;#ASMEND
	s_nop 0
	;;#ASMSTART
	v_dot2_f32_f16 v18, v57, v65, v18
	;;#ASMEND
	s_nop 0
	;;#ASMSTART
	v_dot2_f32_f16 v18, v58, v66, v18
	;;#ASMEND
	s_nop 0
	;;#ASMSTART
	v_dot2_f32_f16 v18, v59, v67, v18
	;;#ASMEND
	;;#ASMSTART
	v_dot2_f32_f16 v51, v60, v52, v51
	;;#ASMEND
	s_nop 0
	;;#ASMSTART
	v_dot2_f32_f16 v51, v61, v53, v51
	;;#ASMEND
	s_nop 0
	;;#ASMSTART
	v_dot2_f32_f16 v51, v62, v54, v51
	;;#ASMEND
	s_nop 0
	;;#ASMSTART
	v_dot2_f32_f16 v51, v63, v55, v51
	;;#ASMEND
	;; [unrolled: 15-line block ×3, first 2 shown]
	ds_read_b128 v[52:55], v22 offset:32
	ds_read_b128 v[56:59], v25 offset:32
	;; [unrolled: 1-line block ×4, first 2 shown]
	s_waitcnt lgkmcnt(2)
	;;#ASMSTART
	v_dot2_f32_f16 v50, v56, v52, v50
	;;#ASMEND
	s_nop 0
	;;#ASMSTART
	v_dot2_f32_f16 v50, v57, v53, v50
	;;#ASMEND
	s_nop 0
	;; [unrolled: 4-line block ×3, first 2 shown]
	;;#ASMSTART
	v_dot2_f32_f16 v50, v59, v55, v50
	;;#ASMEND
	s_waitcnt lgkmcnt(0)
	;;#ASMSTART
	v_dot2_f32_f16 v18, v56, v64, v18
	;;#ASMEND
	s_nop 0
	;;#ASMSTART
	v_dot2_f32_f16 v18, v57, v65, v18
	;;#ASMEND
	s_nop 0
	;;#ASMSTART
	v_dot2_f32_f16 v18, v58, v66, v18
	;;#ASMEND
	s_nop 0
	;;#ASMSTART
	v_dot2_f32_f16 v18, v59, v67, v18
	;;#ASMEND
	;;#ASMSTART
	v_dot2_f32_f16 v51, v60, v52, v51
	;;#ASMEND
	s_nop 0
	;;#ASMSTART
	v_dot2_f32_f16 v51, v61, v53, v51
	;;#ASMEND
	s_nop 0
	;;#ASMSTART
	v_dot2_f32_f16 v51, v62, v54, v51
	;;#ASMEND
	s_nop 0
	;;#ASMSTART
	v_dot2_f32_f16 v51, v63, v55, v51
	;;#ASMEND
	;; [unrolled: 15-line block ×3, first 2 shown]
	ds_read_b128 v[52:55], v22 offset:48
	ds_read_b128 v[56:59], v25 offset:48
	;; [unrolled: 1-line block ×4, first 2 shown]
	s_waitcnt lgkmcnt(2)
	;;#ASMSTART
	v_dot2_f32_f16 v50, v56, v52, v50
	;;#ASMEND
	s_nop 0
	;;#ASMSTART
	v_dot2_f32_f16 v50, v57, v53, v50
	;;#ASMEND
	s_nop 0
	;; [unrolled: 4-line block ×3, first 2 shown]
	;;#ASMSTART
	v_dot2_f32_f16 v50, v59, v55, v50
	;;#ASMEND
	s_waitcnt lgkmcnt(0)
	;;#ASMSTART
	v_dot2_f32_f16 v18, v56, v64, v18
	;;#ASMEND
	s_nop 0
	;;#ASMSTART
	v_dot2_f32_f16 v18, v57, v65, v18
	;;#ASMEND
	s_nop 0
	;;#ASMSTART
	v_dot2_f32_f16 v18, v58, v66, v18
	;;#ASMEND
	s_nop 0
	;;#ASMSTART
	v_dot2_f32_f16 v18, v59, v67, v18
	;;#ASMEND
	;;#ASMSTART
	v_dot2_f32_f16 v51, v60, v52, v51
	;;#ASMEND
	s_nop 0
	;;#ASMSTART
	v_dot2_f32_f16 v51, v61, v53, v51
	;;#ASMEND
	s_nop 0
	;;#ASMSTART
	v_dot2_f32_f16 v51, v62, v54, v51
	;;#ASMEND
	s_nop 0
	;;#ASMSTART
	v_dot2_f32_f16 v51, v63, v55, v51
	;;#ASMEND
	;; [unrolled: 15-line block ×3, first 2 shown]
	ds_read_b128 v[52:55], v22 offset:64
	ds_read_b128 v[56:59], v25 offset:64
	;; [unrolled: 1-line block ×4, first 2 shown]
	s_waitcnt lgkmcnt(2)
	;;#ASMSTART
	v_dot2_f32_f16 v50, v56, v52, v50
	;;#ASMEND
	s_nop 0
	;;#ASMSTART
	v_dot2_f32_f16 v50, v57, v53, v50
	;;#ASMEND
	s_nop 0
	;; [unrolled: 4-line block ×3, first 2 shown]
	;;#ASMSTART
	v_dot2_f32_f16 v50, v59, v55, v50
	;;#ASMEND
	s_waitcnt lgkmcnt(0)
	;;#ASMSTART
	v_dot2_f32_f16 v18, v56, v64, v18
	;;#ASMEND
	s_nop 0
	;;#ASMSTART
	v_dot2_f32_f16 v18, v57, v65, v18
	;;#ASMEND
	s_nop 0
	;;#ASMSTART
	v_dot2_f32_f16 v18, v58, v66, v18
	;;#ASMEND
	s_nop 0
	;;#ASMSTART
	v_dot2_f32_f16 v18, v59, v67, v18
	;;#ASMEND
	;;#ASMSTART
	v_dot2_f32_f16 v51, v60, v52, v51
	;;#ASMEND
	s_nop 0
	;;#ASMSTART
	v_dot2_f32_f16 v51, v61, v53, v51
	;;#ASMEND
	s_nop 0
	;;#ASMSTART
	v_dot2_f32_f16 v51, v62, v54, v51
	;;#ASMEND
	s_nop 0
	;;#ASMSTART
	v_dot2_f32_f16 v51, v63, v55, v51
	;;#ASMEND
	;; [unrolled: 15-line block ×3, first 2 shown]
	ds_read_b128 v[52:55], v22 offset:80
	ds_read_b128 v[56:59], v25 offset:80
	;; [unrolled: 1-line block ×4, first 2 shown]
	s_waitcnt lgkmcnt(2)
	;;#ASMSTART
	v_dot2_f32_f16 v50, v56, v52, v50
	;;#ASMEND
	s_nop 0
	;;#ASMSTART
	v_dot2_f32_f16 v50, v57, v53, v50
	;;#ASMEND
	s_nop 0
	;; [unrolled: 4-line block ×3, first 2 shown]
	;;#ASMSTART
	v_dot2_f32_f16 v50, v59, v55, v50
	;;#ASMEND
	s_waitcnt lgkmcnt(0)
	;;#ASMSTART
	v_dot2_f32_f16 v18, v56, v64, v18
	;;#ASMEND
	s_nop 0
	;;#ASMSTART
	v_dot2_f32_f16 v18, v57, v65, v18
	;;#ASMEND
	s_nop 0
	;;#ASMSTART
	v_dot2_f32_f16 v18, v58, v66, v18
	;;#ASMEND
	s_nop 0
	;;#ASMSTART
	v_dot2_f32_f16 v18, v59, v67, v18
	;;#ASMEND
	;;#ASMSTART
	v_dot2_f32_f16 v51, v60, v52, v51
	;;#ASMEND
	s_nop 0
	;;#ASMSTART
	v_dot2_f32_f16 v51, v61, v53, v51
	;;#ASMEND
	s_nop 0
	;;#ASMSTART
	v_dot2_f32_f16 v51, v62, v54, v51
	;;#ASMEND
	s_nop 0
	;;#ASMSTART
	v_dot2_f32_f16 v51, v63, v55, v51
	;;#ASMEND
	;; [unrolled: 15-line block ×3, first 2 shown]
	ds_read_b128 v[52:55], v22 offset:96
	ds_read_b128 v[56:59], v25 offset:96
	;; [unrolled: 1-line block ×4, first 2 shown]
	s_waitcnt lgkmcnt(2)
	;;#ASMSTART
	v_dot2_f32_f16 v50, v56, v52, v50
	;;#ASMEND
	s_nop 0
	;;#ASMSTART
	v_dot2_f32_f16 v50, v57, v53, v50
	;;#ASMEND
	s_nop 0
	;; [unrolled: 4-line block ×3, first 2 shown]
	;;#ASMSTART
	v_dot2_f32_f16 v50, v59, v55, v50
	;;#ASMEND
	s_waitcnt lgkmcnt(0)
	;;#ASMSTART
	v_dot2_f32_f16 v18, v56, v64, v18
	;;#ASMEND
	s_nop 0
	;;#ASMSTART
	v_dot2_f32_f16 v18, v57, v65, v18
	;;#ASMEND
	s_nop 0
	;;#ASMSTART
	v_dot2_f32_f16 v18, v58, v66, v18
	;;#ASMEND
	s_nop 0
	;;#ASMSTART
	v_dot2_f32_f16 v18, v59, v67, v18
	;;#ASMEND
	;;#ASMSTART
	v_dot2_f32_f16 v51, v60, v52, v51
	;;#ASMEND
	s_nop 0
	;;#ASMSTART
	v_dot2_f32_f16 v51, v61, v53, v51
	;;#ASMEND
	s_nop 0
	;;#ASMSTART
	v_dot2_f32_f16 v51, v62, v54, v51
	;;#ASMEND
	s_nop 0
	;;#ASMSTART
	v_dot2_f32_f16 v51, v63, v55, v51
	;;#ASMEND
	;;#ASMSTART
	v_dot2_f32_f16 v19, v60, v64, v19
	;;#ASMEND
	s_nop 0
	;;#ASMSTART
	v_dot2_f32_f16 v19, v61, v65, v19
	;;#ASMEND
	s_nop 0
	;;#ASMSTART
	v_dot2_f32_f16 v19, v62, v66, v19
	;;#ASMEND
	s_nop 0
	;;#ASMSTART
	v_dot2_f32_f16 v19, v63, v67, v19
	;;#ASMEND
	ds_read_b128 v[52:55], v22 offset:112
	ds_read_b128 v[56:59], v25 offset:112
	;; [unrolled: 1-line block ×4, first 2 shown]
	s_waitcnt lgkmcnt(2)
	;;#ASMSTART
	v_dot2_f32_f16 v50, v56, v52, v50
	;;#ASMEND
	s_nop 0
	;;#ASMSTART
	v_dot2_f32_f16 v50, v57, v53, v50
	;;#ASMEND
	s_nop 0
	;; [unrolled: 4-line block ×3, first 2 shown]
	;;#ASMSTART
	v_dot2_f32_f16 v50, v59, v55, v50
	;;#ASMEND
	s_waitcnt lgkmcnt(0)
	;;#ASMSTART
	v_dot2_f32_f16 v18, v56, v64, v18
	;;#ASMEND
	s_nop 0
	;;#ASMSTART
	v_dot2_f32_f16 v18, v57, v65, v18
	;;#ASMEND
	s_nop 0
	;;#ASMSTART
	v_dot2_f32_f16 v18, v58, v66, v18
	;;#ASMEND
	s_nop 0
	;;#ASMSTART
	v_dot2_f32_f16 v18, v59, v67, v18
	;;#ASMEND
	;;#ASMSTART
	v_dot2_f32_f16 v51, v60, v52, v51
	;;#ASMEND
	s_nop 0
	;;#ASMSTART
	v_dot2_f32_f16 v51, v61, v53, v51
	;;#ASMEND
	s_nop 0
	;;#ASMSTART
	v_dot2_f32_f16 v51, v62, v54, v51
	;;#ASMEND
	s_nop 0
	;;#ASMSTART
	v_dot2_f32_f16 v51, v63, v55, v51
	;;#ASMEND
	;; [unrolled: 15-line block ×3, first 2 shown]
	s_barrier
	global_load_dwordx4 v[52:55], v[0:1], off offset:128
	global_load_dwordx4 v[56:59], v[2:3], off offset:128
	s_waitcnt vmcnt(1)
	ds_write_b128 v23, v[52:55]
	s_waitcnt vmcnt(0)
	ds_write_b128 v24, v[56:59]
	s_waitcnt lgkmcnt(0)
	s_barrier
	ds_read_b128 v[52:55], v22 offset:128
	ds_read_b128 v[56:59], v25
	ds_read_b128 v[60:63], v25 offset:4608
	ds_read_b128 v[64:67], v22 offset:1152
	s_waitcnt lgkmcnt(2)
	;;#ASMSTART
	v_dot2_f32_f16 v50, v56, v52, v50
	;;#ASMEND
	s_nop 0
	;;#ASMSTART
	v_dot2_f32_f16 v50, v57, v53, v50
	;;#ASMEND
	s_nop 0
	;; [unrolled: 4-line block ×3, first 2 shown]
	;;#ASMSTART
	v_dot2_f32_f16 v50, v59, v55, v50
	;;#ASMEND
	s_waitcnt lgkmcnt(0)
	;;#ASMSTART
	v_dot2_f32_f16 v18, v56, v64, v18
	;;#ASMEND
	s_nop 0
	;;#ASMSTART
	v_dot2_f32_f16 v18, v57, v65, v18
	;;#ASMEND
	s_nop 0
	;;#ASMSTART
	v_dot2_f32_f16 v18, v58, v66, v18
	;;#ASMEND
	s_nop 0
	;;#ASMSTART
	v_dot2_f32_f16 v18, v59, v67, v18
	;;#ASMEND
	;;#ASMSTART
	v_dot2_f32_f16 v51, v60, v52, v51
	;;#ASMEND
	s_nop 0
	;;#ASMSTART
	v_dot2_f32_f16 v51, v61, v53, v51
	;;#ASMEND
	s_nop 0
	;;#ASMSTART
	v_dot2_f32_f16 v51, v62, v54, v51
	;;#ASMEND
	s_nop 0
	;;#ASMSTART
	v_dot2_f32_f16 v51, v63, v55, v51
	;;#ASMEND
	;; [unrolled: 15-line block ×3, first 2 shown]
	ds_read_b128 v[52:55], v22 offset:144
	ds_read_b128 v[56:59], v25 offset:16
	;; [unrolled: 1-line block ×4, first 2 shown]
	s_waitcnt lgkmcnt(2)
	;;#ASMSTART
	v_dot2_f32_f16 v50, v56, v52, v50
	;;#ASMEND
	s_nop 0
	;;#ASMSTART
	v_dot2_f32_f16 v50, v57, v53, v50
	;;#ASMEND
	s_nop 0
	;; [unrolled: 4-line block ×3, first 2 shown]
	;;#ASMSTART
	v_dot2_f32_f16 v50, v59, v55, v50
	;;#ASMEND
	s_waitcnt lgkmcnt(0)
	;;#ASMSTART
	v_dot2_f32_f16 v18, v56, v64, v18
	;;#ASMEND
	s_nop 0
	;;#ASMSTART
	v_dot2_f32_f16 v18, v57, v65, v18
	;;#ASMEND
	s_nop 0
	;;#ASMSTART
	v_dot2_f32_f16 v18, v58, v66, v18
	;;#ASMEND
	s_nop 0
	;;#ASMSTART
	v_dot2_f32_f16 v18, v59, v67, v18
	;;#ASMEND
	;;#ASMSTART
	v_dot2_f32_f16 v51, v60, v52, v51
	;;#ASMEND
	s_nop 0
	;;#ASMSTART
	v_dot2_f32_f16 v51, v61, v53, v51
	;;#ASMEND
	s_nop 0
	;;#ASMSTART
	v_dot2_f32_f16 v51, v62, v54, v51
	;;#ASMEND
	s_nop 0
	;;#ASMSTART
	v_dot2_f32_f16 v51, v63, v55, v51
	;;#ASMEND
	;; [unrolled: 15-line block ×3, first 2 shown]
	ds_read_b128 v[52:55], v22 offset:160
	ds_read_b128 v[56:59], v25 offset:32
	;; [unrolled: 1-line block ×4, first 2 shown]
	s_waitcnt lgkmcnt(2)
	;;#ASMSTART
	v_dot2_f32_f16 v50, v56, v52, v50
	;;#ASMEND
	s_nop 0
	;;#ASMSTART
	v_dot2_f32_f16 v50, v57, v53, v50
	;;#ASMEND
	s_nop 0
	;; [unrolled: 4-line block ×3, first 2 shown]
	;;#ASMSTART
	v_dot2_f32_f16 v50, v59, v55, v50
	;;#ASMEND
	s_waitcnt lgkmcnt(0)
	;;#ASMSTART
	v_dot2_f32_f16 v18, v56, v64, v18
	;;#ASMEND
	s_nop 0
	;;#ASMSTART
	v_dot2_f32_f16 v18, v57, v65, v18
	;;#ASMEND
	s_nop 0
	;;#ASMSTART
	v_dot2_f32_f16 v18, v58, v66, v18
	;;#ASMEND
	s_nop 0
	;;#ASMSTART
	v_dot2_f32_f16 v18, v59, v67, v18
	;;#ASMEND
	;;#ASMSTART
	v_dot2_f32_f16 v51, v60, v52, v51
	;;#ASMEND
	s_nop 0
	;;#ASMSTART
	v_dot2_f32_f16 v51, v61, v53, v51
	;;#ASMEND
	s_nop 0
	;;#ASMSTART
	v_dot2_f32_f16 v51, v62, v54, v51
	;;#ASMEND
	s_nop 0
	;;#ASMSTART
	v_dot2_f32_f16 v51, v63, v55, v51
	;;#ASMEND
	;; [unrolled: 15-line block ×3, first 2 shown]
	ds_read_b128 v[52:55], v22 offset:176
	ds_read_b128 v[56:59], v25 offset:48
	;; [unrolled: 1-line block ×4, first 2 shown]
	s_waitcnt lgkmcnt(2)
	;;#ASMSTART
	v_dot2_f32_f16 v50, v56, v52, v50
	;;#ASMEND
	s_nop 0
	;;#ASMSTART
	v_dot2_f32_f16 v50, v57, v53, v50
	;;#ASMEND
	s_nop 0
	;; [unrolled: 4-line block ×3, first 2 shown]
	;;#ASMSTART
	v_dot2_f32_f16 v50, v59, v55, v50
	;;#ASMEND
	s_waitcnt lgkmcnt(0)
	;;#ASMSTART
	v_dot2_f32_f16 v18, v56, v64, v18
	;;#ASMEND
	s_nop 0
	;;#ASMSTART
	v_dot2_f32_f16 v18, v57, v65, v18
	;;#ASMEND
	s_nop 0
	;;#ASMSTART
	v_dot2_f32_f16 v18, v58, v66, v18
	;;#ASMEND
	s_nop 0
	;;#ASMSTART
	v_dot2_f32_f16 v18, v59, v67, v18
	;;#ASMEND
	;;#ASMSTART
	v_dot2_f32_f16 v51, v60, v52, v51
	;;#ASMEND
	s_nop 0
	;;#ASMSTART
	v_dot2_f32_f16 v51, v61, v53, v51
	;;#ASMEND
	s_nop 0
	;;#ASMSTART
	v_dot2_f32_f16 v51, v62, v54, v51
	;;#ASMEND
	s_nop 0
	;;#ASMSTART
	v_dot2_f32_f16 v51, v63, v55, v51
	;;#ASMEND
	;; [unrolled: 15-line block ×3, first 2 shown]
	ds_read_b128 v[52:55], v22 offset:192
	ds_read_b128 v[56:59], v25 offset:64
	;; [unrolled: 1-line block ×4, first 2 shown]
	s_waitcnt lgkmcnt(2)
	;;#ASMSTART
	v_dot2_f32_f16 v50, v56, v52, v50
	;;#ASMEND
	s_nop 0
	;;#ASMSTART
	v_dot2_f32_f16 v50, v57, v53, v50
	;;#ASMEND
	s_nop 0
	;; [unrolled: 4-line block ×3, first 2 shown]
	;;#ASMSTART
	v_dot2_f32_f16 v50, v59, v55, v50
	;;#ASMEND
	s_waitcnt lgkmcnt(0)
	;;#ASMSTART
	v_dot2_f32_f16 v18, v56, v64, v18
	;;#ASMEND
	s_nop 0
	;;#ASMSTART
	v_dot2_f32_f16 v18, v57, v65, v18
	;;#ASMEND
	s_nop 0
	;;#ASMSTART
	v_dot2_f32_f16 v18, v58, v66, v18
	;;#ASMEND
	s_nop 0
	;;#ASMSTART
	v_dot2_f32_f16 v18, v59, v67, v18
	;;#ASMEND
	;;#ASMSTART
	v_dot2_f32_f16 v51, v60, v52, v51
	;;#ASMEND
	s_nop 0
	;;#ASMSTART
	v_dot2_f32_f16 v51, v61, v53, v51
	;;#ASMEND
	s_nop 0
	;;#ASMSTART
	v_dot2_f32_f16 v51, v62, v54, v51
	;;#ASMEND
	s_nop 0
	;;#ASMSTART
	v_dot2_f32_f16 v51, v63, v55, v51
	;;#ASMEND
	;; [unrolled: 15-line block ×3, first 2 shown]
	ds_read_b128 v[52:55], v22 offset:208
	ds_read_b128 v[56:59], v25 offset:80
	;; [unrolled: 1-line block ×4, first 2 shown]
	s_waitcnt lgkmcnt(2)
	;;#ASMSTART
	v_dot2_f32_f16 v50, v56, v52, v50
	;;#ASMEND
	s_nop 0
	;;#ASMSTART
	v_dot2_f32_f16 v50, v57, v53, v50
	;;#ASMEND
	s_nop 0
	;; [unrolled: 4-line block ×3, first 2 shown]
	;;#ASMSTART
	v_dot2_f32_f16 v50, v59, v55, v50
	;;#ASMEND
	s_waitcnt lgkmcnt(0)
	;;#ASMSTART
	v_dot2_f32_f16 v18, v56, v64, v18
	;;#ASMEND
	s_nop 0
	;;#ASMSTART
	v_dot2_f32_f16 v18, v57, v65, v18
	;;#ASMEND
	s_nop 0
	;;#ASMSTART
	v_dot2_f32_f16 v18, v58, v66, v18
	;;#ASMEND
	s_nop 0
	;;#ASMSTART
	v_dot2_f32_f16 v18, v59, v67, v18
	;;#ASMEND
	;;#ASMSTART
	v_dot2_f32_f16 v51, v60, v52, v51
	;;#ASMEND
	s_nop 0
	;;#ASMSTART
	v_dot2_f32_f16 v51, v61, v53, v51
	;;#ASMEND
	s_nop 0
	;;#ASMSTART
	v_dot2_f32_f16 v51, v62, v54, v51
	;;#ASMEND
	s_nop 0
	;;#ASMSTART
	v_dot2_f32_f16 v51, v63, v55, v51
	;;#ASMEND
	;;#ASMSTART
	v_dot2_f32_f16 v19, v60, v64, v19
	;;#ASMEND
	s_nop 0
	;;#ASMSTART
	v_dot2_f32_f16 v19, v61, v65, v19
	;;#ASMEND
	s_nop 0
	;;#ASMSTART
	v_dot2_f32_f16 v19, v62, v66, v19
	;;#ASMEND
	s_nop 0
	;;#ASMSTART
	v_dot2_f32_f16 v19, v63, v67, v19
	;;#ASMEND
	ds_read_b128 v[52:55], v22 offset:224
	ds_read_b128 v[56:59], v25 offset:96
	;; [unrolled: 1-line block ×4, first 2 shown]
	s_waitcnt lgkmcnt(2)
	;;#ASMSTART
	v_dot2_f32_f16 v50, v56, v52, v50
	;;#ASMEND
	s_nop 0
	;;#ASMSTART
	v_dot2_f32_f16 v50, v57, v53, v50
	;;#ASMEND
	s_nop 0
	;;#ASMSTART
	v_dot2_f32_f16 v50, v58, v54, v50
	;;#ASMEND
	s_nop 0
	;;#ASMSTART
	v_dot2_f32_f16 v50, v59, v55, v50
	;;#ASMEND
	s_waitcnt lgkmcnt(0)
	;;#ASMSTART
	v_dot2_f32_f16 v18, v56, v64, v18
	;;#ASMEND
	s_nop 0
	;;#ASMSTART
	v_dot2_f32_f16 v18, v57, v65, v18
	;;#ASMEND
	s_nop 0
	;;#ASMSTART
	v_dot2_f32_f16 v18, v58, v66, v18
	;;#ASMEND
	s_nop 0
	;;#ASMSTART
	v_dot2_f32_f16 v18, v59, v67, v18
	;;#ASMEND
	;;#ASMSTART
	v_dot2_f32_f16 v51, v60, v52, v51
	;;#ASMEND
	s_nop 0
	;;#ASMSTART
	v_dot2_f32_f16 v51, v61, v53, v51
	;;#ASMEND
	s_nop 0
	;;#ASMSTART
	v_dot2_f32_f16 v51, v62, v54, v51
	;;#ASMEND
	s_nop 0
	;;#ASMSTART
	v_dot2_f32_f16 v51, v63, v55, v51
	;;#ASMEND
	;; [unrolled: 15-line block ×3, first 2 shown]
	ds_read_b128 v[52:55], v22 offset:240
	ds_read_b128 v[56:59], v25 offset:112
	;; [unrolled: 1-line block ×4, first 2 shown]
	s_waitcnt lgkmcnt(2)
	;;#ASMSTART
	v_dot2_f32_f16 v50, v56, v52, v50
	;;#ASMEND
	s_nop 0
	;;#ASMSTART
	v_dot2_f32_f16 v50, v57, v53, v50
	;;#ASMEND
	s_nop 0
	;; [unrolled: 4-line block ×3, first 2 shown]
	;;#ASMSTART
	v_dot2_f32_f16 v50, v59, v55, v50
	;;#ASMEND
	s_waitcnt lgkmcnt(0)
	;;#ASMSTART
	v_dot2_f32_f16 v18, v56, v64, v18
	;;#ASMEND
	s_nop 0
	;;#ASMSTART
	v_dot2_f32_f16 v18, v57, v65, v18
	;;#ASMEND
	s_nop 0
	;;#ASMSTART
	v_dot2_f32_f16 v18, v58, v66, v18
	;;#ASMEND
	s_nop 0
	;;#ASMSTART
	v_dot2_f32_f16 v18, v59, v67, v18
	;;#ASMEND
	;;#ASMSTART
	v_dot2_f32_f16 v51, v60, v52, v51
	;;#ASMEND
	s_nop 0
	;;#ASMSTART
	v_dot2_f32_f16 v51, v61, v53, v51
	;;#ASMEND
	s_nop 0
	;;#ASMSTART
	v_dot2_f32_f16 v51, v62, v54, v51
	;;#ASMEND
	s_nop 0
	;;#ASMSTART
	v_dot2_f32_f16 v51, v63, v55, v51
	;;#ASMEND
	;; [unrolled: 15-line block ×3, first 2 shown]
	s_barrier
	global_load_dwordx4 v[52:55], v[0:1], off offset:256
	global_load_dwordx4 v[56:59], v[2:3], off offset:256
	s_waitcnt vmcnt(1)
	ds_write_b128 v23, v[52:55]
	s_waitcnt vmcnt(0)
	ds_write_b128 v24, v[56:59]
	s_waitcnt lgkmcnt(0)
	s_barrier
	ds_read_b128 v[52:55], v22 offset:256
	ds_read_b128 v[56:59], v25
	ds_read_b128 v[60:63], v25 offset:4608
	ds_read_b128 v[64:67], v22 offset:1280
	s_waitcnt lgkmcnt(2)
	;;#ASMSTART
	v_dot2_f32_f16 v50, v56, v52, v50
	;;#ASMEND
	s_nop 0
	;;#ASMSTART
	v_dot2_f32_f16 v50, v57, v53, v50
	;;#ASMEND
	s_nop 0
	;; [unrolled: 4-line block ×3, first 2 shown]
	;;#ASMSTART
	v_dot2_f32_f16 v50, v59, v55, v50
	;;#ASMEND
	s_waitcnt lgkmcnt(0)
	;;#ASMSTART
	v_dot2_f32_f16 v18, v56, v64, v18
	;;#ASMEND
	s_nop 0
	;;#ASMSTART
	v_dot2_f32_f16 v18, v57, v65, v18
	;;#ASMEND
	s_nop 0
	;;#ASMSTART
	v_dot2_f32_f16 v18, v58, v66, v18
	;;#ASMEND
	s_nop 0
	;;#ASMSTART
	v_dot2_f32_f16 v18, v59, v67, v18
	;;#ASMEND
	;;#ASMSTART
	v_dot2_f32_f16 v51, v60, v52, v51
	;;#ASMEND
	s_nop 0
	;;#ASMSTART
	v_dot2_f32_f16 v51, v61, v53, v51
	;;#ASMEND
	s_nop 0
	;;#ASMSTART
	v_dot2_f32_f16 v51, v62, v54, v51
	;;#ASMEND
	s_nop 0
	;;#ASMSTART
	v_dot2_f32_f16 v51, v63, v55, v51
	;;#ASMEND
	;; [unrolled: 15-line block ×3, first 2 shown]
	ds_read_b128 v[52:55], v22 offset:272
	ds_read_b128 v[56:59], v25 offset:16
	;; [unrolled: 1-line block ×4, first 2 shown]
	s_waitcnt lgkmcnt(2)
	;;#ASMSTART
	v_dot2_f32_f16 v50, v56, v52, v50
	;;#ASMEND
	s_nop 0
	;;#ASMSTART
	v_dot2_f32_f16 v50, v57, v53, v50
	;;#ASMEND
	s_nop 0
	;; [unrolled: 4-line block ×3, first 2 shown]
	;;#ASMSTART
	v_dot2_f32_f16 v50, v59, v55, v50
	;;#ASMEND
	s_waitcnt lgkmcnt(0)
	;;#ASMSTART
	v_dot2_f32_f16 v18, v56, v64, v18
	;;#ASMEND
	s_nop 0
	;;#ASMSTART
	v_dot2_f32_f16 v18, v57, v65, v18
	;;#ASMEND
	s_nop 0
	;;#ASMSTART
	v_dot2_f32_f16 v18, v58, v66, v18
	;;#ASMEND
	s_nop 0
	;;#ASMSTART
	v_dot2_f32_f16 v18, v59, v67, v18
	;;#ASMEND
	;;#ASMSTART
	v_dot2_f32_f16 v51, v60, v52, v51
	;;#ASMEND
	s_nop 0
	;;#ASMSTART
	v_dot2_f32_f16 v51, v61, v53, v51
	;;#ASMEND
	s_nop 0
	;;#ASMSTART
	v_dot2_f32_f16 v51, v62, v54, v51
	;;#ASMEND
	s_nop 0
	;;#ASMSTART
	v_dot2_f32_f16 v51, v63, v55, v51
	;;#ASMEND
	;; [unrolled: 15-line block ×3, first 2 shown]
	ds_read_b128 v[52:55], v22 offset:288
	ds_read_b128 v[56:59], v25 offset:32
	;; [unrolled: 1-line block ×4, first 2 shown]
	s_waitcnt lgkmcnt(2)
	;;#ASMSTART
	v_dot2_f32_f16 v50, v56, v52, v50
	;;#ASMEND
	s_nop 0
	;;#ASMSTART
	v_dot2_f32_f16 v50, v57, v53, v50
	;;#ASMEND
	s_nop 0
	;; [unrolled: 4-line block ×3, first 2 shown]
	;;#ASMSTART
	v_dot2_f32_f16 v50, v59, v55, v50
	;;#ASMEND
	s_waitcnt lgkmcnt(0)
	;;#ASMSTART
	v_dot2_f32_f16 v18, v56, v64, v18
	;;#ASMEND
	s_nop 0
	;;#ASMSTART
	v_dot2_f32_f16 v18, v57, v65, v18
	;;#ASMEND
	s_nop 0
	;;#ASMSTART
	v_dot2_f32_f16 v18, v58, v66, v18
	;;#ASMEND
	s_nop 0
	;;#ASMSTART
	v_dot2_f32_f16 v18, v59, v67, v18
	;;#ASMEND
	;;#ASMSTART
	v_dot2_f32_f16 v51, v60, v52, v51
	;;#ASMEND
	s_nop 0
	;;#ASMSTART
	v_dot2_f32_f16 v51, v61, v53, v51
	;;#ASMEND
	s_nop 0
	;;#ASMSTART
	v_dot2_f32_f16 v51, v62, v54, v51
	;;#ASMEND
	s_nop 0
	;;#ASMSTART
	v_dot2_f32_f16 v51, v63, v55, v51
	;;#ASMEND
	;; [unrolled: 15-line block ×3, first 2 shown]
	ds_read_b128 v[52:55], v22 offset:304
	ds_read_b128 v[56:59], v25 offset:48
	;; [unrolled: 1-line block ×4, first 2 shown]
	s_waitcnt lgkmcnt(2)
	;;#ASMSTART
	v_dot2_f32_f16 v50, v56, v52, v50
	;;#ASMEND
	s_nop 0
	;;#ASMSTART
	v_dot2_f32_f16 v50, v57, v53, v50
	;;#ASMEND
	s_nop 0
	;; [unrolled: 4-line block ×3, first 2 shown]
	;;#ASMSTART
	v_dot2_f32_f16 v50, v59, v55, v50
	;;#ASMEND
	s_waitcnt lgkmcnt(0)
	;;#ASMSTART
	v_dot2_f32_f16 v18, v56, v64, v18
	;;#ASMEND
	s_nop 0
	;;#ASMSTART
	v_dot2_f32_f16 v18, v57, v65, v18
	;;#ASMEND
	s_nop 0
	;;#ASMSTART
	v_dot2_f32_f16 v18, v58, v66, v18
	;;#ASMEND
	s_nop 0
	;;#ASMSTART
	v_dot2_f32_f16 v18, v59, v67, v18
	;;#ASMEND
	;;#ASMSTART
	v_dot2_f32_f16 v51, v60, v52, v51
	;;#ASMEND
	s_nop 0
	;;#ASMSTART
	v_dot2_f32_f16 v51, v61, v53, v51
	;;#ASMEND
	s_nop 0
	;;#ASMSTART
	v_dot2_f32_f16 v51, v62, v54, v51
	;;#ASMEND
	s_nop 0
	;;#ASMSTART
	v_dot2_f32_f16 v51, v63, v55, v51
	;;#ASMEND
	;; [unrolled: 15-line block ×3, first 2 shown]
	ds_read_b128 v[52:55], v22 offset:320
	ds_read_b128 v[56:59], v25 offset:64
	;; [unrolled: 1-line block ×4, first 2 shown]
	s_waitcnt lgkmcnt(2)
	;;#ASMSTART
	v_dot2_f32_f16 v50, v56, v52, v50
	;;#ASMEND
	s_nop 0
	;;#ASMSTART
	v_dot2_f32_f16 v50, v57, v53, v50
	;;#ASMEND
	s_nop 0
	;; [unrolled: 4-line block ×3, first 2 shown]
	;;#ASMSTART
	v_dot2_f32_f16 v50, v59, v55, v50
	;;#ASMEND
	s_waitcnt lgkmcnt(0)
	;;#ASMSTART
	v_dot2_f32_f16 v18, v56, v64, v18
	;;#ASMEND
	s_nop 0
	;;#ASMSTART
	v_dot2_f32_f16 v18, v57, v65, v18
	;;#ASMEND
	s_nop 0
	;;#ASMSTART
	v_dot2_f32_f16 v18, v58, v66, v18
	;;#ASMEND
	s_nop 0
	;;#ASMSTART
	v_dot2_f32_f16 v18, v59, v67, v18
	;;#ASMEND
	;;#ASMSTART
	v_dot2_f32_f16 v51, v60, v52, v51
	;;#ASMEND
	s_nop 0
	;;#ASMSTART
	v_dot2_f32_f16 v51, v61, v53, v51
	;;#ASMEND
	s_nop 0
	;;#ASMSTART
	v_dot2_f32_f16 v51, v62, v54, v51
	;;#ASMEND
	s_nop 0
	;;#ASMSTART
	v_dot2_f32_f16 v51, v63, v55, v51
	;;#ASMEND
	;; [unrolled: 15-line block ×3, first 2 shown]
	ds_read_b128 v[52:55], v22 offset:336
	ds_read_b128 v[56:59], v25 offset:80
	;; [unrolled: 1-line block ×4, first 2 shown]
	s_waitcnt lgkmcnt(2)
	;;#ASMSTART
	v_dot2_f32_f16 v50, v56, v52, v50
	;;#ASMEND
	s_nop 0
	;;#ASMSTART
	v_dot2_f32_f16 v50, v57, v53, v50
	;;#ASMEND
	s_nop 0
	;; [unrolled: 4-line block ×3, first 2 shown]
	;;#ASMSTART
	v_dot2_f32_f16 v50, v59, v55, v50
	;;#ASMEND
	s_waitcnt lgkmcnt(0)
	;;#ASMSTART
	v_dot2_f32_f16 v18, v56, v64, v18
	;;#ASMEND
	s_nop 0
	;;#ASMSTART
	v_dot2_f32_f16 v18, v57, v65, v18
	;;#ASMEND
	s_nop 0
	;;#ASMSTART
	v_dot2_f32_f16 v18, v58, v66, v18
	;;#ASMEND
	s_nop 0
	;;#ASMSTART
	v_dot2_f32_f16 v18, v59, v67, v18
	;;#ASMEND
	;;#ASMSTART
	v_dot2_f32_f16 v51, v60, v52, v51
	;;#ASMEND
	s_nop 0
	;;#ASMSTART
	v_dot2_f32_f16 v51, v61, v53, v51
	;;#ASMEND
	s_nop 0
	;;#ASMSTART
	v_dot2_f32_f16 v51, v62, v54, v51
	;;#ASMEND
	s_nop 0
	;;#ASMSTART
	v_dot2_f32_f16 v51, v63, v55, v51
	;;#ASMEND
	;;#ASMSTART
	v_dot2_f32_f16 v19, v60, v64, v19
	;;#ASMEND
	s_nop 0
	;;#ASMSTART
	v_dot2_f32_f16 v19, v61, v65, v19
	;;#ASMEND
	s_nop 0
	;;#ASMSTART
	v_dot2_f32_f16 v19, v62, v66, v19
	;;#ASMEND
	s_nop 0
	;;#ASMSTART
	v_dot2_f32_f16 v19, v63, v67, v19
	;;#ASMEND
	ds_read_b128 v[52:55], v22 offset:352
	ds_read_b128 v[56:59], v25 offset:96
	;; [unrolled: 1-line block ×4, first 2 shown]
	s_waitcnt lgkmcnt(2)
	;;#ASMSTART
	v_dot2_f32_f16 v50, v56, v52, v50
	;;#ASMEND
	s_nop 0
	;;#ASMSTART
	v_dot2_f32_f16 v50, v57, v53, v50
	;;#ASMEND
	s_nop 0
	;; [unrolled: 4-line block ×3, first 2 shown]
	;;#ASMSTART
	v_dot2_f32_f16 v50, v59, v55, v50
	;;#ASMEND
	s_waitcnt lgkmcnt(0)
	;;#ASMSTART
	v_dot2_f32_f16 v18, v56, v64, v18
	;;#ASMEND
	s_nop 0
	;;#ASMSTART
	v_dot2_f32_f16 v18, v57, v65, v18
	;;#ASMEND
	s_nop 0
	;;#ASMSTART
	v_dot2_f32_f16 v18, v58, v66, v18
	;;#ASMEND
	s_nop 0
	;;#ASMSTART
	v_dot2_f32_f16 v18, v59, v67, v18
	;;#ASMEND
	;;#ASMSTART
	v_dot2_f32_f16 v51, v60, v52, v51
	;;#ASMEND
	s_nop 0
	;;#ASMSTART
	v_dot2_f32_f16 v51, v61, v53, v51
	;;#ASMEND
	s_nop 0
	;;#ASMSTART
	v_dot2_f32_f16 v51, v62, v54, v51
	;;#ASMEND
	s_nop 0
	;;#ASMSTART
	v_dot2_f32_f16 v51, v63, v55, v51
	;;#ASMEND
	;; [unrolled: 15-line block ×3, first 2 shown]
	ds_read_b128 v[52:55], v22 offset:368
	ds_read_b128 v[56:59], v25 offset:112
	;; [unrolled: 1-line block ×4, first 2 shown]
	s_waitcnt lgkmcnt(2)
	;;#ASMSTART
	v_dot2_f32_f16 v50, v56, v52, v50
	;;#ASMEND
	s_nop 0
	;;#ASMSTART
	v_dot2_f32_f16 v50, v57, v53, v50
	;;#ASMEND
	s_nop 0
	;; [unrolled: 4-line block ×3, first 2 shown]
	;;#ASMSTART
	v_dot2_f32_f16 v50, v59, v55, v50
	;;#ASMEND
	s_waitcnt lgkmcnt(0)
	;;#ASMSTART
	v_dot2_f32_f16 v18, v56, v64, v18
	;;#ASMEND
	s_nop 0
	;;#ASMSTART
	v_dot2_f32_f16 v18, v57, v65, v18
	;;#ASMEND
	s_nop 0
	;;#ASMSTART
	v_dot2_f32_f16 v18, v58, v66, v18
	;;#ASMEND
	s_nop 0
	;;#ASMSTART
	v_dot2_f32_f16 v18, v59, v67, v18
	;;#ASMEND
	;;#ASMSTART
	v_dot2_f32_f16 v51, v60, v52, v51
	;;#ASMEND
	s_nop 0
	;;#ASMSTART
	v_dot2_f32_f16 v51, v61, v53, v51
	;;#ASMEND
	s_nop 0
	;;#ASMSTART
	v_dot2_f32_f16 v51, v62, v54, v51
	;;#ASMEND
	s_nop 0
	;;#ASMSTART
	v_dot2_f32_f16 v51, v63, v55, v51
	;;#ASMEND
	;; [unrolled: 15-line block ×3, first 2 shown]
	s_barrier
	global_load_dwordx4 v[52:55], v[0:1], off offset:384
	global_load_dwordx4 v[56:59], v[2:3], off offset:384
	s_waitcnt vmcnt(1)
	ds_write_b128 v23, v[52:55]
	s_waitcnt vmcnt(0)
	ds_write_b128 v24, v[56:59]
	s_waitcnt lgkmcnt(0)
	s_barrier
	ds_read_b128 v[52:55], v22 offset:384
	ds_read_b128 v[56:59], v25
	ds_read_b128 v[60:63], v25 offset:4608
	ds_read_b128 v[64:67], v22 offset:1408
	s_waitcnt lgkmcnt(2)
	;;#ASMSTART
	v_dot2_f32_f16 v50, v56, v52, v50
	;;#ASMEND
	s_nop 0
	;;#ASMSTART
	v_dot2_f32_f16 v50, v57, v53, v50
	;;#ASMEND
	s_nop 0
	;; [unrolled: 4-line block ×3, first 2 shown]
	;;#ASMSTART
	v_dot2_f32_f16 v50, v59, v55, v50
	;;#ASMEND
	s_waitcnt lgkmcnt(0)
	;;#ASMSTART
	v_dot2_f32_f16 v18, v56, v64, v18
	;;#ASMEND
	s_nop 0
	;;#ASMSTART
	v_dot2_f32_f16 v18, v57, v65, v18
	;;#ASMEND
	s_nop 0
	;;#ASMSTART
	v_dot2_f32_f16 v18, v58, v66, v18
	;;#ASMEND
	s_nop 0
	;;#ASMSTART
	v_dot2_f32_f16 v18, v59, v67, v18
	;;#ASMEND
	;;#ASMSTART
	v_dot2_f32_f16 v51, v60, v52, v51
	;;#ASMEND
	s_nop 0
	;;#ASMSTART
	v_dot2_f32_f16 v51, v61, v53, v51
	;;#ASMEND
	s_nop 0
	;;#ASMSTART
	v_dot2_f32_f16 v51, v62, v54, v51
	;;#ASMEND
	s_nop 0
	;;#ASMSTART
	v_dot2_f32_f16 v51, v63, v55, v51
	;;#ASMEND
	;; [unrolled: 15-line block ×3, first 2 shown]
	ds_read_b128 v[52:55], v22 offset:400
	ds_read_b128 v[56:59], v25 offset:16
	;; [unrolled: 1-line block ×4, first 2 shown]
	s_waitcnt lgkmcnt(2)
	;;#ASMSTART
	v_dot2_f32_f16 v50, v56, v52, v50
	;;#ASMEND
	s_nop 0
	;;#ASMSTART
	v_dot2_f32_f16 v50, v57, v53, v50
	;;#ASMEND
	s_nop 0
	;; [unrolled: 4-line block ×3, first 2 shown]
	;;#ASMSTART
	v_dot2_f32_f16 v50, v59, v55, v50
	;;#ASMEND
	s_waitcnt lgkmcnt(0)
	;;#ASMSTART
	v_dot2_f32_f16 v18, v56, v64, v18
	;;#ASMEND
	s_nop 0
	;;#ASMSTART
	v_dot2_f32_f16 v18, v57, v65, v18
	;;#ASMEND
	s_nop 0
	;;#ASMSTART
	v_dot2_f32_f16 v18, v58, v66, v18
	;;#ASMEND
	s_nop 0
	;;#ASMSTART
	v_dot2_f32_f16 v18, v59, v67, v18
	;;#ASMEND
	;;#ASMSTART
	v_dot2_f32_f16 v51, v60, v52, v51
	;;#ASMEND
	s_nop 0
	;;#ASMSTART
	v_dot2_f32_f16 v51, v61, v53, v51
	;;#ASMEND
	s_nop 0
	;;#ASMSTART
	v_dot2_f32_f16 v51, v62, v54, v51
	;;#ASMEND
	s_nop 0
	;;#ASMSTART
	v_dot2_f32_f16 v51, v63, v55, v51
	;;#ASMEND
	;;#ASMSTART
	v_dot2_f32_f16 v19, v60, v64, v19
	;;#ASMEND
	s_nop 0
	;;#ASMSTART
	v_dot2_f32_f16 v19, v61, v65, v19
	;;#ASMEND
	s_nop 0
	;;#ASMSTART
	v_dot2_f32_f16 v19, v62, v66, v19
	;;#ASMEND
	s_nop 0
	;;#ASMSTART
	v_dot2_f32_f16 v19, v63, v67, v19
	;;#ASMEND
	ds_read_b128 v[52:55], v22 offset:416
	ds_read_b128 v[56:59], v25 offset:32
	;; [unrolled: 1-line block ×4, first 2 shown]
	s_waitcnt lgkmcnt(2)
	;;#ASMSTART
	v_dot2_f32_f16 v50, v56, v52, v50
	;;#ASMEND
	s_nop 0
	;;#ASMSTART
	v_dot2_f32_f16 v50, v57, v53, v50
	;;#ASMEND
	s_nop 0
	;; [unrolled: 4-line block ×3, first 2 shown]
	;;#ASMSTART
	v_dot2_f32_f16 v50, v59, v55, v50
	;;#ASMEND
	s_waitcnt lgkmcnt(0)
	;;#ASMSTART
	v_dot2_f32_f16 v18, v56, v64, v18
	;;#ASMEND
	s_nop 0
	;;#ASMSTART
	v_dot2_f32_f16 v18, v57, v65, v18
	;;#ASMEND
	s_nop 0
	;;#ASMSTART
	v_dot2_f32_f16 v18, v58, v66, v18
	;;#ASMEND
	s_nop 0
	;;#ASMSTART
	v_dot2_f32_f16 v18, v59, v67, v18
	;;#ASMEND
	;;#ASMSTART
	v_dot2_f32_f16 v51, v60, v52, v51
	;;#ASMEND
	s_nop 0
	;;#ASMSTART
	v_dot2_f32_f16 v51, v61, v53, v51
	;;#ASMEND
	s_nop 0
	;;#ASMSTART
	v_dot2_f32_f16 v51, v62, v54, v51
	;;#ASMEND
	s_nop 0
	;;#ASMSTART
	v_dot2_f32_f16 v51, v63, v55, v51
	;;#ASMEND
	;; [unrolled: 15-line block ×3, first 2 shown]
	ds_read_b128 v[52:55], v22 offset:432
	ds_read_b128 v[56:59], v25 offset:48
	;; [unrolled: 1-line block ×4, first 2 shown]
	s_waitcnt lgkmcnt(2)
	;;#ASMSTART
	v_dot2_f32_f16 v50, v56, v52, v50
	;;#ASMEND
	s_nop 0
	;;#ASMSTART
	v_dot2_f32_f16 v50, v57, v53, v50
	;;#ASMEND
	s_nop 0
	;; [unrolled: 4-line block ×3, first 2 shown]
	;;#ASMSTART
	v_dot2_f32_f16 v50, v59, v55, v50
	;;#ASMEND
	s_waitcnt lgkmcnt(0)
	;;#ASMSTART
	v_dot2_f32_f16 v18, v56, v64, v18
	;;#ASMEND
	s_nop 0
	;;#ASMSTART
	v_dot2_f32_f16 v18, v57, v65, v18
	;;#ASMEND
	s_nop 0
	;;#ASMSTART
	v_dot2_f32_f16 v18, v58, v66, v18
	;;#ASMEND
	s_nop 0
	;;#ASMSTART
	v_dot2_f32_f16 v18, v59, v67, v18
	;;#ASMEND
	;;#ASMSTART
	v_dot2_f32_f16 v51, v60, v52, v51
	;;#ASMEND
	s_nop 0
	;;#ASMSTART
	v_dot2_f32_f16 v51, v61, v53, v51
	;;#ASMEND
	s_nop 0
	;;#ASMSTART
	v_dot2_f32_f16 v51, v62, v54, v51
	;;#ASMEND
	s_nop 0
	;;#ASMSTART
	v_dot2_f32_f16 v51, v63, v55, v51
	;;#ASMEND
	;; [unrolled: 15-line block ×3, first 2 shown]
	ds_read_b128 v[52:55], v22 offset:448
	ds_read_b128 v[56:59], v25 offset:64
	;; [unrolled: 1-line block ×4, first 2 shown]
	s_waitcnt lgkmcnt(2)
	;;#ASMSTART
	v_dot2_f32_f16 v50, v56, v52, v50
	;;#ASMEND
	s_nop 0
	;;#ASMSTART
	v_dot2_f32_f16 v50, v57, v53, v50
	;;#ASMEND
	s_nop 0
	;; [unrolled: 4-line block ×3, first 2 shown]
	;;#ASMSTART
	v_dot2_f32_f16 v50, v59, v55, v50
	;;#ASMEND
	s_waitcnt lgkmcnt(0)
	;;#ASMSTART
	v_dot2_f32_f16 v18, v56, v64, v18
	;;#ASMEND
	s_nop 0
	;;#ASMSTART
	v_dot2_f32_f16 v18, v57, v65, v18
	;;#ASMEND
	s_nop 0
	;;#ASMSTART
	v_dot2_f32_f16 v18, v58, v66, v18
	;;#ASMEND
	s_nop 0
	;;#ASMSTART
	v_dot2_f32_f16 v18, v59, v67, v18
	;;#ASMEND
	;;#ASMSTART
	v_dot2_f32_f16 v51, v60, v52, v51
	;;#ASMEND
	s_nop 0
	;;#ASMSTART
	v_dot2_f32_f16 v51, v61, v53, v51
	;;#ASMEND
	s_nop 0
	;;#ASMSTART
	v_dot2_f32_f16 v51, v62, v54, v51
	;;#ASMEND
	s_nop 0
	;;#ASMSTART
	v_dot2_f32_f16 v51, v63, v55, v51
	;;#ASMEND
	;; [unrolled: 15-line block ×3, first 2 shown]
	ds_read_b128 v[52:55], v22 offset:464
	ds_read_b128 v[56:59], v25 offset:80
	;; [unrolled: 1-line block ×4, first 2 shown]
	s_waitcnt lgkmcnt(2)
	;;#ASMSTART
	v_dot2_f32_f16 v50, v56, v52, v50
	;;#ASMEND
	s_nop 0
	;;#ASMSTART
	v_dot2_f32_f16 v50, v57, v53, v50
	;;#ASMEND
	s_nop 0
	;; [unrolled: 4-line block ×3, first 2 shown]
	;;#ASMSTART
	v_dot2_f32_f16 v50, v59, v55, v50
	;;#ASMEND
	s_waitcnt lgkmcnt(0)
	;;#ASMSTART
	v_dot2_f32_f16 v18, v56, v64, v18
	;;#ASMEND
	s_nop 0
	;;#ASMSTART
	v_dot2_f32_f16 v18, v57, v65, v18
	;;#ASMEND
	s_nop 0
	;;#ASMSTART
	v_dot2_f32_f16 v18, v58, v66, v18
	;;#ASMEND
	s_nop 0
	;;#ASMSTART
	v_dot2_f32_f16 v18, v59, v67, v18
	;;#ASMEND
	;;#ASMSTART
	v_dot2_f32_f16 v51, v60, v52, v51
	;;#ASMEND
	s_nop 0
	;;#ASMSTART
	v_dot2_f32_f16 v51, v61, v53, v51
	;;#ASMEND
	s_nop 0
	;;#ASMSTART
	v_dot2_f32_f16 v51, v62, v54, v51
	;;#ASMEND
	s_nop 0
	;;#ASMSTART
	v_dot2_f32_f16 v51, v63, v55, v51
	;;#ASMEND
	;; [unrolled: 15-line block ×3, first 2 shown]
	ds_read_b128 v[52:55], v22 offset:480
	ds_read_b128 v[56:59], v25 offset:96
	;; [unrolled: 1-line block ×4, first 2 shown]
	s_waitcnt lgkmcnt(2)
	;;#ASMSTART
	v_dot2_f32_f16 v50, v56, v52, v50
	;;#ASMEND
	s_nop 0
	;;#ASMSTART
	v_dot2_f32_f16 v50, v57, v53, v50
	;;#ASMEND
	s_nop 0
	;; [unrolled: 4-line block ×3, first 2 shown]
	;;#ASMSTART
	v_dot2_f32_f16 v50, v59, v55, v50
	;;#ASMEND
	s_waitcnt lgkmcnt(0)
	;;#ASMSTART
	v_dot2_f32_f16 v18, v56, v64, v18
	;;#ASMEND
	s_nop 0
	;;#ASMSTART
	v_dot2_f32_f16 v18, v57, v65, v18
	;;#ASMEND
	s_nop 0
	;;#ASMSTART
	v_dot2_f32_f16 v18, v58, v66, v18
	;;#ASMEND
	s_nop 0
	;;#ASMSTART
	v_dot2_f32_f16 v18, v59, v67, v18
	;;#ASMEND
	;;#ASMSTART
	v_dot2_f32_f16 v51, v60, v52, v51
	;;#ASMEND
	s_nop 0
	;;#ASMSTART
	v_dot2_f32_f16 v51, v61, v53, v51
	;;#ASMEND
	s_nop 0
	;;#ASMSTART
	v_dot2_f32_f16 v51, v62, v54, v51
	;;#ASMEND
	s_nop 0
	;;#ASMSTART
	v_dot2_f32_f16 v51, v63, v55, v51
	;;#ASMEND
	;; [unrolled: 15-line block ×3, first 2 shown]
	ds_read_b128 v[52:55], v22 offset:496
	ds_read_b128 v[56:59], v25 offset:112
	;; [unrolled: 1-line block ×4, first 2 shown]
	s_waitcnt lgkmcnt(2)
	;;#ASMSTART
	v_dot2_f32_f16 v50, v56, v52, v50
	;;#ASMEND
	s_nop 0
	;;#ASMSTART
	v_dot2_f32_f16 v50, v57, v53, v50
	;;#ASMEND
	s_nop 0
	;; [unrolled: 4-line block ×3, first 2 shown]
	;;#ASMSTART
	v_dot2_f32_f16 v50, v59, v55, v50
	;;#ASMEND
	s_waitcnt lgkmcnt(0)
	;;#ASMSTART
	v_dot2_f32_f16 v18, v56, v64, v18
	;;#ASMEND
	s_nop 0
	;;#ASMSTART
	v_dot2_f32_f16 v18, v57, v65, v18
	;;#ASMEND
	s_nop 0
	;;#ASMSTART
	v_dot2_f32_f16 v18, v58, v66, v18
	;;#ASMEND
	s_nop 0
	;;#ASMSTART
	v_dot2_f32_f16 v18, v59, v67, v18
	;;#ASMEND
	;;#ASMSTART
	v_dot2_f32_f16 v51, v60, v52, v51
	;;#ASMEND
	s_nop 0
	;;#ASMSTART
	v_dot2_f32_f16 v51, v61, v53, v51
	;;#ASMEND
	s_nop 0
	;;#ASMSTART
	v_dot2_f32_f16 v51, v62, v54, v51
	;;#ASMEND
	s_nop 0
	;;#ASMSTART
	v_dot2_f32_f16 v51, v63, v55, v51
	;;#ASMEND
	;; [unrolled: 15-line block ×3, first 2 shown]
	s_barrier
	global_load_dwordx4 v[52:55], v[0:1], off offset:512
	global_load_dwordx4 v[56:59], v[2:3], off offset:512
	s_waitcnt vmcnt(1)
	ds_write_b128 v23, v[52:55]
	s_waitcnt vmcnt(0)
	ds_write_b128 v24, v[56:59]
	s_waitcnt lgkmcnt(0)
	s_barrier
	ds_read_b128 v[52:55], v22 offset:512
	ds_read_b128 v[56:59], v25
	ds_read_b128 v[60:63], v25 offset:4608
	ds_read_b128 v[64:67], v22 offset:1536
	s_waitcnt lgkmcnt(2)
	;;#ASMSTART
	v_dot2_f32_f16 v50, v56, v52, v50
	;;#ASMEND
	s_nop 0
	;;#ASMSTART
	v_dot2_f32_f16 v50, v57, v53, v50
	;;#ASMEND
	s_nop 0
	;; [unrolled: 4-line block ×3, first 2 shown]
	;;#ASMSTART
	v_dot2_f32_f16 v50, v59, v55, v50
	;;#ASMEND
	s_waitcnt lgkmcnt(0)
	;;#ASMSTART
	v_dot2_f32_f16 v18, v56, v64, v18
	;;#ASMEND
	s_nop 0
	;;#ASMSTART
	v_dot2_f32_f16 v18, v57, v65, v18
	;;#ASMEND
	s_nop 0
	;;#ASMSTART
	v_dot2_f32_f16 v18, v58, v66, v18
	;;#ASMEND
	s_nop 0
	;;#ASMSTART
	v_dot2_f32_f16 v18, v59, v67, v18
	;;#ASMEND
	;;#ASMSTART
	v_dot2_f32_f16 v51, v60, v52, v51
	;;#ASMEND
	s_nop 0
	;;#ASMSTART
	v_dot2_f32_f16 v51, v61, v53, v51
	;;#ASMEND
	s_nop 0
	;;#ASMSTART
	v_dot2_f32_f16 v51, v62, v54, v51
	;;#ASMEND
	s_nop 0
	;;#ASMSTART
	v_dot2_f32_f16 v51, v63, v55, v51
	;;#ASMEND
	;; [unrolled: 15-line block ×3, first 2 shown]
	ds_read_b128 v[52:55], v22 offset:528
	ds_read_b128 v[56:59], v25 offset:16
	;; [unrolled: 1-line block ×4, first 2 shown]
	s_waitcnt lgkmcnt(2)
	;;#ASMSTART
	v_dot2_f32_f16 v50, v56, v52, v50
	;;#ASMEND
	s_nop 0
	;;#ASMSTART
	v_dot2_f32_f16 v50, v57, v53, v50
	;;#ASMEND
	s_nop 0
	;; [unrolled: 4-line block ×3, first 2 shown]
	;;#ASMSTART
	v_dot2_f32_f16 v50, v59, v55, v50
	;;#ASMEND
	s_waitcnt lgkmcnt(0)
	;;#ASMSTART
	v_dot2_f32_f16 v18, v56, v64, v18
	;;#ASMEND
	s_nop 0
	;;#ASMSTART
	v_dot2_f32_f16 v18, v57, v65, v18
	;;#ASMEND
	s_nop 0
	;;#ASMSTART
	v_dot2_f32_f16 v18, v58, v66, v18
	;;#ASMEND
	s_nop 0
	;;#ASMSTART
	v_dot2_f32_f16 v18, v59, v67, v18
	;;#ASMEND
	;;#ASMSTART
	v_dot2_f32_f16 v51, v60, v52, v51
	;;#ASMEND
	s_nop 0
	;;#ASMSTART
	v_dot2_f32_f16 v51, v61, v53, v51
	;;#ASMEND
	s_nop 0
	;;#ASMSTART
	v_dot2_f32_f16 v51, v62, v54, v51
	;;#ASMEND
	s_nop 0
	;;#ASMSTART
	v_dot2_f32_f16 v51, v63, v55, v51
	;;#ASMEND
	;; [unrolled: 15-line block ×3, first 2 shown]
	ds_read_b128 v[52:55], v22 offset:544
	ds_read_b128 v[56:59], v25 offset:32
	;; [unrolled: 1-line block ×4, first 2 shown]
	s_waitcnt lgkmcnt(2)
	;;#ASMSTART
	v_dot2_f32_f16 v50, v56, v52, v50
	;;#ASMEND
	s_nop 0
	;;#ASMSTART
	v_dot2_f32_f16 v50, v57, v53, v50
	;;#ASMEND
	s_nop 0
	;;#ASMSTART
	v_dot2_f32_f16 v50, v58, v54, v50
	;;#ASMEND
	s_nop 0
	;;#ASMSTART
	v_dot2_f32_f16 v50, v59, v55, v50
	;;#ASMEND
	s_waitcnt lgkmcnt(0)
	;;#ASMSTART
	v_dot2_f32_f16 v18, v56, v64, v18
	;;#ASMEND
	s_nop 0
	;;#ASMSTART
	v_dot2_f32_f16 v18, v57, v65, v18
	;;#ASMEND
	s_nop 0
	;;#ASMSTART
	v_dot2_f32_f16 v18, v58, v66, v18
	;;#ASMEND
	s_nop 0
	;;#ASMSTART
	v_dot2_f32_f16 v18, v59, v67, v18
	;;#ASMEND
	;;#ASMSTART
	v_dot2_f32_f16 v51, v60, v52, v51
	;;#ASMEND
	s_nop 0
	;;#ASMSTART
	v_dot2_f32_f16 v51, v61, v53, v51
	;;#ASMEND
	s_nop 0
	;;#ASMSTART
	v_dot2_f32_f16 v51, v62, v54, v51
	;;#ASMEND
	s_nop 0
	;;#ASMSTART
	v_dot2_f32_f16 v51, v63, v55, v51
	;;#ASMEND
	;; [unrolled: 15-line block ×3, first 2 shown]
	ds_read_b128 v[52:55], v22 offset:560
	ds_read_b128 v[56:59], v25 offset:48
	;; [unrolled: 1-line block ×4, first 2 shown]
	s_waitcnt lgkmcnt(2)
	;;#ASMSTART
	v_dot2_f32_f16 v50, v56, v52, v50
	;;#ASMEND
	s_nop 0
	;;#ASMSTART
	v_dot2_f32_f16 v50, v57, v53, v50
	;;#ASMEND
	s_nop 0
	;; [unrolled: 4-line block ×3, first 2 shown]
	;;#ASMSTART
	v_dot2_f32_f16 v50, v59, v55, v50
	;;#ASMEND
	s_waitcnt lgkmcnt(0)
	;;#ASMSTART
	v_dot2_f32_f16 v18, v56, v64, v18
	;;#ASMEND
	s_nop 0
	;;#ASMSTART
	v_dot2_f32_f16 v18, v57, v65, v18
	;;#ASMEND
	s_nop 0
	;;#ASMSTART
	v_dot2_f32_f16 v18, v58, v66, v18
	;;#ASMEND
	s_nop 0
	;;#ASMSTART
	v_dot2_f32_f16 v18, v59, v67, v18
	;;#ASMEND
	;;#ASMSTART
	v_dot2_f32_f16 v51, v60, v52, v51
	;;#ASMEND
	s_nop 0
	;;#ASMSTART
	v_dot2_f32_f16 v51, v61, v53, v51
	;;#ASMEND
	s_nop 0
	;;#ASMSTART
	v_dot2_f32_f16 v51, v62, v54, v51
	;;#ASMEND
	s_nop 0
	;;#ASMSTART
	v_dot2_f32_f16 v51, v63, v55, v51
	;;#ASMEND
	;; [unrolled: 15-line block ×3, first 2 shown]
	ds_read_b128 v[52:55], v22 offset:576
	ds_read_b128 v[56:59], v25 offset:64
	;; [unrolled: 1-line block ×4, first 2 shown]
	s_waitcnt lgkmcnt(2)
	;;#ASMSTART
	v_dot2_f32_f16 v50, v56, v52, v50
	;;#ASMEND
	s_nop 0
	;;#ASMSTART
	v_dot2_f32_f16 v50, v57, v53, v50
	;;#ASMEND
	s_nop 0
	;; [unrolled: 4-line block ×3, first 2 shown]
	;;#ASMSTART
	v_dot2_f32_f16 v50, v59, v55, v50
	;;#ASMEND
	s_waitcnt lgkmcnt(0)
	;;#ASMSTART
	v_dot2_f32_f16 v18, v56, v64, v18
	;;#ASMEND
	s_nop 0
	;;#ASMSTART
	v_dot2_f32_f16 v18, v57, v65, v18
	;;#ASMEND
	s_nop 0
	;;#ASMSTART
	v_dot2_f32_f16 v18, v58, v66, v18
	;;#ASMEND
	s_nop 0
	;;#ASMSTART
	v_dot2_f32_f16 v18, v59, v67, v18
	;;#ASMEND
	;;#ASMSTART
	v_dot2_f32_f16 v51, v60, v52, v51
	;;#ASMEND
	s_nop 0
	;;#ASMSTART
	v_dot2_f32_f16 v51, v61, v53, v51
	;;#ASMEND
	s_nop 0
	;;#ASMSTART
	v_dot2_f32_f16 v51, v62, v54, v51
	;;#ASMEND
	s_nop 0
	;;#ASMSTART
	v_dot2_f32_f16 v51, v63, v55, v51
	;;#ASMEND
	;; [unrolled: 15-line block ×3, first 2 shown]
	ds_read_b128 v[52:55], v22 offset:592
	ds_read_b128 v[56:59], v25 offset:80
	;; [unrolled: 1-line block ×4, first 2 shown]
	s_waitcnt lgkmcnt(2)
	;;#ASMSTART
	v_dot2_f32_f16 v50, v56, v52, v50
	;;#ASMEND
	s_nop 0
	;;#ASMSTART
	v_dot2_f32_f16 v50, v57, v53, v50
	;;#ASMEND
	s_nop 0
	;; [unrolled: 4-line block ×3, first 2 shown]
	;;#ASMSTART
	v_dot2_f32_f16 v50, v59, v55, v50
	;;#ASMEND
	s_waitcnt lgkmcnt(0)
	;;#ASMSTART
	v_dot2_f32_f16 v18, v56, v64, v18
	;;#ASMEND
	s_nop 0
	;;#ASMSTART
	v_dot2_f32_f16 v18, v57, v65, v18
	;;#ASMEND
	s_nop 0
	;;#ASMSTART
	v_dot2_f32_f16 v18, v58, v66, v18
	;;#ASMEND
	s_nop 0
	;;#ASMSTART
	v_dot2_f32_f16 v18, v59, v67, v18
	;;#ASMEND
	;;#ASMSTART
	v_dot2_f32_f16 v51, v60, v52, v51
	;;#ASMEND
	s_nop 0
	;;#ASMSTART
	v_dot2_f32_f16 v51, v61, v53, v51
	;;#ASMEND
	s_nop 0
	;;#ASMSTART
	v_dot2_f32_f16 v51, v62, v54, v51
	;;#ASMEND
	s_nop 0
	;;#ASMSTART
	v_dot2_f32_f16 v51, v63, v55, v51
	;;#ASMEND
	;; [unrolled: 15-line block ×3, first 2 shown]
	ds_read_b128 v[52:55], v22 offset:608
	ds_read_b128 v[56:59], v25 offset:96
	;; [unrolled: 1-line block ×4, first 2 shown]
	s_waitcnt lgkmcnt(2)
	;;#ASMSTART
	v_dot2_f32_f16 v50, v56, v52, v50
	;;#ASMEND
	s_nop 0
	;;#ASMSTART
	v_dot2_f32_f16 v50, v57, v53, v50
	;;#ASMEND
	s_nop 0
	;;#ASMSTART
	v_dot2_f32_f16 v50, v58, v54, v50
	;;#ASMEND
	s_nop 0
	;;#ASMSTART
	v_dot2_f32_f16 v50, v59, v55, v50
	;;#ASMEND
	s_waitcnt lgkmcnt(0)
	;;#ASMSTART
	v_dot2_f32_f16 v18, v56, v64, v18
	;;#ASMEND
	s_nop 0
	;;#ASMSTART
	v_dot2_f32_f16 v18, v57, v65, v18
	;;#ASMEND
	s_nop 0
	;;#ASMSTART
	v_dot2_f32_f16 v18, v58, v66, v18
	;;#ASMEND
	s_nop 0
	;;#ASMSTART
	v_dot2_f32_f16 v18, v59, v67, v18
	;;#ASMEND
	;;#ASMSTART
	v_dot2_f32_f16 v51, v60, v52, v51
	;;#ASMEND
	s_nop 0
	;;#ASMSTART
	v_dot2_f32_f16 v51, v61, v53, v51
	;;#ASMEND
	s_nop 0
	;;#ASMSTART
	v_dot2_f32_f16 v51, v62, v54, v51
	;;#ASMEND
	s_nop 0
	;;#ASMSTART
	v_dot2_f32_f16 v51, v63, v55, v51
	;;#ASMEND
	;; [unrolled: 15-line block ×3, first 2 shown]
	ds_read_b128 v[52:55], v22 offset:624
	ds_read_b128 v[56:59], v25 offset:112
	;; [unrolled: 1-line block ×4, first 2 shown]
	s_waitcnt lgkmcnt(2)
	;;#ASMSTART
	v_dot2_f32_f16 v50, v56, v52, v50
	;;#ASMEND
	s_nop 0
	;;#ASMSTART
	v_dot2_f32_f16 v50, v57, v53, v50
	;;#ASMEND
	s_nop 0
	;; [unrolled: 4-line block ×3, first 2 shown]
	;;#ASMSTART
	v_dot2_f32_f16 v50, v59, v55, v50
	;;#ASMEND
	s_waitcnt lgkmcnt(0)
	;;#ASMSTART
	v_dot2_f32_f16 v18, v56, v64, v18
	;;#ASMEND
	s_nop 0
	;;#ASMSTART
	v_dot2_f32_f16 v18, v57, v65, v18
	;;#ASMEND
	s_nop 0
	;;#ASMSTART
	v_dot2_f32_f16 v18, v58, v66, v18
	;;#ASMEND
	s_nop 0
	;;#ASMSTART
	v_dot2_f32_f16 v18, v59, v67, v18
	;;#ASMEND
	;;#ASMSTART
	v_dot2_f32_f16 v51, v60, v52, v51
	;;#ASMEND
	s_nop 0
	;;#ASMSTART
	v_dot2_f32_f16 v51, v61, v53, v51
	;;#ASMEND
	s_nop 0
	;;#ASMSTART
	v_dot2_f32_f16 v51, v62, v54, v51
	;;#ASMEND
	s_nop 0
	;;#ASMSTART
	v_dot2_f32_f16 v51, v63, v55, v51
	;;#ASMEND
	;; [unrolled: 15-line block ×3, first 2 shown]
	s_barrier
	global_load_dwordx4 v[52:55], v[0:1], off offset:640
	global_load_dwordx4 v[56:59], v[2:3], off offset:640
	s_waitcnt vmcnt(1)
	ds_write_b128 v23, v[52:55]
	s_waitcnt vmcnt(0)
	ds_write_b128 v24, v[56:59]
	s_waitcnt lgkmcnt(0)
	s_barrier
	ds_read_b128 v[52:55], v22 offset:640
	ds_read_b128 v[56:59], v25
	ds_read_b128 v[60:63], v25 offset:4608
	ds_read_b128 v[64:67], v22 offset:1664
	s_waitcnt lgkmcnt(2)
	;;#ASMSTART
	v_dot2_f32_f16 v50, v56, v52, v50
	;;#ASMEND
	s_nop 0
	;;#ASMSTART
	v_dot2_f32_f16 v50, v57, v53, v50
	;;#ASMEND
	s_nop 0
	;; [unrolled: 4-line block ×3, first 2 shown]
	;;#ASMSTART
	v_dot2_f32_f16 v50, v59, v55, v50
	;;#ASMEND
	s_waitcnt lgkmcnt(0)
	;;#ASMSTART
	v_dot2_f32_f16 v18, v56, v64, v18
	;;#ASMEND
	s_nop 0
	;;#ASMSTART
	v_dot2_f32_f16 v18, v57, v65, v18
	;;#ASMEND
	s_nop 0
	;;#ASMSTART
	v_dot2_f32_f16 v18, v58, v66, v18
	;;#ASMEND
	s_nop 0
	;;#ASMSTART
	v_dot2_f32_f16 v18, v59, v67, v18
	;;#ASMEND
	;;#ASMSTART
	v_dot2_f32_f16 v51, v60, v52, v51
	;;#ASMEND
	s_nop 0
	;;#ASMSTART
	v_dot2_f32_f16 v51, v61, v53, v51
	;;#ASMEND
	s_nop 0
	;;#ASMSTART
	v_dot2_f32_f16 v51, v62, v54, v51
	;;#ASMEND
	s_nop 0
	;;#ASMSTART
	v_dot2_f32_f16 v51, v63, v55, v51
	;;#ASMEND
	;; [unrolled: 15-line block ×3, first 2 shown]
	ds_read_b128 v[52:55], v22 offset:656
	ds_read_b128 v[56:59], v25 offset:16
	;; [unrolled: 1-line block ×4, first 2 shown]
	s_waitcnt lgkmcnt(2)
	;;#ASMSTART
	v_dot2_f32_f16 v50, v56, v52, v50
	;;#ASMEND
	s_nop 0
	;;#ASMSTART
	v_dot2_f32_f16 v50, v57, v53, v50
	;;#ASMEND
	s_nop 0
	;; [unrolled: 4-line block ×3, first 2 shown]
	;;#ASMSTART
	v_dot2_f32_f16 v50, v59, v55, v50
	;;#ASMEND
	s_waitcnt lgkmcnt(0)
	;;#ASMSTART
	v_dot2_f32_f16 v18, v56, v64, v18
	;;#ASMEND
	s_nop 0
	;;#ASMSTART
	v_dot2_f32_f16 v18, v57, v65, v18
	;;#ASMEND
	s_nop 0
	;;#ASMSTART
	v_dot2_f32_f16 v18, v58, v66, v18
	;;#ASMEND
	s_nop 0
	;;#ASMSTART
	v_dot2_f32_f16 v18, v59, v67, v18
	;;#ASMEND
	;;#ASMSTART
	v_dot2_f32_f16 v51, v60, v52, v51
	;;#ASMEND
	s_nop 0
	;;#ASMSTART
	v_dot2_f32_f16 v51, v61, v53, v51
	;;#ASMEND
	s_nop 0
	;;#ASMSTART
	v_dot2_f32_f16 v51, v62, v54, v51
	;;#ASMEND
	s_nop 0
	;;#ASMSTART
	v_dot2_f32_f16 v51, v63, v55, v51
	;;#ASMEND
	;; [unrolled: 15-line block ×3, first 2 shown]
	ds_read_b128 v[52:55], v22 offset:672
	ds_read_b128 v[56:59], v25 offset:32
	;; [unrolled: 1-line block ×4, first 2 shown]
	s_waitcnt lgkmcnt(2)
	;;#ASMSTART
	v_dot2_f32_f16 v50, v56, v52, v50
	;;#ASMEND
	s_nop 0
	;;#ASMSTART
	v_dot2_f32_f16 v50, v57, v53, v50
	;;#ASMEND
	s_nop 0
	;; [unrolled: 4-line block ×3, first 2 shown]
	;;#ASMSTART
	v_dot2_f32_f16 v50, v59, v55, v50
	;;#ASMEND
	s_waitcnt lgkmcnt(0)
	;;#ASMSTART
	v_dot2_f32_f16 v18, v56, v64, v18
	;;#ASMEND
	s_nop 0
	;;#ASMSTART
	v_dot2_f32_f16 v18, v57, v65, v18
	;;#ASMEND
	s_nop 0
	;;#ASMSTART
	v_dot2_f32_f16 v18, v58, v66, v18
	;;#ASMEND
	s_nop 0
	;;#ASMSTART
	v_dot2_f32_f16 v18, v59, v67, v18
	;;#ASMEND
	;;#ASMSTART
	v_dot2_f32_f16 v51, v60, v52, v51
	;;#ASMEND
	s_nop 0
	;;#ASMSTART
	v_dot2_f32_f16 v51, v61, v53, v51
	;;#ASMEND
	s_nop 0
	;;#ASMSTART
	v_dot2_f32_f16 v51, v62, v54, v51
	;;#ASMEND
	s_nop 0
	;;#ASMSTART
	v_dot2_f32_f16 v51, v63, v55, v51
	;;#ASMEND
	;; [unrolled: 15-line block ×3, first 2 shown]
	ds_read_b128 v[52:55], v22 offset:688
	ds_read_b128 v[56:59], v25 offset:48
	;; [unrolled: 1-line block ×4, first 2 shown]
	s_waitcnt lgkmcnt(2)
	;;#ASMSTART
	v_dot2_f32_f16 v50, v56, v52, v50
	;;#ASMEND
	s_nop 0
	;;#ASMSTART
	v_dot2_f32_f16 v50, v57, v53, v50
	;;#ASMEND
	s_nop 0
	;; [unrolled: 4-line block ×3, first 2 shown]
	;;#ASMSTART
	v_dot2_f32_f16 v50, v59, v55, v50
	;;#ASMEND
	s_waitcnt lgkmcnt(0)
	;;#ASMSTART
	v_dot2_f32_f16 v18, v56, v64, v18
	;;#ASMEND
	s_nop 0
	;;#ASMSTART
	v_dot2_f32_f16 v18, v57, v65, v18
	;;#ASMEND
	s_nop 0
	;;#ASMSTART
	v_dot2_f32_f16 v18, v58, v66, v18
	;;#ASMEND
	s_nop 0
	;;#ASMSTART
	v_dot2_f32_f16 v18, v59, v67, v18
	;;#ASMEND
	;;#ASMSTART
	v_dot2_f32_f16 v51, v60, v52, v51
	;;#ASMEND
	s_nop 0
	;;#ASMSTART
	v_dot2_f32_f16 v51, v61, v53, v51
	;;#ASMEND
	s_nop 0
	;;#ASMSTART
	v_dot2_f32_f16 v51, v62, v54, v51
	;;#ASMEND
	s_nop 0
	;;#ASMSTART
	v_dot2_f32_f16 v51, v63, v55, v51
	;;#ASMEND
	;; [unrolled: 15-line block ×3, first 2 shown]
	ds_read_b128 v[52:55], v22 offset:704
	ds_read_b128 v[56:59], v25 offset:64
	;; [unrolled: 1-line block ×4, first 2 shown]
	s_waitcnt lgkmcnt(2)
	;;#ASMSTART
	v_dot2_f32_f16 v50, v56, v52, v50
	;;#ASMEND
	s_nop 0
	;;#ASMSTART
	v_dot2_f32_f16 v50, v57, v53, v50
	;;#ASMEND
	s_nop 0
	;; [unrolled: 4-line block ×3, first 2 shown]
	;;#ASMSTART
	v_dot2_f32_f16 v50, v59, v55, v50
	;;#ASMEND
	s_waitcnt lgkmcnt(0)
	;;#ASMSTART
	v_dot2_f32_f16 v18, v56, v64, v18
	;;#ASMEND
	s_nop 0
	;;#ASMSTART
	v_dot2_f32_f16 v18, v57, v65, v18
	;;#ASMEND
	s_nop 0
	;;#ASMSTART
	v_dot2_f32_f16 v18, v58, v66, v18
	;;#ASMEND
	s_nop 0
	;;#ASMSTART
	v_dot2_f32_f16 v18, v59, v67, v18
	;;#ASMEND
	;;#ASMSTART
	v_dot2_f32_f16 v51, v60, v52, v51
	;;#ASMEND
	s_nop 0
	;;#ASMSTART
	v_dot2_f32_f16 v51, v61, v53, v51
	;;#ASMEND
	s_nop 0
	;;#ASMSTART
	v_dot2_f32_f16 v51, v62, v54, v51
	;;#ASMEND
	s_nop 0
	;;#ASMSTART
	v_dot2_f32_f16 v51, v63, v55, v51
	;;#ASMEND
	;;#ASMSTART
	v_dot2_f32_f16 v19, v60, v64, v19
	;;#ASMEND
	s_nop 0
	;;#ASMSTART
	v_dot2_f32_f16 v19, v61, v65, v19
	;;#ASMEND
	s_nop 0
	;;#ASMSTART
	v_dot2_f32_f16 v19, v62, v66, v19
	;;#ASMEND
	s_nop 0
	;;#ASMSTART
	v_dot2_f32_f16 v19, v63, v67, v19
	;;#ASMEND
	ds_read_b128 v[52:55], v22 offset:720
	ds_read_b128 v[56:59], v25 offset:80
	;; [unrolled: 1-line block ×4, first 2 shown]
	s_waitcnt lgkmcnt(2)
	;;#ASMSTART
	v_dot2_f32_f16 v50, v56, v52, v50
	;;#ASMEND
	s_nop 0
	;;#ASMSTART
	v_dot2_f32_f16 v50, v57, v53, v50
	;;#ASMEND
	s_nop 0
	;;#ASMSTART
	v_dot2_f32_f16 v50, v58, v54, v50
	;;#ASMEND
	s_nop 0
	;;#ASMSTART
	v_dot2_f32_f16 v50, v59, v55, v50
	;;#ASMEND
	s_waitcnt lgkmcnt(0)
	;;#ASMSTART
	v_dot2_f32_f16 v18, v56, v64, v18
	;;#ASMEND
	s_nop 0
	;;#ASMSTART
	v_dot2_f32_f16 v18, v57, v65, v18
	;;#ASMEND
	s_nop 0
	;;#ASMSTART
	v_dot2_f32_f16 v18, v58, v66, v18
	;;#ASMEND
	s_nop 0
	;;#ASMSTART
	v_dot2_f32_f16 v18, v59, v67, v18
	;;#ASMEND
	;;#ASMSTART
	v_dot2_f32_f16 v51, v60, v52, v51
	;;#ASMEND
	s_nop 0
	;;#ASMSTART
	v_dot2_f32_f16 v51, v61, v53, v51
	;;#ASMEND
	s_nop 0
	;;#ASMSTART
	v_dot2_f32_f16 v51, v62, v54, v51
	;;#ASMEND
	s_nop 0
	;;#ASMSTART
	v_dot2_f32_f16 v51, v63, v55, v51
	;;#ASMEND
	;;#ASMSTART
	v_dot2_f32_f16 v19, v60, v64, v19
	;;#ASMEND
	s_nop 0
	;;#ASMSTART
	v_dot2_f32_f16 v19, v61, v65, v19
	;;#ASMEND
	s_nop 0
	;;#ASMSTART
	v_dot2_f32_f16 v19, v62, v66, v19
	;;#ASMEND
	s_nop 0
	;;#ASMSTART
	v_dot2_f32_f16 v19, v63, v67, v19
	;;#ASMEND
	ds_read_b128 v[52:55], v22 offset:736
	ds_read_b128 v[56:59], v25 offset:96
	ds_read_b128 v[60:63], v25 offset:4704
	ds_read_b128 v[64:67], v22 offset:1760
	s_waitcnt lgkmcnt(2)
	;;#ASMSTART
	v_dot2_f32_f16 v50, v56, v52, v50
	;;#ASMEND
	s_nop 0
	;;#ASMSTART
	v_dot2_f32_f16 v50, v57, v53, v50
	;;#ASMEND
	s_nop 0
	;; [unrolled: 4-line block ×3, first 2 shown]
	;;#ASMSTART
	v_dot2_f32_f16 v50, v59, v55, v50
	;;#ASMEND
	s_waitcnt lgkmcnt(0)
	;;#ASMSTART
	v_dot2_f32_f16 v18, v56, v64, v18
	;;#ASMEND
	s_nop 0
	;;#ASMSTART
	v_dot2_f32_f16 v18, v57, v65, v18
	;;#ASMEND
	s_nop 0
	;;#ASMSTART
	v_dot2_f32_f16 v18, v58, v66, v18
	;;#ASMEND
	s_nop 0
	;;#ASMSTART
	v_dot2_f32_f16 v18, v59, v67, v18
	;;#ASMEND
	;;#ASMSTART
	v_dot2_f32_f16 v51, v60, v52, v51
	;;#ASMEND
	s_nop 0
	;;#ASMSTART
	v_dot2_f32_f16 v51, v61, v53, v51
	;;#ASMEND
	s_nop 0
	;;#ASMSTART
	v_dot2_f32_f16 v51, v62, v54, v51
	;;#ASMEND
	s_nop 0
	;;#ASMSTART
	v_dot2_f32_f16 v51, v63, v55, v51
	;;#ASMEND
	;;#ASMSTART
	v_dot2_f32_f16 v19, v60, v64, v19
	;;#ASMEND
	s_nop 0
	;;#ASMSTART
	v_dot2_f32_f16 v19, v61, v65, v19
	;;#ASMEND
	s_nop 0
	;;#ASMSTART
	v_dot2_f32_f16 v19, v62, v66, v19
	;;#ASMEND
	s_nop 0
	;;#ASMSTART
	v_dot2_f32_f16 v19, v63, v67, v19
	;;#ASMEND
	ds_read_b128 v[52:55], v22 offset:752
	ds_read_b128 v[56:59], v25 offset:112
	;; [unrolled: 1-line block ×4, first 2 shown]
	s_waitcnt lgkmcnt(2)
	;;#ASMSTART
	v_dot2_f32_f16 v50, v56, v52, v50
	;;#ASMEND
	s_nop 0
	;;#ASMSTART
	v_dot2_f32_f16 v50, v57, v53, v50
	;;#ASMEND
	s_nop 0
	;; [unrolled: 4-line block ×3, first 2 shown]
	;;#ASMSTART
	v_dot2_f32_f16 v50, v59, v55, v50
	;;#ASMEND
	s_waitcnt lgkmcnt(0)
	;;#ASMSTART
	v_dot2_f32_f16 v18, v56, v64, v18
	;;#ASMEND
	s_nop 0
	;;#ASMSTART
	v_dot2_f32_f16 v18, v57, v65, v18
	;;#ASMEND
	s_nop 0
	;;#ASMSTART
	v_dot2_f32_f16 v18, v58, v66, v18
	;;#ASMEND
	s_nop 0
	;;#ASMSTART
	v_dot2_f32_f16 v18, v59, v67, v18
	;;#ASMEND
	;;#ASMSTART
	v_dot2_f32_f16 v51, v60, v52, v51
	;;#ASMEND
	s_nop 0
	;;#ASMSTART
	v_dot2_f32_f16 v51, v61, v53, v51
	;;#ASMEND
	s_nop 0
	;;#ASMSTART
	v_dot2_f32_f16 v51, v62, v54, v51
	;;#ASMEND
	s_nop 0
	;;#ASMSTART
	v_dot2_f32_f16 v51, v63, v55, v51
	;;#ASMEND
	;; [unrolled: 15-line block ×3, first 2 shown]
	s_barrier
	global_load_dwordx4 v[52:55], v[0:1], off offset:768
	global_load_dwordx4 v[56:59], v[2:3], off offset:768
	s_waitcnt vmcnt(1)
	ds_write_b128 v23, v[52:55]
	s_waitcnt vmcnt(0)
	ds_write_b128 v24, v[56:59]
	s_waitcnt lgkmcnt(0)
	s_barrier
	ds_read_b128 v[52:55], v22 offset:768
	ds_read_b128 v[56:59], v25
	ds_read_b128 v[60:63], v25 offset:4608
	ds_read_b128 v[64:67], v22 offset:1792
	s_waitcnt lgkmcnt(2)
	;;#ASMSTART
	v_dot2_f32_f16 v50, v56, v52, v50
	;;#ASMEND
	s_nop 0
	;;#ASMSTART
	v_dot2_f32_f16 v50, v57, v53, v50
	;;#ASMEND
	s_nop 0
	;; [unrolled: 4-line block ×3, first 2 shown]
	;;#ASMSTART
	v_dot2_f32_f16 v50, v59, v55, v50
	;;#ASMEND
	s_waitcnt lgkmcnt(0)
	;;#ASMSTART
	v_dot2_f32_f16 v18, v56, v64, v18
	;;#ASMEND
	s_nop 0
	;;#ASMSTART
	v_dot2_f32_f16 v18, v57, v65, v18
	;;#ASMEND
	s_nop 0
	;;#ASMSTART
	v_dot2_f32_f16 v18, v58, v66, v18
	;;#ASMEND
	s_nop 0
	;;#ASMSTART
	v_dot2_f32_f16 v18, v59, v67, v18
	;;#ASMEND
	;;#ASMSTART
	v_dot2_f32_f16 v51, v60, v52, v51
	;;#ASMEND
	s_nop 0
	;;#ASMSTART
	v_dot2_f32_f16 v51, v61, v53, v51
	;;#ASMEND
	s_nop 0
	;;#ASMSTART
	v_dot2_f32_f16 v51, v62, v54, v51
	;;#ASMEND
	s_nop 0
	;;#ASMSTART
	v_dot2_f32_f16 v51, v63, v55, v51
	;;#ASMEND
	;; [unrolled: 15-line block ×3, first 2 shown]
	ds_read_b128 v[52:55], v22 offset:784
	ds_read_b128 v[56:59], v25 offset:16
	ds_read_b128 v[60:63], v25 offset:4624
	ds_read_b128 v[64:67], v22 offset:1808
	s_waitcnt lgkmcnt(2)
	;;#ASMSTART
	v_dot2_f32_f16 v50, v56, v52, v50
	;;#ASMEND
	s_nop 0
	;;#ASMSTART
	v_dot2_f32_f16 v50, v57, v53, v50
	;;#ASMEND
	s_nop 0
	;; [unrolled: 4-line block ×3, first 2 shown]
	;;#ASMSTART
	v_dot2_f32_f16 v50, v59, v55, v50
	;;#ASMEND
	s_waitcnt lgkmcnt(0)
	;;#ASMSTART
	v_dot2_f32_f16 v18, v56, v64, v18
	;;#ASMEND
	s_nop 0
	;;#ASMSTART
	v_dot2_f32_f16 v18, v57, v65, v18
	;;#ASMEND
	s_nop 0
	;;#ASMSTART
	v_dot2_f32_f16 v18, v58, v66, v18
	;;#ASMEND
	s_nop 0
	;;#ASMSTART
	v_dot2_f32_f16 v18, v59, v67, v18
	;;#ASMEND
	;;#ASMSTART
	v_dot2_f32_f16 v51, v60, v52, v51
	;;#ASMEND
	s_nop 0
	;;#ASMSTART
	v_dot2_f32_f16 v51, v61, v53, v51
	;;#ASMEND
	s_nop 0
	;;#ASMSTART
	v_dot2_f32_f16 v51, v62, v54, v51
	;;#ASMEND
	s_nop 0
	;;#ASMSTART
	v_dot2_f32_f16 v51, v63, v55, v51
	;;#ASMEND
	;;#ASMSTART
	v_dot2_f32_f16 v19, v60, v64, v19
	;;#ASMEND
	s_nop 0
	;;#ASMSTART
	v_dot2_f32_f16 v19, v61, v65, v19
	;;#ASMEND
	s_nop 0
	;;#ASMSTART
	v_dot2_f32_f16 v19, v62, v66, v19
	;;#ASMEND
	s_nop 0
	;;#ASMSTART
	v_dot2_f32_f16 v19, v63, v67, v19
	;;#ASMEND
	ds_read_b128 v[52:55], v22 offset:800
	ds_read_b128 v[56:59], v25 offset:32
	;; [unrolled: 1-line block ×4, first 2 shown]
	s_waitcnt lgkmcnt(2)
	;;#ASMSTART
	v_dot2_f32_f16 v50, v56, v52, v50
	;;#ASMEND
	s_nop 0
	;;#ASMSTART
	v_dot2_f32_f16 v50, v57, v53, v50
	;;#ASMEND
	s_nop 0
	;; [unrolled: 4-line block ×3, first 2 shown]
	;;#ASMSTART
	v_dot2_f32_f16 v50, v59, v55, v50
	;;#ASMEND
	s_waitcnt lgkmcnt(0)
	;;#ASMSTART
	v_dot2_f32_f16 v18, v56, v64, v18
	;;#ASMEND
	s_nop 0
	;;#ASMSTART
	v_dot2_f32_f16 v18, v57, v65, v18
	;;#ASMEND
	s_nop 0
	;;#ASMSTART
	v_dot2_f32_f16 v18, v58, v66, v18
	;;#ASMEND
	s_nop 0
	;;#ASMSTART
	v_dot2_f32_f16 v18, v59, v67, v18
	;;#ASMEND
	;;#ASMSTART
	v_dot2_f32_f16 v51, v60, v52, v51
	;;#ASMEND
	s_nop 0
	;;#ASMSTART
	v_dot2_f32_f16 v51, v61, v53, v51
	;;#ASMEND
	s_nop 0
	;;#ASMSTART
	v_dot2_f32_f16 v51, v62, v54, v51
	;;#ASMEND
	s_nop 0
	;;#ASMSTART
	v_dot2_f32_f16 v51, v63, v55, v51
	;;#ASMEND
	;; [unrolled: 15-line block ×3, first 2 shown]
	ds_read_b128 v[52:55], v22 offset:816
	ds_read_b128 v[56:59], v25 offset:48
	;; [unrolled: 1-line block ×4, first 2 shown]
	s_waitcnt lgkmcnt(2)
	;;#ASMSTART
	v_dot2_f32_f16 v50, v56, v52, v50
	;;#ASMEND
	s_nop 0
	;;#ASMSTART
	v_dot2_f32_f16 v50, v57, v53, v50
	;;#ASMEND
	s_nop 0
	;; [unrolled: 4-line block ×3, first 2 shown]
	;;#ASMSTART
	v_dot2_f32_f16 v50, v59, v55, v50
	;;#ASMEND
	s_waitcnt lgkmcnt(0)
	;;#ASMSTART
	v_dot2_f32_f16 v18, v56, v64, v18
	;;#ASMEND
	s_nop 0
	;;#ASMSTART
	v_dot2_f32_f16 v18, v57, v65, v18
	;;#ASMEND
	s_nop 0
	;;#ASMSTART
	v_dot2_f32_f16 v18, v58, v66, v18
	;;#ASMEND
	s_nop 0
	;;#ASMSTART
	v_dot2_f32_f16 v18, v59, v67, v18
	;;#ASMEND
	;;#ASMSTART
	v_dot2_f32_f16 v51, v60, v52, v51
	;;#ASMEND
	s_nop 0
	;;#ASMSTART
	v_dot2_f32_f16 v51, v61, v53, v51
	;;#ASMEND
	s_nop 0
	;;#ASMSTART
	v_dot2_f32_f16 v51, v62, v54, v51
	;;#ASMEND
	s_nop 0
	;;#ASMSTART
	v_dot2_f32_f16 v51, v63, v55, v51
	;;#ASMEND
	;; [unrolled: 15-line block ×3, first 2 shown]
	ds_read_b128 v[52:55], v22 offset:832
	ds_read_b128 v[56:59], v25 offset:64
	ds_read_b128 v[60:63], v25 offset:4672
	ds_read_b128 v[64:67], v22 offset:1856
	s_waitcnt lgkmcnt(2)
	;;#ASMSTART
	v_dot2_f32_f16 v50, v56, v52, v50
	;;#ASMEND
	s_nop 0
	;;#ASMSTART
	v_dot2_f32_f16 v50, v57, v53, v50
	;;#ASMEND
	s_nop 0
	;; [unrolled: 4-line block ×3, first 2 shown]
	;;#ASMSTART
	v_dot2_f32_f16 v50, v59, v55, v50
	;;#ASMEND
	s_waitcnt lgkmcnt(0)
	;;#ASMSTART
	v_dot2_f32_f16 v18, v56, v64, v18
	;;#ASMEND
	s_nop 0
	;;#ASMSTART
	v_dot2_f32_f16 v18, v57, v65, v18
	;;#ASMEND
	s_nop 0
	;;#ASMSTART
	v_dot2_f32_f16 v18, v58, v66, v18
	;;#ASMEND
	s_nop 0
	;;#ASMSTART
	v_dot2_f32_f16 v18, v59, v67, v18
	;;#ASMEND
	;;#ASMSTART
	v_dot2_f32_f16 v51, v60, v52, v51
	;;#ASMEND
	s_nop 0
	;;#ASMSTART
	v_dot2_f32_f16 v51, v61, v53, v51
	;;#ASMEND
	s_nop 0
	;;#ASMSTART
	v_dot2_f32_f16 v51, v62, v54, v51
	;;#ASMEND
	s_nop 0
	;;#ASMSTART
	v_dot2_f32_f16 v51, v63, v55, v51
	;;#ASMEND
	;;#ASMSTART
	v_dot2_f32_f16 v19, v60, v64, v19
	;;#ASMEND
	s_nop 0
	;;#ASMSTART
	v_dot2_f32_f16 v19, v61, v65, v19
	;;#ASMEND
	s_nop 0
	;;#ASMSTART
	v_dot2_f32_f16 v19, v62, v66, v19
	;;#ASMEND
	s_nop 0
	;;#ASMSTART
	v_dot2_f32_f16 v19, v63, v67, v19
	;;#ASMEND
	ds_read_b128 v[52:55], v22 offset:848
	ds_read_b128 v[56:59], v25 offset:80
	;; [unrolled: 1-line block ×4, first 2 shown]
	s_waitcnt lgkmcnt(2)
	;;#ASMSTART
	v_dot2_f32_f16 v50, v56, v52, v50
	;;#ASMEND
	s_nop 0
	;;#ASMSTART
	v_dot2_f32_f16 v50, v57, v53, v50
	;;#ASMEND
	s_nop 0
	;;#ASMSTART
	v_dot2_f32_f16 v50, v58, v54, v50
	;;#ASMEND
	s_nop 0
	;;#ASMSTART
	v_dot2_f32_f16 v50, v59, v55, v50
	;;#ASMEND
	s_waitcnt lgkmcnt(0)
	;;#ASMSTART
	v_dot2_f32_f16 v18, v56, v64, v18
	;;#ASMEND
	s_nop 0
	;;#ASMSTART
	v_dot2_f32_f16 v18, v57, v65, v18
	;;#ASMEND
	s_nop 0
	;;#ASMSTART
	v_dot2_f32_f16 v18, v58, v66, v18
	;;#ASMEND
	s_nop 0
	;;#ASMSTART
	v_dot2_f32_f16 v18, v59, v67, v18
	;;#ASMEND
	;;#ASMSTART
	v_dot2_f32_f16 v51, v60, v52, v51
	;;#ASMEND
	s_nop 0
	;;#ASMSTART
	v_dot2_f32_f16 v51, v61, v53, v51
	;;#ASMEND
	s_nop 0
	;;#ASMSTART
	v_dot2_f32_f16 v51, v62, v54, v51
	;;#ASMEND
	s_nop 0
	;;#ASMSTART
	v_dot2_f32_f16 v51, v63, v55, v51
	;;#ASMEND
	;; [unrolled: 15-line block ×3, first 2 shown]
	ds_read_b128 v[52:55], v22 offset:864
	ds_read_b128 v[56:59], v25 offset:96
	;; [unrolled: 1-line block ×4, first 2 shown]
	s_waitcnt lgkmcnt(2)
	;;#ASMSTART
	v_dot2_f32_f16 v50, v56, v52, v50
	;;#ASMEND
	s_nop 0
	;;#ASMSTART
	v_dot2_f32_f16 v50, v57, v53, v50
	;;#ASMEND
	s_nop 0
	;; [unrolled: 4-line block ×3, first 2 shown]
	;;#ASMSTART
	v_dot2_f32_f16 v50, v59, v55, v50
	;;#ASMEND
	s_waitcnt lgkmcnt(0)
	;;#ASMSTART
	v_dot2_f32_f16 v18, v56, v64, v18
	;;#ASMEND
	s_nop 0
	;;#ASMSTART
	v_dot2_f32_f16 v18, v57, v65, v18
	;;#ASMEND
	s_nop 0
	;;#ASMSTART
	v_dot2_f32_f16 v18, v58, v66, v18
	;;#ASMEND
	s_nop 0
	;;#ASMSTART
	v_dot2_f32_f16 v18, v59, v67, v18
	;;#ASMEND
	;;#ASMSTART
	v_dot2_f32_f16 v51, v60, v52, v51
	;;#ASMEND
	s_nop 0
	;;#ASMSTART
	v_dot2_f32_f16 v51, v61, v53, v51
	;;#ASMEND
	s_nop 0
	;;#ASMSTART
	v_dot2_f32_f16 v51, v62, v54, v51
	;;#ASMEND
	s_nop 0
	;;#ASMSTART
	v_dot2_f32_f16 v51, v63, v55, v51
	;;#ASMEND
	;; [unrolled: 15-line block ×3, first 2 shown]
	ds_read_b128 v[52:55], v22 offset:880
	ds_read_b128 v[56:59], v25 offset:112
	;; [unrolled: 1-line block ×4, first 2 shown]
	s_waitcnt lgkmcnt(2)
	;;#ASMSTART
	v_dot2_f32_f16 v50, v56, v52, v50
	;;#ASMEND
	s_nop 0
	;;#ASMSTART
	v_dot2_f32_f16 v50, v57, v53, v50
	;;#ASMEND
	s_nop 0
	;; [unrolled: 4-line block ×3, first 2 shown]
	;;#ASMSTART
	v_dot2_f32_f16 v50, v59, v55, v50
	;;#ASMEND
	s_waitcnt lgkmcnt(0)
	;;#ASMSTART
	v_dot2_f32_f16 v18, v56, v64, v18
	;;#ASMEND
	s_nop 0
	;;#ASMSTART
	v_dot2_f32_f16 v18, v57, v65, v18
	;;#ASMEND
	s_nop 0
	;;#ASMSTART
	v_dot2_f32_f16 v18, v58, v66, v18
	;;#ASMEND
	s_nop 0
	;;#ASMSTART
	v_dot2_f32_f16 v18, v59, v67, v18
	;;#ASMEND
	;;#ASMSTART
	v_dot2_f32_f16 v51, v60, v52, v51
	;;#ASMEND
	s_nop 0
	;;#ASMSTART
	v_dot2_f32_f16 v51, v61, v53, v51
	;;#ASMEND
	s_nop 0
	;;#ASMSTART
	v_dot2_f32_f16 v51, v62, v54, v51
	;;#ASMEND
	s_nop 0
	;;#ASMSTART
	v_dot2_f32_f16 v51, v63, v55, v51
	;;#ASMEND
	;; [unrolled: 15-line block ×3, first 2 shown]
	s_barrier
	global_load_dwordx4 v[52:55], v[0:1], off offset:896
	global_load_dwordx4 v[56:59], v[2:3], off offset:896
	s_waitcnt vmcnt(1)
	ds_write_b128 v23, v[52:55]
	s_waitcnt vmcnt(0)
	ds_write_b128 v24, v[56:59]
	s_waitcnt lgkmcnt(0)
	s_barrier
	ds_read_b128 v[0:3], v22 offset:896
	ds_read_b128 v[52:55], v25
	ds_read_b128 v[56:59], v25 offset:4608
	ds_read_b128 v[60:63], v22 offset:1920
	s_waitcnt lgkmcnt(2)
	;;#ASMSTART
	v_dot2_f32_f16 v50, v52, v0, v50
	;;#ASMEND
	s_nop 0
	;;#ASMSTART
	v_dot2_f32_f16 v50, v53, v1, v50
	;;#ASMEND
	s_nop 0
	;; [unrolled: 4-line block ×3, first 2 shown]
	;;#ASMSTART
	v_dot2_f32_f16 v50, v55, v3, v50
	;;#ASMEND
	s_waitcnt lgkmcnt(0)
	;;#ASMSTART
	v_dot2_f32_f16 v18, v52, v60, v18
	;;#ASMEND
	s_nop 0
	;;#ASMSTART
	v_dot2_f32_f16 v18, v53, v61, v18
	;;#ASMEND
	s_nop 0
	;;#ASMSTART
	v_dot2_f32_f16 v18, v54, v62, v18
	;;#ASMEND
	s_nop 0
	;;#ASMSTART
	v_dot2_f32_f16 v18, v55, v63, v18
	;;#ASMEND
	;;#ASMSTART
	v_dot2_f32_f16 v51, v56, v0, v51
	;;#ASMEND
	s_nop 0
	;;#ASMSTART
	v_dot2_f32_f16 v51, v57, v1, v51
	;;#ASMEND
	s_nop 0
	;;#ASMSTART
	v_dot2_f32_f16 v51, v58, v2, v51
	;;#ASMEND
	s_nop 0
	;;#ASMSTART
	v_dot2_f32_f16 v51, v59, v3, v51
	;;#ASMEND
	;; [unrolled: 15-line block ×3, first 2 shown]
	ds_read_b128 v[0:3], v22 offset:912
	ds_read_b128 v[52:55], v25 offset:16
	;; [unrolled: 1-line block ×4, first 2 shown]
	s_waitcnt lgkmcnt(2)
	;;#ASMSTART
	v_dot2_f32_f16 v50, v52, v0, v50
	;;#ASMEND
	s_nop 0
	;;#ASMSTART
	v_dot2_f32_f16 v50, v53, v1, v50
	;;#ASMEND
	s_nop 0
	;; [unrolled: 4-line block ×3, first 2 shown]
	;;#ASMSTART
	v_dot2_f32_f16 v50, v55, v3, v50
	;;#ASMEND
	s_waitcnt lgkmcnt(0)
	;;#ASMSTART
	v_dot2_f32_f16 v18, v52, v60, v18
	;;#ASMEND
	s_nop 0
	;;#ASMSTART
	v_dot2_f32_f16 v18, v53, v61, v18
	;;#ASMEND
	s_nop 0
	;;#ASMSTART
	v_dot2_f32_f16 v18, v54, v62, v18
	;;#ASMEND
	s_nop 0
	;;#ASMSTART
	v_dot2_f32_f16 v18, v55, v63, v18
	;;#ASMEND
	;;#ASMSTART
	v_dot2_f32_f16 v51, v56, v0, v51
	;;#ASMEND
	s_nop 0
	;;#ASMSTART
	v_dot2_f32_f16 v51, v57, v1, v51
	;;#ASMEND
	s_nop 0
	;;#ASMSTART
	v_dot2_f32_f16 v51, v58, v2, v51
	;;#ASMEND
	s_nop 0
	;;#ASMSTART
	v_dot2_f32_f16 v51, v59, v3, v51
	;;#ASMEND
	;; [unrolled: 15-line block ×3, first 2 shown]
	ds_read_b128 v[0:3], v22 offset:928
	ds_read_b128 v[52:55], v25 offset:32
	;; [unrolled: 1-line block ×4, first 2 shown]
	s_waitcnt lgkmcnt(2)
	;;#ASMSTART
	v_dot2_f32_f16 v50, v52, v0, v50
	;;#ASMEND
	s_nop 0
	;;#ASMSTART
	v_dot2_f32_f16 v50, v53, v1, v50
	;;#ASMEND
	s_nop 0
	;; [unrolled: 4-line block ×3, first 2 shown]
	;;#ASMSTART
	v_dot2_f32_f16 v50, v55, v3, v50
	;;#ASMEND
	s_waitcnt lgkmcnt(0)
	;;#ASMSTART
	v_dot2_f32_f16 v18, v52, v60, v18
	;;#ASMEND
	s_nop 0
	;;#ASMSTART
	v_dot2_f32_f16 v18, v53, v61, v18
	;;#ASMEND
	s_nop 0
	;;#ASMSTART
	v_dot2_f32_f16 v18, v54, v62, v18
	;;#ASMEND
	s_nop 0
	;;#ASMSTART
	v_dot2_f32_f16 v18, v55, v63, v18
	;;#ASMEND
	;;#ASMSTART
	v_dot2_f32_f16 v51, v56, v0, v51
	;;#ASMEND
	s_nop 0
	;;#ASMSTART
	v_dot2_f32_f16 v51, v57, v1, v51
	;;#ASMEND
	s_nop 0
	;;#ASMSTART
	v_dot2_f32_f16 v51, v58, v2, v51
	;;#ASMEND
	s_nop 0
	;;#ASMSTART
	v_dot2_f32_f16 v51, v59, v3, v51
	;;#ASMEND
	;; [unrolled: 15-line block ×3, first 2 shown]
	ds_read_b128 v[0:3], v22 offset:944
	ds_read_b128 v[52:55], v25 offset:48
	;; [unrolled: 1-line block ×4, first 2 shown]
	s_waitcnt lgkmcnt(2)
	;;#ASMSTART
	v_dot2_f32_f16 v50, v52, v0, v50
	;;#ASMEND
	s_nop 0
	;;#ASMSTART
	v_dot2_f32_f16 v50, v53, v1, v50
	;;#ASMEND
	s_nop 0
	;;#ASMSTART
	v_dot2_f32_f16 v50, v54, v2, v50
	;;#ASMEND
	s_nop 0
	;;#ASMSTART
	v_dot2_f32_f16 v50, v55, v3, v50
	;;#ASMEND
	s_waitcnt lgkmcnt(0)
	;;#ASMSTART
	v_dot2_f32_f16 v18, v52, v60, v18
	;;#ASMEND
	s_nop 0
	;;#ASMSTART
	v_dot2_f32_f16 v18, v53, v61, v18
	;;#ASMEND
	s_nop 0
	;;#ASMSTART
	v_dot2_f32_f16 v18, v54, v62, v18
	;;#ASMEND
	s_nop 0
	;;#ASMSTART
	v_dot2_f32_f16 v18, v55, v63, v18
	;;#ASMEND
	;;#ASMSTART
	v_dot2_f32_f16 v51, v56, v0, v51
	;;#ASMEND
	s_nop 0
	;;#ASMSTART
	v_dot2_f32_f16 v51, v57, v1, v51
	;;#ASMEND
	s_nop 0
	;;#ASMSTART
	v_dot2_f32_f16 v51, v58, v2, v51
	;;#ASMEND
	s_nop 0
	;;#ASMSTART
	v_dot2_f32_f16 v51, v59, v3, v51
	;;#ASMEND
	;;#ASMSTART
	v_dot2_f32_f16 v19, v56, v60, v19
	;;#ASMEND
	s_nop 0
	;;#ASMSTART
	v_dot2_f32_f16 v19, v57, v61, v19
	;;#ASMEND
	s_nop 0
	;;#ASMSTART
	v_dot2_f32_f16 v19, v58, v62, v19
	;;#ASMEND
	s_nop 0
	;;#ASMSTART
	v_dot2_f32_f16 v19, v59, v63, v19
	;;#ASMEND
	ds_read_b128 v[0:3], v22 offset:960
	ds_read_b128 v[52:55], v25 offset:64
	;; [unrolled: 1-line block ×4, first 2 shown]
	s_waitcnt lgkmcnt(2)
	;;#ASMSTART
	v_dot2_f32_f16 v50, v52, v0, v50
	;;#ASMEND
	s_nop 0
	;;#ASMSTART
	v_dot2_f32_f16 v50, v53, v1, v50
	;;#ASMEND
	s_nop 0
	;; [unrolled: 4-line block ×3, first 2 shown]
	;;#ASMSTART
	v_dot2_f32_f16 v50, v55, v3, v50
	;;#ASMEND
	s_waitcnt lgkmcnt(0)
	;;#ASMSTART
	v_dot2_f32_f16 v18, v52, v60, v18
	;;#ASMEND
	s_nop 0
	;;#ASMSTART
	v_dot2_f32_f16 v18, v53, v61, v18
	;;#ASMEND
	s_nop 0
	;;#ASMSTART
	v_dot2_f32_f16 v18, v54, v62, v18
	;;#ASMEND
	s_nop 0
	;;#ASMSTART
	v_dot2_f32_f16 v18, v55, v63, v18
	;;#ASMEND
	;;#ASMSTART
	v_dot2_f32_f16 v51, v56, v0, v51
	;;#ASMEND
	s_nop 0
	;;#ASMSTART
	v_dot2_f32_f16 v51, v57, v1, v51
	;;#ASMEND
	s_nop 0
	;;#ASMSTART
	v_dot2_f32_f16 v51, v58, v2, v51
	;;#ASMEND
	s_nop 0
	;;#ASMSTART
	v_dot2_f32_f16 v51, v59, v3, v51
	;;#ASMEND
	;; [unrolled: 15-line block ×3, first 2 shown]
	ds_read_b128 v[0:3], v22 offset:976
	ds_read_b128 v[52:55], v25 offset:80
	;; [unrolled: 1-line block ×4, first 2 shown]
	s_waitcnt lgkmcnt(2)
	;;#ASMSTART
	v_dot2_f32_f16 v50, v52, v0, v50
	;;#ASMEND
	s_nop 0
	;;#ASMSTART
	v_dot2_f32_f16 v50, v53, v1, v50
	;;#ASMEND
	s_nop 0
	;; [unrolled: 4-line block ×3, first 2 shown]
	;;#ASMSTART
	v_dot2_f32_f16 v50, v55, v3, v50
	;;#ASMEND
	s_waitcnt lgkmcnt(0)
	;;#ASMSTART
	v_dot2_f32_f16 v18, v52, v60, v18
	;;#ASMEND
	s_nop 0
	;;#ASMSTART
	v_dot2_f32_f16 v18, v53, v61, v18
	;;#ASMEND
	s_nop 0
	;;#ASMSTART
	v_dot2_f32_f16 v18, v54, v62, v18
	;;#ASMEND
	s_nop 0
	;;#ASMSTART
	v_dot2_f32_f16 v18, v55, v63, v18
	;;#ASMEND
	;;#ASMSTART
	v_dot2_f32_f16 v51, v56, v0, v51
	;;#ASMEND
	s_nop 0
	;;#ASMSTART
	v_dot2_f32_f16 v51, v57, v1, v51
	;;#ASMEND
	s_nop 0
	;;#ASMSTART
	v_dot2_f32_f16 v51, v58, v2, v51
	;;#ASMEND
	s_nop 0
	;;#ASMSTART
	v_dot2_f32_f16 v51, v59, v3, v51
	;;#ASMEND
	;; [unrolled: 15-line block ×3, first 2 shown]
	ds_read_b128 v[0:3], v22 offset:992
	ds_read_b128 v[52:55], v25 offset:96
	;; [unrolled: 1-line block ×4, first 2 shown]
	s_waitcnt lgkmcnt(2)
	;;#ASMSTART
	v_dot2_f32_f16 v50, v52, v0, v50
	;;#ASMEND
	s_nop 0
	;;#ASMSTART
	v_dot2_f32_f16 v50, v53, v1, v50
	;;#ASMEND
	s_nop 0
	;; [unrolled: 4-line block ×3, first 2 shown]
	;;#ASMSTART
	v_dot2_f32_f16 v50, v55, v3, v50
	;;#ASMEND
	s_waitcnt lgkmcnt(0)
	;;#ASMSTART
	v_dot2_f32_f16 v18, v52, v60, v18
	;;#ASMEND
	s_nop 0
	;;#ASMSTART
	v_dot2_f32_f16 v18, v53, v61, v18
	;;#ASMEND
	s_nop 0
	;;#ASMSTART
	v_dot2_f32_f16 v18, v54, v62, v18
	;;#ASMEND
	s_nop 0
	;;#ASMSTART
	v_dot2_f32_f16 v18, v55, v63, v18
	;;#ASMEND
	;;#ASMSTART
	v_dot2_f32_f16 v51, v56, v0, v51
	;;#ASMEND
	s_nop 0
	;;#ASMSTART
	v_dot2_f32_f16 v51, v57, v1, v51
	;;#ASMEND
	s_nop 0
	;;#ASMSTART
	v_dot2_f32_f16 v51, v58, v2, v51
	;;#ASMEND
	s_nop 0
	;;#ASMSTART
	v_dot2_f32_f16 v51, v59, v3, v51
	;;#ASMEND
	;; [unrolled: 15-line block ×3, first 2 shown]
	ds_read_b128 v[0:3], v22 offset:1008
	ds_read_b128 v[52:55], v25 offset:112
	;; [unrolled: 1-line block ×4, first 2 shown]
	s_waitcnt lgkmcnt(2)
	;;#ASMSTART
	v_dot2_f32_f16 v50, v52, v0, v50
	;;#ASMEND
	s_nop 0
	;;#ASMSTART
	v_dot2_f32_f16 v50, v53, v1, v50
	;;#ASMEND
	s_nop 0
	;; [unrolled: 4-line block ×3, first 2 shown]
	;;#ASMSTART
	v_dot2_f32_f16 v50, v55, v3, v50
	;;#ASMEND
	s_waitcnt lgkmcnt(0)
	;;#ASMSTART
	v_dot2_f32_f16 v18, v52, v60, v18
	;;#ASMEND
	s_nop 0
	;;#ASMSTART
	v_dot2_f32_f16 v18, v53, v61, v18
	;;#ASMEND
	v_cmp_nlt_f32_e64 s[6:7], |v50|, s8
	;;#ASMSTART
	v_dot2_f32_f16 v18, v54, v62, v18
	;;#ASMEND
	s_nop 0
	;;#ASMSTART
	v_dot2_f32_f16 v18, v55, v63, v18
	;;#ASMEND
	;;#ASMSTART
	v_dot2_f32_f16 v51, v56, v0, v51
	;;#ASMEND
	s_nop 0
	;;#ASMSTART
	v_dot2_f32_f16 v51, v57, v1, v51
	;;#ASMEND
	s_nop 0
	;; [unrolled: 4-line block ×3, first 2 shown]
	;;#ASMSTART
	v_dot2_f32_f16 v51, v59, v3, v51
	;;#ASMEND
	;;#ASMSTART
	v_dot2_f32_f16 v19, v56, v60, v19
	;;#ASMEND
                                        ; implicit-def: $vgpr3
	s_nop 0
	;;#ASMSTART
	v_dot2_f32_f16 v19, v57, v61, v19
	;;#ASMEND
	s_nop 0
	;;#ASMSTART
	v_dot2_f32_f16 v19, v58, v62, v19
	;;#ASMEND
	;; [unrolled: 4-line block ×3, first 2 shown]
	s_and_saveexec_b64 s[34:35], s[6:7]
	s_xor_b64 s[6:7], exec, s[34:35]
	s_cbranch_execz .LBB27_23
; %bb.22:                               ;   in Loop: Header=BB27_21 Depth=1
	v_add_f32_e64 v0, |v50|, |v50|
	v_mul_f32_e32 v1, 0x3fb8aa3b, v0
	v_rndne_f32_e32 v2, v1
	v_sub_f32_e32 v3, v1, v2
	v_fma_f32 v1, v0, s9, -v1
	v_fmac_f32_e32 v1, 0x32a5705f, v0
	v_add_f32_e32 v1, v3, v1
	v_cvt_i32_f32_e32 v2, v2
	v_exp_f32_e32 v1, v1
	v_cmp_ngt_f32_e32 vcc, s21, v0
	v_ldexp_f32 v1, v1, v2
	s_nop 0
	v_cndmask_b32_e32 v1, 0, v1, vcc
	v_cmp_nlt_f32_e32 vcc, s28, v0
	s_nop 1
	v_cndmask_b32_e32 v0, v31, v1, vcc
	v_add_f32_e32 v0, 1.0, v0
	v_rcp_f32_e32 v0, v0
	s_nop 0
	v_fma_f32 v3, v0, -2.0, 1.0
.LBB27_23:                              ;   in Loop: Header=BB27_21 Depth=1
	s_andn2_saveexec_b64 s[6:7], s[6:7]
; %bb.24:                               ;   in Loop: Header=BB27_21 Depth=1
	v_mul_f32_e32 v0, v50, v50
	v_fmamk_f32 v1, v0, 0xbbbac73d, v30
	v_fmaak_f32 v1, v0, v1, 0xbd5c1c4e
	v_fmaak_f32 v1, v0, v1, 0x3e088382
	;; [unrolled: 1-line block ×3, first 2 shown]
	v_mul_f32_e64 v1, |v50|, v1
	v_fma_f32 v3, v0, v1, |v50|
; %bb.25:                               ;   in Loop: Header=BB27_21 Depth=1
	s_or_b64 exec, exec, s[6:7]
	v_add_u32_e32 v0, s2, v14
	v_ashrrev_i32_e32 v1, 31, v0
	v_lshl_add_u64 v[0:1], v[0:1], 1, s[26:27]
	global_load_ushort v2, v[0:1], off
	v_cmp_nlt_f32_e64 s[6:7], |v51|, s8
                                        ; implicit-def: $vgpr52
	s_and_saveexec_b64 s[34:35], s[6:7]
	s_xor_b64 s[6:7], exec, s[34:35]
	s_cbranch_execz .LBB27_27
; %bb.26:                               ;   in Loop: Header=BB27_21 Depth=1
	v_add_f32_e64 v52, |v51|, |v51|
	v_mul_f32_e32 v53, 0x3fb8aa3b, v52
	v_rndne_f32_e32 v54, v53
	v_sub_f32_e32 v55, v53, v54
	v_fma_f32 v53, v52, s9, -v53
	v_fmac_f32_e32 v53, 0x32a5705f, v52
	v_add_f32_e32 v53, v55, v53
	v_cvt_i32_f32_e32 v54, v54
	v_exp_f32_e32 v53, v53
	v_cmp_ngt_f32_e32 vcc, s21, v52
	v_ldexp_f32 v53, v53, v54
	s_nop 0
	v_cndmask_b32_e32 v53, 0, v53, vcc
	v_cmp_nlt_f32_e32 vcc, s28, v52
	s_nop 1
	v_cndmask_b32_e32 v52, v31, v53, vcc
	v_add_f32_e32 v52, 1.0, v52
	v_rcp_f32_e32 v52, v52
	s_nop 0
	v_fma_f32 v52, v52, -2.0, 1.0
.LBB27_27:                              ;   in Loop: Header=BB27_21 Depth=1
	s_andn2_saveexec_b64 s[6:7], s[6:7]
; %bb.28:                               ;   in Loop: Header=BB27_21 Depth=1
	v_mul_f32_e32 v52, v51, v51
	v_fmamk_f32 v53, v52, 0xbbbac73d, v30
	v_fmaak_f32 v53, v52, v53, 0xbd5c1c4e
	v_fmaak_f32 v53, v52, v53, 0x3e088382
	;; [unrolled: 1-line block ×3, first 2 shown]
	v_mul_f32_e64 v53, |v51|, v53
	v_fma_f32 v52, v52, v53, |v51|
; %bb.29:                               ;   in Loop: Header=BB27_21 Depth=1
	s_or_b64 exec, exec, s[6:7]
	global_load_ushort v60, v[0:1], off offset:64
	v_bfi_b32 v0, s29, v3, v50
	s_waitcnt vmcnt(1)
	v_fma_mix_f32 v1, s10, v0, v2 op_sel_hi:[0,0,1]
	v_and_b32_e32 v0, 0x60, v15
	v_add_u32_e32 v50, 32, v0
	v_xor_b32_e32 v55, 16, v15
	v_cmp_lt_i32_e32 vcc, v55, v50
	v_add_f32_e32 v3, 0x40051340, v1
	v_cmp_nlt_f32_e64 s[6:7], |v18|, s8
	v_cndmask_b32_e32 v0, v15, v55, vcc
	v_lshlrev_b32_e32 v58, 2, v0
	v_bfi_b32 v0, s29, v52, v51
                                        ; implicit-def: $vgpr63
	s_waitcnt vmcnt(0)
	v_fma_mix_f32 v0, s10, v0, v60 op_sel_hi:[0,0,1]
	v_add_f32_e32 v51, 0x40051340, v0
	v_max3_f32 v3, v49, v3, v51
	ds_bpermute_b32 v52, v58, v3
	v_xor_b32_e32 v51, 8, v15
	v_cmp_lt_i32_e32 vcc, v51, v50
	s_waitcnt lgkmcnt(0)
	v_max_f32_e32 v52, v52, v52
	v_cndmask_b32_e32 v53, v15, v51, vcc
	v_lshlrev_b32_e32 v59, 2, v53
	v_max_f32_e32 v3, v3, v52
	ds_bpermute_b32 v53, v59, v3
	v_xor_b32_e32 v52, 4, v15
	v_cmp_lt_i32_e32 vcc, v52, v50
	s_waitcnt lgkmcnt(0)
	v_max_f32_e32 v53, v53, v53
	v_cndmask_b32_e32 v54, v15, v52, vcc
	v_lshlrev_b32_e32 v57, 2, v54
	v_max_f32_e32 v3, v3, v53
	;; [unrolled: 8-line block ×4, first 2 shown]
	ds_bpermute_b32 v62, v3, v61
	s_and_saveexec_b64 s[34:35], s[6:7]
	s_xor_b64 s[6:7], exec, s[34:35]
	s_cbranch_execz .LBB27_31
; %bb.30:                               ;   in Loop: Header=BB27_21 Depth=1
	v_add_f32_e64 v63, |v18|, |v18|
	v_mul_f32_e32 v64, 0x3fb8aa3b, v63
	v_rndne_f32_e32 v65, v64
	v_sub_f32_e32 v66, v64, v65
	v_fma_f32 v64, v63, s9, -v64
	v_fmac_f32_e32 v64, 0x32a5705f, v63
	v_add_f32_e32 v64, v66, v64
	v_cvt_i32_f32_e32 v65, v65
	v_exp_f32_e32 v64, v64
	v_cmp_ngt_f32_e32 vcc, s21, v63
	v_ldexp_f32 v64, v64, v65
	s_nop 0
	v_cndmask_b32_e32 v64, 0, v64, vcc
	v_cmp_nlt_f32_e32 vcc, s28, v63
	s_nop 1
	v_cndmask_b32_e32 v63, v31, v64, vcc
	v_add_f32_e32 v63, 1.0, v63
	v_rcp_f32_e32 v63, v63
	s_nop 0
	v_fma_f32 v63, v63, -2.0, 1.0
.LBB27_31:                              ;   in Loop: Header=BB27_21 Depth=1
	s_andn2_saveexec_b64 s[6:7], s[6:7]
; %bb.32:                               ;   in Loop: Header=BB27_21 Depth=1
	v_mul_f32_e32 v63, v18, v18
	v_fmamk_f32 v64, v63, 0xbbbac73d, v30
	v_fmaak_f32 v64, v63, v64, 0xbd5c1c4e
	v_fmaak_f32 v64, v63, v64, 0x3e088382
	;; [unrolled: 1-line block ×3, first 2 shown]
	v_mul_f32_e64 v64, |v18|, v64
	v_fma_f32 v63, v63, v64, |v18|
; %bb.33:                               ;   in Loop: Header=BB27_21 Depth=1
	s_or_b64 exec, exec, s[6:7]
	v_cmp_nlt_f32_e64 s[6:7], |v19|, s8
                                        ; implicit-def: $vgpr64
	s_and_saveexec_b64 s[34:35], s[6:7]
	s_xor_b64 s[6:7], exec, s[34:35]
	s_cbranch_execz .LBB27_35
; %bb.34:                               ;   in Loop: Header=BB27_21 Depth=1
	v_add_f32_e64 v64, |v19|, |v19|
	v_mul_f32_e32 v65, 0x3fb8aa3b, v64
	v_rndne_f32_e32 v66, v65
	v_sub_f32_e32 v67, v65, v66
	v_fma_f32 v65, v64, s9, -v65
	v_fmac_f32_e32 v65, 0x32a5705f, v64
	v_add_f32_e32 v65, v67, v65
	v_cvt_i32_f32_e32 v66, v66
	v_exp_f32_e32 v65, v65
	v_cmp_ngt_f32_e32 vcc, s21, v64
	v_ldexp_f32 v65, v65, v66
	s_nop 0
	v_cndmask_b32_e32 v65, 0, v65, vcc
	v_cmp_nlt_f32_e32 vcc, s28, v64
	s_nop 1
	v_cndmask_b32_e32 v64, v31, v65, vcc
	v_add_f32_e32 v64, 1.0, v64
	v_rcp_f32_e32 v64, v64
	s_nop 0
	v_fma_f32 v64, v64, -2.0, 1.0
.LBB27_35:                              ;   in Loop: Header=BB27_21 Depth=1
	s_andn2_saveexec_b64 s[6:7], s[6:7]
; %bb.36:                               ;   in Loop: Header=BB27_21 Depth=1
	v_mul_f32_e32 v64, v19, v19
	v_fmamk_f32 v65, v64, 0xbbbac73d, v30
	v_fmaak_f32 v65, v64, v65, 0xbd5c1c4e
	v_fmaak_f32 v65, v64, v65, 0x3e088382
	;; [unrolled: 1-line block ×3, first 2 shown]
	v_mul_f32_e64 v65, |v19|, v65
	v_fma_f32 v64, v64, v65, |v19|
; %bb.37:                               ;   in Loop: Header=BB27_21 Depth=1
	s_or_b64 exec, exec, s[6:7]
	v_cvt_f32_f16_e32 v65, v2
	v_cvt_f32_f16_e32 v66, v60
	v_bfi_b32 v2, s29, v63, v18
	v_bfi_b32 v18, s29, v64, v19
	v_fmac_f32_e32 v65, s10, v2
	v_fmac_f32_e32 v66, s10, v18
	v_add_f32_e32 v2, 0x40051340, v65
	v_add_f32_e32 v18, 0x40051340, v66
	v_max3_f32 v2, v48, v2, v18
	ds_bpermute_b32 v18, v58, v2
	s_waitcnt lgkmcnt(1)
	v_max_f32_e32 v19, v62, v62
	s_mul_hi_i32 s7, s2, s11
	s_mul_i32 s6, s2, s11
	s_waitcnt lgkmcnt(0)
	v_max_f32_e32 v18, v18, v18
	v_max_f32_e32 v2, v2, v18
	ds_bpermute_b32 v58, v59, v2
	v_max_f32_e32 v18, v61, v61
	v_max_f32_e32 v18, v18, v19
	v_sub_f32_e32 v62, v1, v18
	v_mul_f32_e32 v19, 0x3fb8aa3b, v62
	s_waitcnt lgkmcnt(0)
	v_max_f32_e32 v1, v58, v58
	v_max_f32_e32 v1, v2, v1
	ds_bpermute_b32 v2, v57, v1
	v_fma_f32 v57, v62, s9, -v19
	v_rndne_f32_e32 v58, v19
	v_fmac_f32_e32 v57, 0x32a5705f, v62
	v_sub_f32_e32 v19, v19, v58
	s_waitcnt lgkmcnt(0)
	v_max_f32_e32 v2, v2, v2
	v_max_f32_e32 v1, v1, v2
	ds_bpermute_b32 v2, v56, v1
	v_add_f32_e32 v19, v19, v57
	v_cvt_i32_f32_e32 v56, v58
	v_exp_f32_e32 v19, v19
	v_sub_f32_e32 v64, v0, v18
	s_waitcnt lgkmcnt(0)
	v_max_f32_e32 v2, v2, v2
	v_max_f32_e32 v1, v1, v2
	ds_bpermute_b32 v2, v3, v1
	v_mul_f32_e32 v0, 0x3fb8aa3b, v64
	v_ldexp_f32 v3, v19, v56
	v_sub_f32_e32 v49, v49, v18
	v_cmp_ngt_f32_e32 vcc, s21, v62
	s_waitcnt lgkmcnt(0)
	v_max_f32_e32 v2, v2, v2
	v_max_f32_e32 v19, v1, v2
	v_fma_f32 v1, v64, s9, -v0
	v_rndne_f32_e32 v2, v0
	v_fmac_f32_e32 v1, 0x32a5705f, v64
	v_sub_f32_e32 v0, v0, v2
	v_add_f32_e32 v0, v0, v1
	v_exp_f32_e32 v67, v0
	v_mul_f32_e32 v0, 0x3fb8aa3b, v49
	v_fma_f32 v1, v49, s9, -v0
	v_rndne_f32_e32 v69, v0
	v_fmac_f32_e32 v1, 0x32a5705f, v49
	v_sub_f32_e32 v0, v0, v69
	v_add_f32_e32 v0, v0, v1
	v_lshl_add_u64 v[60:61], s[6:7], 2, v[16:17]
	s_barrier
	v_cndmask_b32_e32 v63, 0, v3, vcc
	v_cvt_i32_f32_e32 v68, v2
	v_exp_f32_e32 v70, v0
	global_load_dwordx4 v[0:3], v[60:61], off
	global_load_dwordx4 v[56:59], v[60:61], off offset:512
	v_cvt_i32_f32_e32 v61, v69
	v_cmp_nlt_f32_e32 vcc, s28, v62
	s_or_b32 s6, s2, 8
	s_mul_hi_i32 s7, s6, s11
	v_cndmask_b32_e32 v60, v31, v63, vcc
	v_ldexp_f32 v61, v70, v61
	v_cmp_ngt_f32_e32 vcc, s21, v49
	v_ldexp_f32 v63, v67, v68
	s_mul_i32 s6, s6, s11
	v_cndmask_b32_e32 v61, 0, v61, vcc
	v_cmp_nlt_f32_e32 vcc, s28, v49
	s_nop 1
	v_cndmask_b32_e32 v62, v31, v61, vcc
	v_cvt_f16_f32_e32 v49, v62
	v_cmp_ngt_f32_e32 vcc, s21, v64
	v_mul_u32_u24_e32 v67, 0x10001, v49
	v_pk_mul_f16 v72, v43, v67
	v_sub_f32_e32 v43, v65, v19
	v_pk_mul_f16 v71, v44, v67
	v_mul_f32_e32 v44, 0x3fb8aa3b, v43
	v_pk_mul_f16 v69, v46, v67
	v_pk_mul_f16 v70, v45, v67
	v_fma_f32 v45, v43, s9, -v44
	v_rndne_f32_e32 v46, v44
	v_fmac_f32_e32 v45, 0x32a5705f, v43
	v_sub_f32_e32 v44, v44, v46
	v_add_f32_e32 v44, v44, v45
	v_exp_f32_e32 v44, v44
	v_cvt_i32_f32_e32 v45, v46
	v_cndmask_b32_e32 v61, 0, v63, vcc
	v_cmp_nlt_f32_e32 vcc, s28, v64
	v_pk_mul_f16 v73, v42, v67
	v_ldexp_f32 v44, v44, v45
	v_cndmask_b32_e32 v64, v31, v61, vcc
	v_cmp_ngt_f32_e32 vcc, s21, v43
	v_sub_f32_e32 v42, v48, v19
	v_pk_mul_f16 v68, v47, v67
	v_cndmask_b32_e32 v44, 0, v44, vcc
	v_cmp_nlt_f32_e32 vcc, s28, v43
	v_sub_f32_e32 v43, v66, v19
	v_pk_mul_f16 v41, v41, v67
	v_cndmask_b32_e32 v61, v31, v44, vcc
	v_mul_f32_e32 v44, 0x3fb8aa3b, v43
	v_fma_f32 v45, v43, s9, -v44
	v_rndne_f32_e32 v46, v44
	v_fmac_f32_e32 v45, 0x32a5705f, v43
	v_sub_f32_e32 v44, v44, v46
	v_add_f32_e32 v44, v44, v45
	v_cvt_i32_f32_e32 v45, v46
	v_mul_f32_e32 v46, 0x3fb8aa3b, v42
	v_fma_f32 v47, v42, s9, -v46
	v_rndne_f32_e32 v48, v46
	v_fmac_f32_e32 v47, 0x32a5705f, v42
	v_sub_f32_e32 v46, v46, v48
	v_exp_f32_e32 v44, v44
	v_add_f32_e32 v46, v46, v47
	v_exp_f32_e32 v46, v46
	v_cvt_i32_f32_e32 v47, v48
	v_ldexp_f32 v44, v44, v45
	v_cmp_ngt_f32_e32 vcc, s21, v43
	v_ldexp_f32 v45, v46, v47
	s_nop 0
	v_cndmask_b32_e32 v44, 0, v44, vcc
	v_cmp_ngt_f32_e32 vcc, s21, v42
	s_nop 1
	v_cndmask_b32_e32 v45, 0, v45, vcc
	v_cmp_nlt_f32_e32 vcc, s28, v42
	s_nop 1
	v_cndmask_b32_e32 v63, v31, v45, vcc
	v_cvt_f16_f32_e32 v45, v63
	v_cmp_nlt_f32_e32 vcc, s28, v43
	s_nop 1
	v_cndmask_b32_e32 v65, v31, v44, vcc
	v_pk_add_f32 v[42:43], v[60:61], v[64:65]
	s_nop 0
	v_pk_fma_f32 v[6:7], v[6:7], v[62:63], v[42:43]
	v_mul_u32_u24_e32 v62, 0x10001, v45
	v_pk_mul_f16 v63, v34, v62
	v_pk_mul_f16 v66, v35, v62
	;; [unrolled: 1-line block ×3, first 2 shown]
	v_add_u32_e32 v33, v26, v21
	v_cvt_pk_f16_f32 v34, v60, v61
	v_cvt_pk_f16_f32 v35, v64, v65
	ds_write2_b32 v33, v34, v35 offset1:32
	s_waitcnt vmcnt(1)
	ds_write_b128 v27, v[0:3]
	s_waitcnt vmcnt(0)
	ds_write_b128 v28, v[56:59]
	s_waitcnt lgkmcnt(0)
	s_barrier
	ds_read_b128 v[42:45], v26
	v_pk_mul_f16 v56, v32, v62
	ds_read2_b64 v[32:35], v29 offset1:32
	ds_read2_b64 v[46:49], v29 offset0:64 offset1:96
	ds_read_b128 v[0:3], v26 offset:16
	v_pk_mul_f16 v39, v39, v62
	v_pk_mul_f16 v38, v38, v62
	s_waitcnt lgkmcnt(3)
	v_mul_u32_u24_sdwa v57, v42, s31 dst_sel:DWORD dst_unused:UNUSED_PAD src0_sel:WORD_0 src1_sel:DWORD
	v_mul_u32_u24_sdwa v42, v42, s31 dst_sel:DWORD dst_unused:UNUSED_PAD src0_sel:WORD_1 src1_sel:DWORD
	v_pk_mul_f16 v37, v37, v62
	s_waitcnt lgkmcnt(2)
	v_pk_mul_f16 v58, v32, v57
	v_pk_mul_f16 v32, v32, v42
	v_pk_fma_f16 v40, v40, v67, v58
	v_pk_fma_f16 v58, v36, v62, v32
	;; [unrolled: 1-line block ×8, first 2 shown]
	ds_read2_b64 v[32:35], v29 offset0:128 offset1:160
	ds_read2_b64 v[36:39], v29 offset0:192 offset1:224
	s_waitcnt lgkmcnt(3)
	v_pk_fma_f16 v67, v46, v57, v71
	v_pk_fma_f16 v46, v46, v42, v63
	;; [unrolled: 1-line block ×8, first 2 shown]
	v_mul_u32_u24_sdwa v49, v43, s31 dst_sel:DWORD dst_unused:UNUSED_PAD src0_sel:WORD_0 src1_sel:DWORD
	v_mul_u32_u24_sdwa v43, v43, s31 dst_sel:DWORD dst_unused:UNUSED_PAD src0_sel:WORD_1 src1_sel:DWORD
	s_waitcnt lgkmcnt(1)
	v_pk_fma_f16 v56, v32, v49, v40
	v_pk_fma_f16 v57, v32, v43, v58
	v_add_u32_e32 v32, 0x800, v29
	v_pk_fma_f16 v58, v33, v49, v59
	v_pk_fma_f16 v33, v33, v43, v60
	;; [unrolled: 1-line block ×6, first 2 shown]
	s_waitcnt lgkmcnt(0)
	v_pk_fma_f16 v64, v36, v49, v67
	v_pk_fma_f16 v46, v36, v43, v46
	;; [unrolled: 1-line block ×4, first 2 shown]
	ds_read2_b64 v[34:37], v32 offset1:32
	v_pk_fma_f16 v65, v38, v49, v66
	v_pk_fma_f16 v48, v38, v43, v48
	;; [unrolled: 1-line block ×4, first 2 shown]
	ds_read2_b64 v[38:41], v32 offset0:64 offset1:96
	v_mul_u32_u24_sdwa v43, v44, s31 dst_sel:DWORD dst_unused:UNUSED_PAD src0_sel:WORD_0 src1_sel:DWORD
	v_mul_u32_u24_sdwa v44, v44, s31 dst_sel:DWORD dst_unused:UNUSED_PAD src0_sel:WORD_1 src1_sel:DWORD
	s_waitcnt lgkmcnt(1)
	v_pk_fma_f16 v56, v34, v43, v56
	v_pk_fma_f16 v57, v34, v44, v57
	;; [unrolled: 1-line block ×8, first 2 shown]
	ds_read2_b64 v[34:37], v32 offset0:128 offset1:160
	s_waitcnt lgkmcnt(1)
	v_pk_fma_f16 v64, v38, v43, v64
	v_pk_fma_f16 v88, v38, v44, v46
	;; [unrolled: 1-line block ×8, first 2 shown]
	ds_read2_b64 v[38:41], v32 offset0:192 offset1:224
	v_mul_u32_u24_sdwa v95, v45, s31 dst_sel:DWORD dst_unused:UNUSED_PAD src0_sel:WORD_0 src1_sel:DWORD
	v_mul_u32_u24_sdwa v96, v45, s31 dst_sel:DWORD dst_unused:UNUSED_PAD src0_sel:WORD_1 src1_sel:DWORD
	s_waitcnt lgkmcnt(1)
	v_pk_fma_f16 v97, v34, v95, v56
	v_pk_fma_f16 v98, v34, v96, v57
	;; [unrolled: 1-line block ×8, first 2 shown]
	v_add_u32_e32 v34, 0x1000, v29
	v_add_u32_e32 v33, 0x1800, v29
	v_lshl_add_u64 v[36:37], s[6:7], 2, v[16:17]
	s_waitcnt lgkmcnt(0)
	v_pk_fma_f16 v104, v38, v95, v64
	ds_read2_b64 v[42:45], v34 offset1:32
	ds_read2_b64 v[46:49], v34 offset0:64 offset1:96
	ds_read2_b64 v[56:59], v34 offset0:128 offset1:160
	;; [unrolled: 1-line block ×3, first 2 shown]
	ds_read2_b64 v[64:67], v33 offset1:32
	ds_read2_b64 v[68:71], v33 offset0:64 offset1:96
	ds_read2_b64 v[72:75], v33 offset0:128 offset1:160
	;; [unrolled: 1-line block ×3, first 2 shown]
	s_waitcnt lgkmcnt(0)
	s_barrier
	global_load_dwordx4 v[80:83], v[36:37], off
	global_load_dwordx4 v[84:87], v[36:37], off offset:512
	v_pk_fma_f16 v36, v38, v96, v88
	v_pk_fma_f16 v37, v39, v95, v89
	v_pk_fma_f16 v38, v39, v96, v90
	v_pk_fma_f16 v39, v40, v95, v91
	v_pk_fma_f16 v40, v40, v96, v92
	v_pk_fma_f16 v88, v41, v95, v93
	v_pk_fma_f16 v41, v41, v96, v94
	v_mul_u32_u24_sdwa v89, v0, s31 dst_sel:DWORD dst_unused:UNUSED_PAD src0_sel:WORD_0 src1_sel:DWORD
	v_mul_u32_u24_sdwa v0, v0, s31 dst_sel:DWORD dst_unused:UNUSED_PAD src0_sel:WORD_1 src1_sel:DWORD
	v_pk_fma_f16 v90, v42, v89, v97
	v_pk_fma_f16 v42, v42, v0, v98
	;; [unrolled: 1-line block ×14, first 2 shown]
	v_mul_u32_u24_sdwa v41, v1, s31 dst_sel:DWORD dst_unused:UNUSED_PAD src0_sel:WORD_0 src1_sel:DWORD
	v_mul_u32_u24_sdwa v1, v1, s31 dst_sel:DWORD dst_unused:UNUSED_PAD src0_sel:WORD_1 src1_sel:DWORD
	v_pk_fma_f16 v42, v56, v1, v42
	v_pk_fma_f16 v35, v57, v1, v35
	;; [unrolled: 1-line block ×10, first 2 shown]
	v_mul_u32_u24_sdwa v1, v2, s31 dst_sel:DWORD dst_unused:UNUSED_PAD src0_sel:WORD_0 src1_sel:DWORD
	v_mul_u32_u24_sdwa v2, v2, s31 dst_sel:DWORD dst_unused:UNUSED_PAD src0_sel:WORD_1 src1_sel:DWORD
	v_pk_fma_f16 v93, v46, v89, v104
	v_pk_fma_f16 v46, v49, v89, v88
	;; [unrolled: 1-line block ×14, first 2 shown]
	v_mul_u32_u24_sdwa v2, v3, s31 dst_sel:DWORD dst_unused:UNUSED_PAD src0_sel:WORD_0 src1_sel:DWORD
	v_mul_u32_u24_sdwa v3, v3, s31 dst_sel:DWORD dst_unused:UNUSED_PAD src0_sel:WORD_1 src1_sel:DWORD
	v_pk_fma_f16 v43, v58, v41, v43
	v_pk_fma_f16 v49, v59, v41, v92
	;; [unrolled: 1-line block ×10, first 2 shown]
	s_waitcnt vmcnt(1)
	ds_write_b128 v27, v[80:83]
	s_waitcnt vmcnt(0)
	ds_write_b128 v28, v[84:87]
	s_waitcnt lgkmcnt(0)
	s_barrier
	ds_read_b128 v[36:39], v26 offset:32
	v_pk_fma_f16 v43, v66, v1, v43
	v_pk_fma_f16 v48, v67, v1, v49
	;; [unrolled: 1-line block ×16, first 2 shown]
	ds_read2_b64 v[40:43], v29 offset1:32
	ds_read2_b64 v[44:47], v29 offset0:64 offset1:96
	ds_read_b128 v[0:3], v26 offset:48
	s_waitcnt lgkmcnt(3)
	v_mul_u32_u24_sdwa v69, v36, s31 dst_sel:DWORD dst_unused:UNUSED_PAD src0_sel:WORD_0 src1_sel:DWORD
	v_mul_u32_u24_sdwa v36, v36, s31 dst_sel:DWORD dst_unused:UNUSED_PAD src0_sel:WORD_1 src1_sel:DWORD
	s_waitcnt lgkmcnt(2)
	v_pk_fma_f16 v56, v40, v69, v56
	v_pk_fma_f16 v57, v40, v36, v57
	;; [unrolled: 1-line block ×8, first 2 shown]
	s_waitcnt lgkmcnt(1)
	v_pk_fma_f16 v49, v44, v69, v49
	v_pk_fma_f16 v62, v44, v36, v62
	;; [unrolled: 1-line block ×7, first 2 shown]
	ds_read2_b64 v[40:43], v29 offset0:128 offset1:160
	v_pk_fma_f16 v36, v47, v36, v68
	ds_read2_b64 v[44:47], v29 offset0:192 offset1:224
	v_mul_u32_u24_sdwa v68, v37, s31 dst_sel:DWORD dst_unused:UNUSED_PAD src0_sel:WORD_0 src1_sel:DWORD
	v_mul_u32_u24_sdwa v37, v37, s31 dst_sel:DWORD dst_unused:UNUSED_PAD src0_sel:WORD_1 src1_sel:DWORD
	s_waitcnt lgkmcnt(1)
	v_pk_fma_f16 v56, v40, v68, v56
	v_pk_fma_f16 v57, v40, v37, v57
	v_pk_fma_f16 v58, v41, v68, v58
	v_pk_fma_f16 v35, v41, v37, v35
	v_pk_fma_f16 v59, v42, v68, v59
	v_pk_fma_f16 v60, v42, v37, v60
	v_pk_fma_f16 v48, v43, v68, v48
	v_pk_fma_f16 v61, v43, v37, v61
	s_waitcnt lgkmcnt(0)
	v_pk_fma_f16 v49, v44, v68, v49
	v_pk_fma_f16 v62, v44, v37, v62
	;; [unrolled: 1-line block ×7, first 2 shown]
	ds_read2_b64 v[40:43], v32 offset1:32
	v_pk_fma_f16 v36, v47, v37, v36
	ds_read2_b64 v[44:47], v32 offset0:64 offset1:96
	v_mul_u32_u24_sdwa v37, v38, s31 dst_sel:DWORD dst_unused:UNUSED_PAD src0_sel:WORD_0 src1_sel:DWORD
	v_mul_u32_u24_sdwa v38, v38, s31 dst_sel:DWORD dst_unused:UNUSED_PAD src0_sel:WORD_1 src1_sel:DWORD
	s_waitcnt lgkmcnt(1)
	v_pk_fma_f16 v56, v40, v37, v56
	v_pk_fma_f16 v57, v40, v38, v57
	;; [unrolled: 1-line block ×8, first 2 shown]
	s_waitcnt lgkmcnt(0)
	v_pk_fma_f16 v49, v44, v37, v49
	v_pk_fma_f16 v88, v44, v38, v62
	;; [unrolled: 1-line block ×7, first 2 shown]
	ds_read2_b64 v[40:43], v32 offset0:128 offset1:160
	v_pk_fma_f16 v94, v47, v38, v36
	ds_read2_b64 v[44:47], v32 offset0:192 offset1:224
	s_or_b32 s6, s2, 16
	v_mul_u32_u24_sdwa v95, v39, s31 dst_sel:DWORD dst_unused:UNUSED_PAD src0_sel:WORD_0 src1_sel:DWORD
	s_mul_hi_i32 s7, s6, s11
	s_mul_i32 s6, s6, s11
	v_mul_u32_u24_sdwa v96, v39, s31 dst_sel:DWORD dst_unused:UNUSED_PAD src0_sel:WORD_1 src1_sel:DWORD
	s_waitcnt lgkmcnt(1)
	v_pk_fma_f16 v102, v43, v95, v48
	s_waitcnt lgkmcnt(0)
	v_pk_fma_f16 v104, v44, v95, v49
	v_lshl_add_u64 v[48:49], s[6:7], 2, v[16:17]
	v_pk_fma_f16 v97, v40, v95, v56
	v_pk_fma_f16 v98, v40, v96, v57
	;; [unrolled: 1-line block ×7, first 2 shown]
	ds_read2_b64 v[36:39], v34 offset1:32
	ds_read2_b64 v[40:43], v34 offset0:64 offset1:96
	ds_read2_b64 v[56:59], v34 offset0:128 offset1:160
	;; [unrolled: 1-line block ×3, first 2 shown]
	ds_read2_b64 v[64:67], v33 offset1:32
	ds_read2_b64 v[68:71], v33 offset0:64 offset1:96
	ds_read2_b64 v[72:75], v33 offset0:128 offset1:160
	;; [unrolled: 1-line block ×3, first 2 shown]
	s_waitcnt lgkmcnt(0)
	s_barrier
	global_load_dwordx4 v[80:83], v[48:49], off
	global_load_dwordx4 v[84:87], v[48:49], off offset:512
	v_pk_fma_f16 v44, v44, v96, v88
	v_pk_fma_f16 v48, v45, v95, v89
	;; [unrolled: 1-line block ×7, first 2 shown]
	v_mul_u32_u24_sdwa v89, v0, s31 dst_sel:DWORD dst_unused:UNUSED_PAD src0_sel:WORD_0 src1_sel:DWORD
	v_mul_u32_u24_sdwa v0, v0, s31 dst_sel:DWORD dst_unused:UNUSED_PAD src0_sel:WORD_1 src1_sel:DWORD
	v_pk_fma_f16 v90, v36, v89, v97
	v_pk_fma_f16 v36, v36, v0, v98
	;; [unrolled: 1-line block ×16, first 2 shown]
	v_mul_u32_u24_sdwa v43, v1, s31 dst_sel:DWORD dst_unused:UNUSED_PAD src0_sel:WORD_0 src1_sel:DWORD
	v_mul_u32_u24_sdwa v1, v1, s31 dst_sel:DWORD dst_unused:UNUSED_PAD src0_sel:WORD_1 src1_sel:DWORD
	v_pk_fma_f16 v36, v56, v1, v36
	v_pk_fma_f16 v35, v57, v1, v35
	v_pk_fma_f16 v37, v58, v43, v37
	v_pk_fma_f16 v38, v58, v1, v38
	v_pk_fma_f16 v39, v59, v1, v39
	v_pk_fma_f16 v40, v60, v1, v40
	v_pk_fma_f16 v41, v61, v1, v41
	v_pk_fma_f16 v42, v62, v1, v42
	v_pk_fma_f16 v0, v63, v1, v0
	v_mul_u32_u24_sdwa v1, v2, s31 dst_sel:DWORD dst_unused:UNUSED_PAD src0_sel:WORD_0 src1_sel:DWORD
	v_mul_u32_u24_sdwa v2, v2, s31 dst_sel:DWORD dst_unused:UNUSED_PAD src0_sel:WORD_1 src1_sel:DWORD
	v_pk_fma_f16 v36, v64, v2, v36
	v_pk_fma_f16 v35, v65, v2, v35
	v_pk_fma_f16 v37, v66, v1, v37
	v_pk_fma_f16 v38, v66, v2, v38
	v_pk_fma_f16 v39, v67, v2, v39
	v_pk_fma_f16 v40, v68, v2, v40
	v_pk_fma_f16 v41, v69, v2, v41
	v_pk_fma_f16 v42, v70, v2, v42
	v_pk_fma_f16 v0, v71, v2, v0
	v_mul_u32_u24_sdwa v2, v3, s31 dst_sel:DWORD dst_unused:UNUSED_PAD src0_sel:WORD_0 src1_sel:DWORD
	v_mul_u32_u24_sdwa v3, v3, s31 dst_sel:DWORD dst_unused:UNUSED_PAD src0_sel:WORD_1 src1_sel:DWORD
	v_pk_fma_f16 v47, v56, v43, v90
	v_pk_fma_f16 v48, v57, v43, v91
	v_pk_fma_f16 v49, v59, v43, v92
	v_pk_fma_f16 v56, v60, v43, v93
	v_pk_fma_f16 v44, v61, v43, v44
	v_pk_fma_f16 v45, v62, v43, v45
	v_pk_fma_f16 v43, v63, v43, v46
	v_pk_fma_f16 v57, v72, v3, v36
	v_pk_fma_f16 v59, v74, v2, v37
	v_pk_fma_f16 v60, v74, v3, v38
	v_pk_fma_f16 v61, v75, v3, v39
	s_waitcnt vmcnt(1)
	ds_write_b128 v27, v[80:83]
	s_waitcnt vmcnt(0)
	ds_write_b128 v28, v[84:87]
	s_waitcnt lgkmcnt(0)
	s_barrier
	ds_read_b128 v[36:39], v26 offset:64
	v_pk_fma_f16 v46, v64, v1, v47
	v_pk_fma_f16 v47, v65, v1, v48
	;; [unrolled: 1-line block ×19, first 2 shown]
	ds_read2_b64 v[40:43], v29 offset1:32
	ds_read2_b64 v[44:47], v29 offset0:64 offset1:96
	ds_read_b128 v[0:3], v26 offset:80
	s_waitcnt lgkmcnt(3)
	v_mul_u32_u24_sdwa v69, v36, s31 dst_sel:DWORD dst_unused:UNUSED_PAD src0_sel:WORD_0 src1_sel:DWORD
	v_mul_u32_u24_sdwa v36, v36, s31 dst_sel:DWORD dst_unused:UNUSED_PAD src0_sel:WORD_1 src1_sel:DWORD
	s_waitcnt lgkmcnt(2)
	v_pk_fma_f16 v56, v40, v69, v56
	v_pk_fma_f16 v57, v40, v36, v57
	v_pk_fma_f16 v58, v41, v69, v58
	v_pk_fma_f16 v35, v41, v36, v35
	v_pk_fma_f16 v59, v42, v69, v59
	v_pk_fma_f16 v60, v42, v36, v60
	v_pk_fma_f16 v48, v43, v69, v48
	v_pk_fma_f16 v61, v43, v36, v61
	s_waitcnt lgkmcnt(1)
	v_pk_fma_f16 v49, v44, v69, v49
	v_pk_fma_f16 v62, v44, v36, v62
	;; [unrolled: 1-line block ×7, first 2 shown]
	ds_read2_b64 v[40:43], v29 offset0:128 offset1:160
	v_pk_fma_f16 v36, v47, v36, v68
	ds_read2_b64 v[44:47], v29 offset0:192 offset1:224
	v_mul_u32_u24_sdwa v68, v37, s31 dst_sel:DWORD dst_unused:UNUSED_PAD src0_sel:WORD_0 src1_sel:DWORD
	v_mul_u32_u24_sdwa v37, v37, s31 dst_sel:DWORD dst_unused:UNUSED_PAD src0_sel:WORD_1 src1_sel:DWORD
	s_waitcnt lgkmcnt(1)
	v_pk_fma_f16 v56, v40, v68, v56
	v_pk_fma_f16 v57, v40, v37, v57
	;; [unrolled: 1-line block ×8, first 2 shown]
	s_waitcnt lgkmcnt(0)
	v_pk_fma_f16 v49, v44, v68, v49
	v_pk_fma_f16 v62, v44, v37, v62
	;; [unrolled: 1-line block ×7, first 2 shown]
	ds_read2_b64 v[40:43], v32 offset1:32
	v_pk_fma_f16 v36, v47, v37, v36
	ds_read2_b64 v[44:47], v32 offset0:64 offset1:96
	v_mul_u32_u24_sdwa v37, v38, s31 dst_sel:DWORD dst_unused:UNUSED_PAD src0_sel:WORD_0 src1_sel:DWORD
	v_mul_u32_u24_sdwa v38, v38, s31 dst_sel:DWORD dst_unused:UNUSED_PAD src0_sel:WORD_1 src1_sel:DWORD
	s_waitcnt lgkmcnt(1)
	v_pk_fma_f16 v56, v40, v37, v56
	v_pk_fma_f16 v57, v40, v38, v57
	v_pk_fma_f16 v58, v41, v37, v58
	v_pk_fma_f16 v35, v41, v38, v35
	v_pk_fma_f16 v59, v42, v37, v59
	v_pk_fma_f16 v60, v42, v38, v60
	v_pk_fma_f16 v48, v43, v37, v48
	v_pk_fma_f16 v61, v43, v38, v61
	s_waitcnt lgkmcnt(0)
	v_pk_fma_f16 v49, v44, v37, v49
	v_pk_fma_f16 v88, v44, v38, v62
	;; [unrolled: 1-line block ×7, first 2 shown]
	ds_read2_b64 v[40:43], v32 offset0:128 offset1:160
	v_pk_fma_f16 v94, v47, v38, v36
	ds_read2_b64 v[44:47], v32 offset0:192 offset1:224
	s_or_b32 s6, s2, 24
	v_mul_u32_u24_sdwa v95, v39, s31 dst_sel:DWORD dst_unused:UNUSED_PAD src0_sel:WORD_0 src1_sel:DWORD
	s_mul_hi_i32 s7, s6, s11
	s_mul_i32 s6, s6, s11
	v_mul_u32_u24_sdwa v96, v39, s31 dst_sel:DWORD dst_unused:UNUSED_PAD src0_sel:WORD_1 src1_sel:DWORD
	s_waitcnt lgkmcnt(1)
	v_pk_fma_f16 v102, v43, v95, v48
	s_waitcnt lgkmcnt(0)
	v_pk_fma_f16 v104, v44, v95, v49
	v_lshl_add_u64 v[48:49], s[6:7], 2, v[16:17]
	v_pk_fma_f16 v97, v40, v95, v56
	v_pk_fma_f16 v98, v40, v96, v57
	;; [unrolled: 1-line block ×7, first 2 shown]
	ds_read2_b64 v[36:39], v34 offset1:32
	ds_read2_b64 v[40:43], v34 offset0:64 offset1:96
	ds_read2_b64 v[56:59], v34 offset0:128 offset1:160
	;; [unrolled: 1-line block ×3, first 2 shown]
	ds_read2_b64 v[64:67], v33 offset1:32
	ds_read2_b64 v[68:71], v33 offset0:64 offset1:96
	ds_read2_b64 v[72:75], v33 offset0:128 offset1:160
	;; [unrolled: 1-line block ×3, first 2 shown]
	s_waitcnt lgkmcnt(0)
	s_barrier
	global_load_dwordx4 v[80:83], v[48:49], off
	global_load_dwordx4 v[84:87], v[48:49], off offset:512
	v_pk_fma_f16 v44, v44, v96, v88
	v_pk_fma_f16 v48, v45, v95, v89
	;; [unrolled: 1-line block ×7, first 2 shown]
	v_mul_u32_u24_sdwa v89, v0, s31 dst_sel:DWORD dst_unused:UNUSED_PAD src0_sel:WORD_0 src1_sel:DWORD
	v_mul_u32_u24_sdwa v0, v0, s31 dst_sel:DWORD dst_unused:UNUSED_PAD src0_sel:WORD_1 src1_sel:DWORD
	v_pk_fma_f16 v90, v36, v89, v97
	v_pk_fma_f16 v36, v36, v0, v98
	;; [unrolled: 1-line block ×16, first 2 shown]
	v_mul_u32_u24_sdwa v43, v1, s31 dst_sel:DWORD dst_unused:UNUSED_PAD src0_sel:WORD_0 src1_sel:DWORD
	v_mul_u32_u24_sdwa v1, v1, s31 dst_sel:DWORD dst_unused:UNUSED_PAD src0_sel:WORD_1 src1_sel:DWORD
	v_pk_fma_f16 v36, v56, v1, v36
	v_pk_fma_f16 v35, v57, v1, v35
	v_pk_fma_f16 v37, v58, v43, v37
	v_pk_fma_f16 v38, v58, v1, v38
	v_pk_fma_f16 v39, v59, v1, v39
	v_pk_fma_f16 v40, v60, v1, v40
	v_pk_fma_f16 v41, v61, v1, v41
	v_pk_fma_f16 v42, v62, v1, v42
	v_pk_fma_f16 v0, v63, v1, v0
	v_mul_u32_u24_sdwa v1, v2, s31 dst_sel:DWORD dst_unused:UNUSED_PAD src0_sel:WORD_0 src1_sel:DWORD
	v_mul_u32_u24_sdwa v2, v2, s31 dst_sel:DWORD dst_unused:UNUSED_PAD src0_sel:WORD_1 src1_sel:DWORD
	v_pk_fma_f16 v36, v64, v2, v36
	v_pk_fma_f16 v35, v65, v2, v35
	v_pk_fma_f16 v37, v66, v1, v37
	v_pk_fma_f16 v38, v66, v2, v38
	v_pk_fma_f16 v39, v67, v2, v39
	v_pk_fma_f16 v40, v68, v2, v40
	v_pk_fma_f16 v41, v69, v2, v41
	v_pk_fma_f16 v42, v70, v2, v42
	v_pk_fma_f16 v0, v71, v2, v0
	;; [unrolled: 11-line block ×3, first 2 shown]
	v_pk_fma_f16 v60, v74, v3, v38
	v_pk_fma_f16 v61, v75, v3, v39
	s_waitcnt vmcnt(1)
	ds_write_b128 v27, v[80:83]
	s_waitcnt vmcnt(0)
	ds_write_b128 v28, v[84:87]
	s_waitcnt lgkmcnt(0)
	s_barrier
	ds_read_b128 v[36:39], v26 offset:96
	v_pk_fma_f16 v46, v64, v1, v47
	v_pk_fma_f16 v47, v65, v1, v48
	;; [unrolled: 1-line block ×19, first 2 shown]
	ds_read2_b64 v[40:43], v29 offset1:32
	ds_read2_b64 v[44:47], v29 offset0:64 offset1:96
	ds_read_b128 v[0:3], v26 offset:112
	s_waitcnt lgkmcnt(3)
	v_mul_u32_u24_sdwa v69, v36, s31 dst_sel:DWORD dst_unused:UNUSED_PAD src0_sel:WORD_0 src1_sel:DWORD
	v_mul_u32_u24_sdwa v36, v36, s31 dst_sel:DWORD dst_unused:UNUSED_PAD src0_sel:WORD_1 src1_sel:DWORD
	s_waitcnt lgkmcnt(2)
	v_pk_fma_f16 v56, v40, v69, v56
	v_pk_fma_f16 v57, v40, v36, v57
	;; [unrolled: 1-line block ×8, first 2 shown]
	s_waitcnt lgkmcnt(1)
	v_pk_fma_f16 v49, v44, v69, v49
	v_pk_fma_f16 v62, v44, v36, v62
	;; [unrolled: 1-line block ×7, first 2 shown]
	ds_read2_b64 v[40:43], v29 offset0:128 offset1:160
	v_pk_fma_f16 v36, v47, v36, v68
	ds_read2_b64 v[44:47], v29 offset0:192 offset1:224
	v_mul_u32_u24_sdwa v68, v37, s31 dst_sel:DWORD dst_unused:UNUSED_PAD src0_sel:WORD_0 src1_sel:DWORD
	v_mul_u32_u24_sdwa v37, v37, s31 dst_sel:DWORD dst_unused:UNUSED_PAD src0_sel:WORD_1 src1_sel:DWORD
	s_waitcnt lgkmcnt(1)
	v_pk_fma_f16 v56, v40, v68, v56
	v_pk_fma_f16 v57, v40, v37, v57
	;; [unrolled: 1-line block ×8, first 2 shown]
	s_waitcnt lgkmcnt(0)
	v_pk_fma_f16 v49, v44, v68, v49
	v_pk_fma_f16 v62, v44, v37, v62
	;; [unrolled: 1-line block ×7, first 2 shown]
	ds_read2_b64 v[40:43], v32 offset1:32
	v_pk_fma_f16 v36, v47, v37, v36
	ds_read2_b64 v[44:47], v32 offset0:64 offset1:96
	v_mul_u32_u24_sdwa v37, v38, s31 dst_sel:DWORD dst_unused:UNUSED_PAD src0_sel:WORD_0 src1_sel:DWORD
	v_mul_u32_u24_sdwa v38, v38, s31 dst_sel:DWORD dst_unused:UNUSED_PAD src0_sel:WORD_1 src1_sel:DWORD
	s_waitcnt lgkmcnt(1)
	v_pk_fma_f16 v56, v40, v37, v56
	v_pk_fma_f16 v57, v40, v38, v57
	;; [unrolled: 1-line block ×8, first 2 shown]
	s_waitcnt lgkmcnt(0)
	v_pk_fma_f16 v49, v44, v37, v49
	v_pk_fma_f16 v88, v44, v38, v62
	;; [unrolled: 1-line block ×7, first 2 shown]
	ds_read2_b64 v[40:43], v32 offset0:128 offset1:160
	v_pk_fma_f16 v94, v47, v38, v36
	ds_read2_b64 v[44:47], v32 offset0:192 offset1:224
	s_or_b32 s6, s2, 32
	v_mul_u32_u24_sdwa v95, v39, s31 dst_sel:DWORD dst_unused:UNUSED_PAD src0_sel:WORD_0 src1_sel:DWORD
	s_mul_hi_i32 s7, s6, s11
	s_mul_i32 s6, s6, s11
	v_mul_u32_u24_sdwa v96, v39, s31 dst_sel:DWORD dst_unused:UNUSED_PAD src0_sel:WORD_1 src1_sel:DWORD
	s_waitcnt lgkmcnt(1)
	v_pk_fma_f16 v102, v43, v95, v48
	s_waitcnt lgkmcnt(0)
	v_pk_fma_f16 v104, v44, v95, v49
	v_lshl_add_u64 v[48:49], s[6:7], 2, v[16:17]
	v_pk_fma_f16 v97, v40, v95, v56
	v_pk_fma_f16 v98, v40, v96, v57
	;; [unrolled: 1-line block ×7, first 2 shown]
	ds_read2_b64 v[36:39], v34 offset1:32
	ds_read2_b64 v[40:43], v34 offset0:64 offset1:96
	ds_read2_b64 v[56:59], v34 offset0:128 offset1:160
	;; [unrolled: 1-line block ×3, first 2 shown]
	ds_read2_b64 v[64:67], v33 offset1:32
	ds_read2_b64 v[68:71], v33 offset0:64 offset1:96
	ds_read2_b64 v[72:75], v33 offset0:128 offset1:160
	;; [unrolled: 1-line block ×3, first 2 shown]
	s_waitcnt lgkmcnt(0)
	s_barrier
	global_load_dwordx4 v[80:83], v[48:49], off
	global_load_dwordx4 v[84:87], v[48:49], off offset:512
	v_pk_fma_f16 v44, v44, v96, v88
	v_pk_fma_f16 v48, v45, v95, v89
	;; [unrolled: 1-line block ×7, first 2 shown]
	v_mul_u32_u24_sdwa v89, v0, s31 dst_sel:DWORD dst_unused:UNUSED_PAD src0_sel:WORD_0 src1_sel:DWORD
	v_mul_u32_u24_sdwa v0, v0, s31 dst_sel:DWORD dst_unused:UNUSED_PAD src0_sel:WORD_1 src1_sel:DWORD
	v_pk_fma_f16 v90, v36, v89, v97
	v_pk_fma_f16 v36, v36, v0, v98
	;; [unrolled: 1-line block ×16, first 2 shown]
	v_mul_u32_u24_sdwa v43, v1, s31 dst_sel:DWORD dst_unused:UNUSED_PAD src0_sel:WORD_0 src1_sel:DWORD
	v_mul_u32_u24_sdwa v1, v1, s31 dst_sel:DWORD dst_unused:UNUSED_PAD src0_sel:WORD_1 src1_sel:DWORD
	v_pk_fma_f16 v36, v56, v1, v36
	v_pk_fma_f16 v35, v57, v1, v35
	v_pk_fma_f16 v37, v58, v43, v37
	v_pk_fma_f16 v38, v58, v1, v38
	v_pk_fma_f16 v39, v59, v1, v39
	v_pk_fma_f16 v40, v60, v1, v40
	v_pk_fma_f16 v41, v61, v1, v41
	v_pk_fma_f16 v42, v62, v1, v42
	v_pk_fma_f16 v0, v63, v1, v0
	v_mul_u32_u24_sdwa v1, v2, s31 dst_sel:DWORD dst_unused:UNUSED_PAD src0_sel:WORD_0 src1_sel:DWORD
	v_mul_u32_u24_sdwa v2, v2, s31 dst_sel:DWORD dst_unused:UNUSED_PAD src0_sel:WORD_1 src1_sel:DWORD
	v_pk_fma_f16 v36, v64, v2, v36
	v_pk_fma_f16 v35, v65, v2, v35
	v_pk_fma_f16 v37, v66, v1, v37
	v_pk_fma_f16 v38, v66, v2, v38
	v_pk_fma_f16 v39, v67, v2, v39
	v_pk_fma_f16 v40, v68, v2, v40
	v_pk_fma_f16 v41, v69, v2, v41
	v_pk_fma_f16 v42, v70, v2, v42
	v_pk_fma_f16 v0, v71, v2, v0
	;; [unrolled: 11-line block ×3, first 2 shown]
	v_pk_fma_f16 v60, v74, v3, v38
	v_pk_fma_f16 v61, v75, v3, v39
	s_waitcnt vmcnt(1)
	ds_write_b128 v27, v[80:83]
	s_waitcnt vmcnt(0)
	ds_write_b128 v28, v[84:87]
	s_waitcnt lgkmcnt(0)
	s_barrier
	ds_read_b128 v[36:39], v26 offset:128
	v_pk_fma_f16 v46, v64, v1, v47
	v_pk_fma_f16 v47, v65, v1, v48
	;; [unrolled: 1-line block ×19, first 2 shown]
	ds_read2_b64 v[40:43], v29 offset1:32
	ds_read2_b64 v[44:47], v29 offset0:64 offset1:96
	ds_read_b128 v[0:3], v26 offset:144
	s_waitcnt lgkmcnt(3)
	v_mul_u32_u24_sdwa v69, v36, s31 dst_sel:DWORD dst_unused:UNUSED_PAD src0_sel:WORD_0 src1_sel:DWORD
	v_mul_u32_u24_sdwa v36, v36, s31 dst_sel:DWORD dst_unused:UNUSED_PAD src0_sel:WORD_1 src1_sel:DWORD
	s_waitcnt lgkmcnt(2)
	v_pk_fma_f16 v56, v40, v69, v56
	v_pk_fma_f16 v57, v40, v36, v57
	;; [unrolled: 1-line block ×8, first 2 shown]
	s_waitcnt lgkmcnt(1)
	v_pk_fma_f16 v49, v44, v69, v49
	v_pk_fma_f16 v62, v44, v36, v62
	;; [unrolled: 1-line block ×7, first 2 shown]
	ds_read2_b64 v[40:43], v29 offset0:128 offset1:160
	v_pk_fma_f16 v36, v47, v36, v68
	ds_read2_b64 v[44:47], v29 offset0:192 offset1:224
	v_mul_u32_u24_sdwa v68, v37, s31 dst_sel:DWORD dst_unused:UNUSED_PAD src0_sel:WORD_0 src1_sel:DWORD
	v_mul_u32_u24_sdwa v37, v37, s31 dst_sel:DWORD dst_unused:UNUSED_PAD src0_sel:WORD_1 src1_sel:DWORD
	s_waitcnt lgkmcnt(1)
	v_pk_fma_f16 v56, v40, v68, v56
	v_pk_fma_f16 v57, v40, v37, v57
	;; [unrolled: 1-line block ×8, first 2 shown]
	s_waitcnt lgkmcnt(0)
	v_pk_fma_f16 v49, v44, v68, v49
	v_pk_fma_f16 v62, v44, v37, v62
	;; [unrolled: 1-line block ×7, first 2 shown]
	ds_read2_b64 v[40:43], v32 offset1:32
	v_pk_fma_f16 v36, v47, v37, v36
	ds_read2_b64 v[44:47], v32 offset0:64 offset1:96
	v_mul_u32_u24_sdwa v37, v38, s31 dst_sel:DWORD dst_unused:UNUSED_PAD src0_sel:WORD_0 src1_sel:DWORD
	v_mul_u32_u24_sdwa v38, v38, s31 dst_sel:DWORD dst_unused:UNUSED_PAD src0_sel:WORD_1 src1_sel:DWORD
	s_waitcnt lgkmcnt(1)
	v_pk_fma_f16 v56, v40, v37, v56
	v_pk_fma_f16 v57, v40, v38, v57
	;; [unrolled: 1-line block ×8, first 2 shown]
	s_waitcnt lgkmcnt(0)
	v_pk_fma_f16 v49, v44, v37, v49
	v_pk_fma_f16 v88, v44, v38, v62
	;; [unrolled: 1-line block ×7, first 2 shown]
	ds_read2_b64 v[40:43], v32 offset0:128 offset1:160
	v_pk_fma_f16 v94, v47, v38, v36
	ds_read2_b64 v[44:47], v32 offset0:192 offset1:224
	s_or_b32 s6, s2, 40
	v_mul_u32_u24_sdwa v95, v39, s31 dst_sel:DWORD dst_unused:UNUSED_PAD src0_sel:WORD_0 src1_sel:DWORD
	s_mul_hi_i32 s7, s6, s11
	s_mul_i32 s6, s6, s11
	v_mul_u32_u24_sdwa v96, v39, s31 dst_sel:DWORD dst_unused:UNUSED_PAD src0_sel:WORD_1 src1_sel:DWORD
	s_waitcnt lgkmcnt(1)
	v_pk_fma_f16 v102, v43, v95, v48
	s_waitcnt lgkmcnt(0)
	v_pk_fma_f16 v104, v44, v95, v49
	v_lshl_add_u64 v[48:49], s[6:7], 2, v[16:17]
	v_pk_fma_f16 v97, v40, v95, v56
	v_pk_fma_f16 v98, v40, v96, v57
	;; [unrolled: 1-line block ×7, first 2 shown]
	ds_read2_b64 v[36:39], v34 offset1:32
	ds_read2_b64 v[40:43], v34 offset0:64 offset1:96
	ds_read2_b64 v[56:59], v34 offset0:128 offset1:160
	;; [unrolled: 1-line block ×3, first 2 shown]
	ds_read2_b64 v[64:67], v33 offset1:32
	ds_read2_b64 v[68:71], v33 offset0:64 offset1:96
	ds_read2_b64 v[72:75], v33 offset0:128 offset1:160
	;; [unrolled: 1-line block ×3, first 2 shown]
	s_waitcnt lgkmcnt(0)
	s_barrier
	global_load_dwordx4 v[80:83], v[48:49], off
	global_load_dwordx4 v[84:87], v[48:49], off offset:512
	v_pk_fma_f16 v44, v44, v96, v88
	v_pk_fma_f16 v48, v45, v95, v89
	;; [unrolled: 1-line block ×7, first 2 shown]
	v_mul_u32_u24_sdwa v89, v0, s31 dst_sel:DWORD dst_unused:UNUSED_PAD src0_sel:WORD_0 src1_sel:DWORD
	v_mul_u32_u24_sdwa v0, v0, s31 dst_sel:DWORD dst_unused:UNUSED_PAD src0_sel:WORD_1 src1_sel:DWORD
	v_pk_fma_f16 v90, v36, v89, v97
	v_pk_fma_f16 v36, v36, v0, v98
	;; [unrolled: 1-line block ×16, first 2 shown]
	v_mul_u32_u24_sdwa v43, v1, s31 dst_sel:DWORD dst_unused:UNUSED_PAD src0_sel:WORD_0 src1_sel:DWORD
	v_mul_u32_u24_sdwa v1, v1, s31 dst_sel:DWORD dst_unused:UNUSED_PAD src0_sel:WORD_1 src1_sel:DWORD
	v_pk_fma_f16 v36, v56, v1, v36
	v_pk_fma_f16 v35, v57, v1, v35
	v_pk_fma_f16 v37, v58, v43, v37
	v_pk_fma_f16 v38, v58, v1, v38
	v_pk_fma_f16 v39, v59, v1, v39
	v_pk_fma_f16 v40, v60, v1, v40
	v_pk_fma_f16 v41, v61, v1, v41
	v_pk_fma_f16 v42, v62, v1, v42
	v_pk_fma_f16 v0, v63, v1, v0
	v_mul_u32_u24_sdwa v1, v2, s31 dst_sel:DWORD dst_unused:UNUSED_PAD src0_sel:WORD_0 src1_sel:DWORD
	v_mul_u32_u24_sdwa v2, v2, s31 dst_sel:DWORD dst_unused:UNUSED_PAD src0_sel:WORD_1 src1_sel:DWORD
	v_pk_fma_f16 v36, v64, v2, v36
	v_pk_fma_f16 v35, v65, v2, v35
	v_pk_fma_f16 v37, v66, v1, v37
	v_pk_fma_f16 v38, v66, v2, v38
	v_pk_fma_f16 v39, v67, v2, v39
	v_pk_fma_f16 v40, v68, v2, v40
	v_pk_fma_f16 v41, v69, v2, v41
	v_pk_fma_f16 v42, v70, v2, v42
	v_pk_fma_f16 v0, v71, v2, v0
	;; [unrolled: 11-line block ×3, first 2 shown]
	v_pk_fma_f16 v60, v74, v3, v38
	v_pk_fma_f16 v61, v75, v3, v39
	s_waitcnt vmcnt(1)
	ds_write_b128 v27, v[80:83]
	s_waitcnt vmcnt(0)
	ds_write_b128 v28, v[84:87]
	s_waitcnt lgkmcnt(0)
	s_barrier
	ds_read_b128 v[36:39], v26 offset:160
	v_pk_fma_f16 v46, v64, v1, v47
	v_pk_fma_f16 v47, v65, v1, v48
	;; [unrolled: 1-line block ×19, first 2 shown]
	ds_read2_b64 v[40:43], v29 offset1:32
	ds_read2_b64 v[44:47], v29 offset0:64 offset1:96
	ds_read_b128 v[0:3], v26 offset:176
	s_waitcnt lgkmcnt(3)
	v_mul_u32_u24_sdwa v69, v36, s31 dst_sel:DWORD dst_unused:UNUSED_PAD src0_sel:WORD_0 src1_sel:DWORD
	v_mul_u32_u24_sdwa v36, v36, s31 dst_sel:DWORD dst_unused:UNUSED_PAD src0_sel:WORD_1 src1_sel:DWORD
	s_waitcnt lgkmcnt(2)
	v_pk_fma_f16 v56, v40, v69, v56
	v_pk_fma_f16 v57, v40, v36, v57
	;; [unrolled: 1-line block ×8, first 2 shown]
	s_waitcnt lgkmcnt(1)
	v_pk_fma_f16 v49, v44, v69, v49
	v_pk_fma_f16 v62, v44, v36, v62
	;; [unrolled: 1-line block ×7, first 2 shown]
	ds_read2_b64 v[40:43], v29 offset0:128 offset1:160
	v_pk_fma_f16 v36, v47, v36, v68
	ds_read2_b64 v[44:47], v29 offset0:192 offset1:224
	v_mul_u32_u24_sdwa v68, v37, s31 dst_sel:DWORD dst_unused:UNUSED_PAD src0_sel:WORD_0 src1_sel:DWORD
	v_mul_u32_u24_sdwa v37, v37, s31 dst_sel:DWORD dst_unused:UNUSED_PAD src0_sel:WORD_1 src1_sel:DWORD
	s_waitcnt lgkmcnt(1)
	v_pk_fma_f16 v56, v40, v68, v56
	v_pk_fma_f16 v57, v40, v37, v57
	;; [unrolled: 1-line block ×8, first 2 shown]
	s_waitcnt lgkmcnt(0)
	v_pk_fma_f16 v49, v44, v68, v49
	v_pk_fma_f16 v62, v44, v37, v62
	;; [unrolled: 1-line block ×7, first 2 shown]
	ds_read2_b64 v[40:43], v32 offset1:32
	v_pk_fma_f16 v36, v47, v37, v36
	ds_read2_b64 v[44:47], v32 offset0:64 offset1:96
	v_mul_u32_u24_sdwa v37, v38, s31 dst_sel:DWORD dst_unused:UNUSED_PAD src0_sel:WORD_0 src1_sel:DWORD
	v_mul_u32_u24_sdwa v38, v38, s31 dst_sel:DWORD dst_unused:UNUSED_PAD src0_sel:WORD_1 src1_sel:DWORD
	s_waitcnt lgkmcnt(1)
	v_pk_fma_f16 v56, v40, v37, v56
	v_pk_fma_f16 v57, v40, v38, v57
	;; [unrolled: 1-line block ×8, first 2 shown]
	s_waitcnt lgkmcnt(0)
	v_pk_fma_f16 v49, v44, v37, v49
	v_pk_fma_f16 v88, v44, v38, v62
	;; [unrolled: 1-line block ×7, first 2 shown]
	ds_read2_b64 v[40:43], v32 offset0:128 offset1:160
	v_pk_fma_f16 v94, v47, v38, v36
	ds_read2_b64 v[44:47], v32 offset0:192 offset1:224
	s_or_b32 s6, s2, 48
	v_mul_u32_u24_sdwa v95, v39, s31 dst_sel:DWORD dst_unused:UNUSED_PAD src0_sel:WORD_0 src1_sel:DWORD
	s_mul_hi_i32 s7, s6, s11
	s_mul_i32 s6, s6, s11
	v_mul_u32_u24_sdwa v96, v39, s31 dst_sel:DWORD dst_unused:UNUSED_PAD src0_sel:WORD_1 src1_sel:DWORD
	s_waitcnt lgkmcnt(1)
	v_pk_fma_f16 v102, v43, v95, v48
	s_waitcnt lgkmcnt(0)
	v_pk_fma_f16 v104, v44, v95, v49
	v_lshl_add_u64 v[48:49], s[6:7], 2, v[16:17]
	v_pk_fma_f16 v97, v40, v95, v56
	v_pk_fma_f16 v98, v40, v96, v57
	v_pk_fma_f16 v99, v41, v95, v58
	v_pk_fma_f16 v35, v41, v96, v35
	v_pk_fma_f16 v100, v42, v95, v59
	v_pk_fma_f16 v101, v42, v96, v60
	v_pk_fma_f16 v103, v43, v96, v61
	ds_read2_b64 v[36:39], v34 offset1:32
	ds_read2_b64 v[40:43], v34 offset0:64 offset1:96
	ds_read2_b64 v[56:59], v34 offset0:128 offset1:160
	;; [unrolled: 1-line block ×3, first 2 shown]
	ds_read2_b64 v[64:67], v33 offset1:32
	ds_read2_b64 v[68:71], v33 offset0:64 offset1:96
	ds_read2_b64 v[72:75], v33 offset0:128 offset1:160
	;; [unrolled: 1-line block ×3, first 2 shown]
	s_waitcnt lgkmcnt(0)
	s_barrier
	global_load_dwordx4 v[80:83], v[48:49], off
	global_load_dwordx4 v[84:87], v[48:49], off offset:512
	v_pk_fma_f16 v44, v44, v96, v88
	v_pk_fma_f16 v48, v45, v95, v89
	;; [unrolled: 1-line block ×7, first 2 shown]
	v_mul_u32_u24_sdwa v89, v0, s31 dst_sel:DWORD dst_unused:UNUSED_PAD src0_sel:WORD_0 src1_sel:DWORD
	v_mul_u32_u24_sdwa v0, v0, s31 dst_sel:DWORD dst_unused:UNUSED_PAD src0_sel:WORD_1 src1_sel:DWORD
	v_pk_fma_f16 v90, v36, v89, v97
	v_pk_fma_f16 v36, v36, v0, v98
	;; [unrolled: 1-line block ×16, first 2 shown]
	v_mul_u32_u24_sdwa v43, v1, s31 dst_sel:DWORD dst_unused:UNUSED_PAD src0_sel:WORD_0 src1_sel:DWORD
	v_mul_u32_u24_sdwa v1, v1, s31 dst_sel:DWORD dst_unused:UNUSED_PAD src0_sel:WORD_1 src1_sel:DWORD
	v_pk_fma_f16 v36, v56, v1, v36
	v_pk_fma_f16 v35, v57, v1, v35
	v_pk_fma_f16 v37, v58, v43, v37
	v_pk_fma_f16 v38, v58, v1, v38
	v_pk_fma_f16 v39, v59, v1, v39
	v_pk_fma_f16 v40, v60, v1, v40
	v_pk_fma_f16 v41, v61, v1, v41
	v_pk_fma_f16 v42, v62, v1, v42
	v_pk_fma_f16 v0, v63, v1, v0
	v_mul_u32_u24_sdwa v1, v2, s31 dst_sel:DWORD dst_unused:UNUSED_PAD src0_sel:WORD_0 src1_sel:DWORD
	v_mul_u32_u24_sdwa v2, v2, s31 dst_sel:DWORD dst_unused:UNUSED_PAD src0_sel:WORD_1 src1_sel:DWORD
	v_pk_fma_f16 v36, v64, v2, v36
	v_pk_fma_f16 v35, v65, v2, v35
	v_pk_fma_f16 v37, v66, v1, v37
	v_pk_fma_f16 v38, v66, v2, v38
	v_pk_fma_f16 v39, v67, v2, v39
	v_pk_fma_f16 v40, v68, v2, v40
	v_pk_fma_f16 v41, v69, v2, v41
	v_pk_fma_f16 v42, v70, v2, v42
	v_pk_fma_f16 v0, v71, v2, v0
	;; [unrolled: 11-line block ×3, first 2 shown]
	v_pk_fma_f16 v60, v74, v3, v38
	v_pk_fma_f16 v61, v75, v3, v39
	s_waitcnt vmcnt(1)
	ds_write_b128 v27, v[80:83]
	s_waitcnt vmcnt(0)
	ds_write_b128 v28, v[84:87]
	s_waitcnt lgkmcnt(0)
	s_barrier
	ds_read_b128 v[36:39], v26 offset:192
	v_pk_fma_f16 v46, v64, v1, v47
	v_pk_fma_f16 v47, v65, v1, v48
	;; [unrolled: 1-line block ×19, first 2 shown]
	ds_read2_b64 v[40:43], v29 offset1:32
	ds_read2_b64 v[44:47], v29 offset0:64 offset1:96
	ds_read_b128 v[0:3], v26 offset:208
	s_waitcnt lgkmcnt(3)
	v_mul_u32_u24_sdwa v69, v36, s31 dst_sel:DWORD dst_unused:UNUSED_PAD src0_sel:WORD_0 src1_sel:DWORD
	v_mul_u32_u24_sdwa v36, v36, s31 dst_sel:DWORD dst_unused:UNUSED_PAD src0_sel:WORD_1 src1_sel:DWORD
	s_waitcnt lgkmcnt(2)
	v_pk_fma_f16 v56, v40, v69, v56
	v_pk_fma_f16 v57, v40, v36, v57
	;; [unrolled: 1-line block ×8, first 2 shown]
	s_waitcnt lgkmcnt(1)
	v_pk_fma_f16 v49, v44, v69, v49
	v_pk_fma_f16 v62, v44, v36, v62
	;; [unrolled: 1-line block ×7, first 2 shown]
	ds_read2_b64 v[40:43], v29 offset0:128 offset1:160
	v_pk_fma_f16 v36, v47, v36, v68
	ds_read2_b64 v[44:47], v29 offset0:192 offset1:224
	v_mul_u32_u24_sdwa v68, v37, s31 dst_sel:DWORD dst_unused:UNUSED_PAD src0_sel:WORD_0 src1_sel:DWORD
	v_mul_u32_u24_sdwa v37, v37, s31 dst_sel:DWORD dst_unused:UNUSED_PAD src0_sel:WORD_1 src1_sel:DWORD
	s_waitcnt lgkmcnt(1)
	v_pk_fma_f16 v56, v40, v68, v56
	v_pk_fma_f16 v57, v40, v37, v57
	v_pk_fma_f16 v58, v41, v68, v58
	v_pk_fma_f16 v35, v41, v37, v35
	v_pk_fma_f16 v59, v42, v68, v59
	v_pk_fma_f16 v60, v42, v37, v60
	v_pk_fma_f16 v48, v43, v68, v48
	v_pk_fma_f16 v61, v43, v37, v61
	s_waitcnt lgkmcnt(0)
	v_pk_fma_f16 v49, v44, v68, v49
	v_pk_fma_f16 v62, v44, v37, v62
	;; [unrolled: 1-line block ×7, first 2 shown]
	ds_read2_b64 v[40:43], v32 offset1:32
	v_pk_fma_f16 v36, v47, v37, v36
	ds_read2_b64 v[44:47], v32 offset0:64 offset1:96
	v_mul_u32_u24_sdwa v37, v38, s31 dst_sel:DWORD dst_unused:UNUSED_PAD src0_sel:WORD_0 src1_sel:DWORD
	v_mul_u32_u24_sdwa v38, v38, s31 dst_sel:DWORD dst_unused:UNUSED_PAD src0_sel:WORD_1 src1_sel:DWORD
	s_waitcnt lgkmcnt(1)
	v_pk_fma_f16 v56, v40, v37, v56
	v_pk_fma_f16 v57, v40, v38, v57
	;; [unrolled: 1-line block ×8, first 2 shown]
	s_waitcnt lgkmcnt(0)
	v_pk_fma_f16 v49, v44, v37, v49
	v_pk_fma_f16 v88, v44, v38, v62
	;; [unrolled: 1-line block ×7, first 2 shown]
	ds_read2_b64 v[40:43], v32 offset0:128 offset1:160
	v_pk_fma_f16 v94, v47, v38, v36
	ds_read2_b64 v[44:47], v32 offset0:192 offset1:224
	s_or_b32 s6, s2, 56
	v_mul_u32_u24_sdwa v95, v39, s31 dst_sel:DWORD dst_unused:UNUSED_PAD src0_sel:WORD_0 src1_sel:DWORD
	s_mul_hi_i32 s7, s6, s11
	s_mul_i32 s6, s6, s11
	v_mul_u32_u24_sdwa v96, v39, s31 dst_sel:DWORD dst_unused:UNUSED_PAD src0_sel:WORD_1 src1_sel:DWORD
	s_waitcnt lgkmcnt(1)
	v_pk_fma_f16 v102, v43, v95, v48
	s_waitcnt lgkmcnt(0)
	v_pk_fma_f16 v104, v44, v95, v49
	v_lshl_add_u64 v[48:49], s[6:7], 2, v[16:17]
	v_pk_fma_f16 v97, v40, v95, v56
	v_pk_fma_f16 v98, v40, v96, v57
	;; [unrolled: 1-line block ×7, first 2 shown]
	ds_read2_b64 v[36:39], v34 offset1:32
	ds_read2_b64 v[40:43], v34 offset0:64 offset1:96
	ds_read2_b64 v[56:59], v34 offset0:128 offset1:160
	;; [unrolled: 1-line block ×3, first 2 shown]
	ds_read2_b64 v[64:67], v33 offset1:32
	ds_read2_b64 v[68:71], v33 offset0:64 offset1:96
	ds_read2_b64 v[72:75], v33 offset0:128 offset1:160
	;; [unrolled: 1-line block ×3, first 2 shown]
	s_waitcnt lgkmcnt(0)
	s_barrier
	global_load_dwordx4 v[80:83], v[48:49], off
	global_load_dwordx4 v[84:87], v[48:49], off offset:512
	v_pk_fma_f16 v44, v44, v96, v88
	v_pk_fma_f16 v48, v45, v95, v89
	v_pk_fma_f16 v45, v45, v96, v90
	v_pk_fma_f16 v49, v46, v95, v91
	v_pk_fma_f16 v46, v46, v96, v92
	v_pk_fma_f16 v88, v47, v95, v93
	v_pk_fma_f16 v47, v47, v96, v94
	v_mul_u32_u24_sdwa v89, v0, s31 dst_sel:DWORD dst_unused:UNUSED_PAD src0_sel:WORD_0 src1_sel:DWORD
	v_mul_u32_u24_sdwa v0, v0, s31 dst_sel:DWORD dst_unused:UNUSED_PAD src0_sel:WORD_1 src1_sel:DWORD
	v_pk_fma_f16 v90, v36, v89, v97
	v_pk_fma_f16 v36, v36, v0, v98
	v_pk_fma_f16 v91, v37, v89, v99
	v_pk_fma_f16 v35, v37, v0, v35
	v_pk_fma_f16 v37, v38, v89, v100
	v_pk_fma_f16 v38, v38, v0, v101
	v_pk_fma_f16 v92, v39, v89, v102
	v_pk_fma_f16 v39, v39, v0, v103
	v_pk_fma_f16 v93, v40, v89, v104
	v_pk_fma_f16 v40, v40, v0, v44
	v_pk_fma_f16 v44, v41, v89, v48
	v_pk_fma_f16 v41, v41, v0, v45
	v_pk_fma_f16 v45, v42, v89, v49
	v_pk_fma_f16 v42, v42, v0, v46
	v_pk_fma_f16 v46, v43, v89, v88
	v_pk_fma_f16 v0, v43, v0, v47
	v_mul_u32_u24_sdwa v43, v1, s31 dst_sel:DWORD dst_unused:UNUSED_PAD src0_sel:WORD_0 src1_sel:DWORD
	v_mul_u32_u24_sdwa v1, v1, s31 dst_sel:DWORD dst_unused:UNUSED_PAD src0_sel:WORD_1 src1_sel:DWORD
	v_pk_fma_f16 v47, v56, v43, v90
	v_pk_fma_f16 v36, v56, v1, v36
	v_pk_fma_f16 v48, v57, v43, v91
	v_pk_fma_f16 v35, v57, v1, v35
	v_pk_fma_f16 v37, v58, v43, v37
	v_pk_fma_f16 v38, v58, v1, v38
	v_pk_fma_f16 v49, v59, v43, v92
	v_pk_fma_f16 v39, v59, v1, v39
	v_pk_fma_f16 v56, v60, v43, v93
	;; [unrolled: 18-line block ×3, first 2 shown]
	v_mul_u32_u24_sdwa v0, v3, s31 dst_sel:DWORD dst_unused:UNUSED_PAD src0_sel:WORD_0 src1_sel:DWORD
	v_pk_fma_f16 v36, v64, v2, v36
	v_pk_fma_f16 v35, v65, v2, v35
	;; [unrolled: 1-line block ×7, first 2 shown]
	v_mul_u32_u24_sdwa v56, v3, s31 dst_sel:DWORD dst_unused:UNUSED_PAD src0_sel:WORD_1 src1_sel:DWORD
	v_pk_fma_f16 v57, v72, v0, v46
	v_pk_fma_f16 v59, v73, v0, v47
	v_pk_fma_f16 v60, v74, v0, v37
	v_pk_fma_f16 v48, v75, v0, v48
	v_pk_fma_f16 v49, v76, v0, v49
	v_pk_fma_f16 v64, v77, v0, v44
	v_pk_fma_f16 v66, v78, v0, v45
	v_pk_fma_f16 v68, v79, v0, v1
	s_waitcnt vmcnt(1)
	ds_write_b128 v27, v[80:83]
	s_waitcnt vmcnt(0)
	ds_write_b128 v28, v[84:87]
	s_waitcnt lgkmcnt(0)
	s_barrier
	ds_read_b128 v[0:3], v26 offset:224
	v_pk_fma_f16 v58, v72, v56, v36
	v_pk_fma_f16 v35, v73, v56, v35
	;; [unrolled: 1-line block ×8, first 2 shown]
	ds_read2_b64 v[36:39], v29 offset1:32
	ds_read2_b64 v[40:43], v29 offset0:64 offset1:96
	ds_read_b128 v[44:47], v26 offset:240
	s_waitcnt lgkmcnt(3)
	v_mul_u32_u24_sdwa v69, v0, s31 dst_sel:DWORD dst_unused:UNUSED_PAD src0_sel:WORD_0 src1_sel:DWORD
	v_mul_u32_u24_sdwa v0, v0, s31 dst_sel:DWORD dst_unused:UNUSED_PAD src0_sel:WORD_1 src1_sel:DWORD
	s_waitcnt lgkmcnt(2)
	v_pk_fma_f16 v57, v36, v69, v57
	v_pk_fma_f16 v58, v36, v0, v58
	;; [unrolled: 1-line block ×8, first 2 shown]
	s_waitcnt lgkmcnt(1)
	v_pk_fma_f16 v49, v40, v69, v49
	v_pk_fma_f16 v63, v40, v0, v63
	;; [unrolled: 1-line block ×7, first 2 shown]
	ds_read2_b64 v[36:39], v29 offset0:128 offset1:160
	v_pk_fma_f16 v0, v43, v0, v56
	ds_read2_b64 v[40:43], v29 offset0:192 offset1:224
	v_mul_u32_u24_sdwa v56, v1, s31 dst_sel:DWORD dst_unused:UNUSED_PAD src0_sel:WORD_0 src1_sel:DWORD
	v_mul_u32_u24_sdwa v1, v1, s31 dst_sel:DWORD dst_unused:UNUSED_PAD src0_sel:WORD_1 src1_sel:DWORD
	s_waitcnt lgkmcnt(1)
	v_pk_fma_f16 v57, v36, v56, v57
	v_pk_fma_f16 v58, v36, v1, v58
	;; [unrolled: 1-line block ×8, first 2 shown]
	s_waitcnt lgkmcnt(0)
	v_pk_fma_f16 v49, v40, v56, v49
	v_pk_fma_f16 v63, v40, v1, v63
	;; [unrolled: 1-line block ×7, first 2 shown]
	ds_read2_b64 v[36:39], v32 offset1:32
	v_pk_fma_f16 v0, v43, v1, v0
	ds_read2_b64 v[40:43], v32 offset0:64 offset1:96
	v_mul_u32_u24_sdwa v1, v2, s31 dst_sel:DWORD dst_unused:UNUSED_PAD src0_sel:WORD_0 src1_sel:DWORD
	v_mul_u32_u24_sdwa v2, v2, s31 dst_sel:DWORD dst_unused:UNUSED_PAD src0_sel:WORD_1 src1_sel:DWORD
	s_waitcnt lgkmcnt(1)
	v_pk_fma_f16 v57, v36, v1, v57
	v_pk_fma_f16 v58, v36, v2, v58
	;; [unrolled: 1-line block ×8, first 2 shown]
	s_waitcnt lgkmcnt(0)
	v_pk_fma_f16 v49, v40, v1, v49
	v_pk_fma_f16 v63, v40, v2, v63
	;; [unrolled: 1-line block ×7, first 2 shown]
	ds_read2_b64 v[36:39], v32 offset0:128 offset1:160
	v_pk_fma_f16 v56, v43, v2, v0
	ds_read2_b64 v[40:43], v32 offset0:192 offset1:224
	v_mul_u32_u24_sdwa v0, v3, s31 dst_sel:DWORD dst_unused:UNUSED_PAD src0_sel:WORD_0 src1_sel:DWORD
	v_mul_u32_u24_sdwa v32, v3, s31 dst_sel:DWORD dst_unused:UNUSED_PAD src0_sel:WORD_1 src1_sel:DWORD
	s_waitcnt lgkmcnt(1)
	v_pk_fma_f16 v57, v36, v0, v57
	v_pk_fma_f16 v59, v37, v0, v59
	;; [unrolled: 1-line block ×4, first 2 shown]
	s_waitcnt lgkmcnt(0)
	v_pk_fma_f16 v49, v40, v0, v49
	v_pk_fma_f16 v40, v40, v32, v63
	;; [unrolled: 1-line block ×6, first 2 shown]
	ds_read2_b64 v[0:3], v34 offset1:32
	v_pk_fma_f16 v58, v36, v32, v58
	v_pk_fma_f16 v35, v37, v32, v35
	;; [unrolled: 1-line block ×6, first 2 shown]
	ds_read2_b64 v[36:39], v34 offset0:64 offset1:96
	v_mul_u32_u24_sdwa v43, v44, s31 dst_sel:DWORD dst_unused:UNUSED_PAD src0_sel:WORD_0 src1_sel:DWORD
	v_mul_u32_u24_sdwa v44, v44, s31 dst_sel:DWORD dst_unused:UNUSED_PAD src0_sel:WORD_1 src1_sel:DWORD
	s_waitcnt lgkmcnt(1)
	v_pk_fma_f16 v56, v0, v43, v57
	v_pk_fma_f16 v57, v0, v44, v58
	;; [unrolled: 1-line block ×8, first 2 shown]
	ds_read2_b64 v[0:3], v34 offset0:128 offset1:160
	s_waitcnt lgkmcnt(1)
	v_pk_fma_f16 v49, v36, v43, v49
	v_pk_fma_f16 v40, v36, v44, v40
	;; [unrolled: 1-line block ×8, first 2 shown]
	ds_read2_b64 v[34:37], v34 offset0:192 offset1:224
	v_mul_u32_u24_sdwa v39, v45, s31 dst_sel:DWORD dst_unused:UNUSED_PAD src0_sel:WORD_0 src1_sel:DWORD
	v_mul_u32_u24_sdwa v43, v45, s31 dst_sel:DWORD dst_unused:UNUSED_PAD src0_sel:WORD_1 src1_sel:DWORD
	s_waitcnt lgkmcnt(1)
	v_pk_fma_f16 v44, v0, v39, v56
	v_pk_fma_f16 v45, v0, v43, v57
	;; [unrolled: 1-line block ×8, first 2 shown]
	ds_read2_b64 v[0:3], v33 offset1:32
	s_waitcnt lgkmcnt(1)
	v_pk_fma_f16 v49, v34, v39, v49
	v_pk_fma_f16 v40, v34, v43, v40
	;; [unrolled: 1-line block ×8, first 2 shown]
	v_mul_u32_u24_sdwa v42, v46, s31 dst_sel:DWORD dst_unused:UNUSED_PAD src0_sel:WORD_0 src1_sel:DWORD
	v_mul_u32_u24_sdwa v43, v46, s31 dst_sel:DWORD dst_unused:UNUSED_PAD src0_sel:WORD_1 src1_sel:DWORD
	ds_read2_b64 v[34:37], v33 offset0:64 offset1:96
	s_waitcnt lgkmcnt(1)
	v_pk_fma_f16 v44, v0, v42, v44
	v_pk_fma_f16 v45, v0, v43, v45
	;; [unrolled: 1-line block ×8, first 2 shown]
	ds_read2_b64 v[0:3], v33 offset0:128 offset1:160
	ds_read2_b64 v[56:59], v33 offset0:192 offset1:224
	s_waitcnt lgkmcnt(0)
	s_barrier
	s_load_dword s6, s[4:5], 0x4
	v_pk_fma_f16 v49, v34, v42, v49
	v_pk_fma_f16 v34, v34, v43, v40
	;; [unrolled: 1-line block ×4, first 2 shown]
	s_waitcnt lgkmcnt(0)
	s_lshl_b32 s6, s6, 6
	v_pk_fma_f16 v41, v36, v42, v62
	v_pk_fma_f16 v62, v36, v43, v38
	;; [unrolled: 1-line block ×4, first 2 shown]
	v_mul_u32_u24_sdwa v67, v47, s31 dst_sel:DWORD dst_unused:UNUSED_PAD src0_sel:WORD_0 src1_sel:DWORD
	v_mul_u32_u24_sdwa v68, v47, s31 dst_sel:DWORD dst_unused:UNUSED_PAD src0_sel:WORD_1 src1_sel:DWORD
	s_add_i32 s2, s6, s2
	v_pk_fma_f16 v40, v0, v67, v44
	v_pk_fma_f16 v36, v0, v68, v45
	;; [unrolled: 1-line block ×15, first 2 shown]
	s_cmp_ge_i32 s2, s24
	v_pk_fma_f16 v32, v59, v68, v32
	s_cbranch_scc1 .LBB27_7
; %bb.38:                               ;   in Loop: Header=BB27_21 Depth=1
	v_mov_b32_e32 v49, v18
	v_mov_b32_e32 v48, v19
	s_branch .LBB27_21
	.section	.rodata,"a",@progbits
	.p2align	6, 0x0
	.amdhsa_kernel _ZL15flash_attn_tileILi512ELi512ELi2ELi8ELb1EEvPKcS1_S1_S1_S1_PKiPfP15HIP_vector_typeIfLj2EEffffjfiS5_IjLj3EEiiiiiiiiiiiliiliiiiil
		.amdhsa_group_segment_fixed_size 27648
		.amdhsa_private_segment_fixed_size 0
		.amdhsa_kernarg_size 464
		.amdhsa_user_sgpr_count 2
		.amdhsa_user_sgpr_dispatch_ptr 0
		.amdhsa_user_sgpr_queue_ptr 0
		.amdhsa_user_sgpr_kernarg_segment_ptr 1
		.amdhsa_user_sgpr_dispatch_id 0
		.amdhsa_user_sgpr_kernarg_preload_length 0
		.amdhsa_user_sgpr_kernarg_preload_offset 0
		.amdhsa_user_sgpr_private_segment_size 0
		.amdhsa_uses_dynamic_stack 0
		.amdhsa_enable_private_segment 0
		.amdhsa_system_sgpr_workgroup_id_x 1
		.amdhsa_system_sgpr_workgroup_id_y 1
		.amdhsa_system_sgpr_workgroup_id_z 1
		.amdhsa_system_sgpr_workgroup_info 0
		.amdhsa_system_vgpr_workitem_id 1
		.amdhsa_next_free_vgpr 105
		.amdhsa_next_free_sgpr 96
		.amdhsa_accum_offset 108
		.amdhsa_reserve_vcc 1
		.amdhsa_float_round_mode_32 0
		.amdhsa_float_round_mode_16_64 0
		.amdhsa_float_denorm_mode_32 3
		.amdhsa_float_denorm_mode_16_64 3
		.amdhsa_dx10_clamp 1
		.amdhsa_ieee_mode 1
		.amdhsa_fp16_overflow 0
		.amdhsa_tg_split 0
		.amdhsa_exception_fp_ieee_invalid_op 0
		.amdhsa_exception_fp_denorm_src 0
		.amdhsa_exception_fp_ieee_div_zero 0
		.amdhsa_exception_fp_ieee_overflow 0
		.amdhsa_exception_fp_ieee_underflow 0
		.amdhsa_exception_fp_ieee_inexact 0
		.amdhsa_exception_int_div_zero 0
	.end_amdhsa_kernel
	.section	.text._ZL15flash_attn_tileILi512ELi512ELi2ELi8ELb1EEvPKcS1_S1_S1_S1_PKiPfP15HIP_vector_typeIfLj2EEffffjfiS5_IjLj3EEiiiiiiiiiiiliiliiiiil,"axG",@progbits,_ZL15flash_attn_tileILi512ELi512ELi2ELi8ELb1EEvPKcS1_S1_S1_S1_PKiPfP15HIP_vector_typeIfLj2EEffffjfiS5_IjLj3EEiiiiiiiiiiiliiliiiiil,comdat
.Lfunc_end27:
	.size	_ZL15flash_attn_tileILi512ELi512ELi2ELi8ELb1EEvPKcS1_S1_S1_S1_PKiPfP15HIP_vector_typeIfLj2EEffffjfiS5_IjLj3EEiiiiiiiiiiiliiliiiiil, .Lfunc_end27-_ZL15flash_attn_tileILi512ELi512ELi2ELi8ELb1EEvPKcS1_S1_S1_S1_PKiPfP15HIP_vector_typeIfLj2EEffffjfiS5_IjLj3EEiiiiiiiiiiiliiliiiiil
                                        ; -- End function
	.set _ZL15flash_attn_tileILi512ELi512ELi2ELi8ELb1EEvPKcS1_S1_S1_S1_PKiPfP15HIP_vector_typeIfLj2EEffffjfiS5_IjLj3EEiiiiiiiiiiiliiliiiiil.num_vgpr, 105
	.set _ZL15flash_attn_tileILi512ELi512ELi2ELi8ELb1EEvPKcS1_S1_S1_S1_PKiPfP15HIP_vector_typeIfLj2EEffffjfiS5_IjLj3EEiiiiiiiiiiiliiliiiiil.num_agpr, 0
	.set _ZL15flash_attn_tileILi512ELi512ELi2ELi8ELb1EEvPKcS1_S1_S1_S1_PKiPfP15HIP_vector_typeIfLj2EEffffjfiS5_IjLj3EEiiiiiiiiiiiliiliiiiil.numbered_sgpr, 40
	.set _ZL15flash_attn_tileILi512ELi512ELi2ELi8ELb1EEvPKcS1_S1_S1_S1_PKiPfP15HIP_vector_typeIfLj2EEffffjfiS5_IjLj3EEiiiiiiiiiiiliiliiiiil.num_named_barrier, 0
	.set _ZL15flash_attn_tileILi512ELi512ELi2ELi8ELb1EEvPKcS1_S1_S1_S1_PKiPfP15HIP_vector_typeIfLj2EEffffjfiS5_IjLj3EEiiiiiiiiiiiliiliiiiil.private_seg_size, 0
	.set _ZL15flash_attn_tileILi512ELi512ELi2ELi8ELb1EEvPKcS1_S1_S1_S1_PKiPfP15HIP_vector_typeIfLj2EEffffjfiS5_IjLj3EEiiiiiiiiiiiliiliiiiil.uses_vcc, 1
	.set _ZL15flash_attn_tileILi512ELi512ELi2ELi8ELb1EEvPKcS1_S1_S1_S1_PKiPfP15HIP_vector_typeIfLj2EEffffjfiS5_IjLj3EEiiiiiiiiiiiliiliiiiil.uses_flat_scratch, 0
	.set _ZL15flash_attn_tileILi512ELi512ELi2ELi8ELb1EEvPKcS1_S1_S1_S1_PKiPfP15HIP_vector_typeIfLj2EEffffjfiS5_IjLj3EEiiiiiiiiiiiliiliiiiil.has_dyn_sized_stack, 0
	.set _ZL15flash_attn_tileILi512ELi512ELi2ELi8ELb1EEvPKcS1_S1_S1_S1_PKiPfP15HIP_vector_typeIfLj2EEffffjfiS5_IjLj3EEiiiiiiiiiiiliiliiiiil.has_recursion, 0
	.set _ZL15flash_attn_tileILi512ELi512ELi2ELi8ELb1EEvPKcS1_S1_S1_S1_PKiPfP15HIP_vector_typeIfLj2EEffffjfiS5_IjLj3EEiiiiiiiiiiiliiliiiiil.has_indirect_call, 0
	.section	.AMDGPU.csdata,"",@progbits
; Kernel info:
; codeLenInByte = 39628
; TotalNumSgprs: 46
; NumVgprs: 105
; NumAgprs: 0
; TotalNumVgprs: 105
; ScratchSize: 0
; MemoryBound: 0
; FloatMode: 240
; IeeeMode: 1
; LDSByteSize: 27648 bytes/workgroup (compile time only)
; SGPRBlocks: 12
; VGPRBlocks: 13
; NumSGPRsForWavesPerEU: 102
; NumVGPRsForWavesPerEU: 105
; AccumOffset: 108
; Occupancy: 4
; WaveLimiterHint : 1
; COMPUTE_PGM_RSRC2:SCRATCH_EN: 0
; COMPUTE_PGM_RSRC2:USER_SGPR: 2
; COMPUTE_PGM_RSRC2:TRAP_HANDLER: 0
; COMPUTE_PGM_RSRC2:TGID_X_EN: 1
; COMPUTE_PGM_RSRC2:TGID_Y_EN: 1
; COMPUTE_PGM_RSRC2:TGID_Z_EN: 1
; COMPUTE_PGM_RSRC2:TIDIG_COMP_CNT: 1
; COMPUTE_PGM_RSRC3_GFX90A:ACCUM_OFFSET: 26
; COMPUTE_PGM_RSRC3_GFX90A:TG_SPLIT: 0
	.section	.text._ZL15flash_attn_tileILi512ELi512ELi1ELi8ELb1EEvPKcS1_S1_S1_S1_PKiPfP15HIP_vector_typeIfLj2EEffffjfiS5_IjLj3EEiiiiiiiiiiiliiliiiiil,"axG",@progbits,_ZL15flash_attn_tileILi512ELi512ELi1ELi8ELb1EEvPKcS1_S1_S1_S1_PKiPfP15HIP_vector_typeIfLj2EEffffjfiS5_IjLj3EEiiiiiiiiiiiliiliiiiil,comdat
	.globl	_ZL15flash_attn_tileILi512ELi512ELi1ELi8ELb1EEvPKcS1_S1_S1_S1_PKiPfP15HIP_vector_typeIfLj2EEffffjfiS5_IjLj3EEiiiiiiiiiiiliiliiiiil ; -- Begin function _ZL15flash_attn_tileILi512ELi512ELi1ELi8ELb1EEvPKcS1_S1_S1_S1_PKiPfP15HIP_vector_typeIfLj2EEffffjfiS5_IjLj3EEiiiiiiiiiiiliiliiiiil
	.p2align	8
	.type	_ZL15flash_attn_tileILi512ELi512ELi1ELi8ELb1EEvPKcS1_S1_S1_S1_PKiPfP15HIP_vector_typeIfLj2EEffffjfiS5_IjLj3EEiiiiiiiiiiiliiliiiiil,@function
_ZL15flash_attn_tileILi512ELi512ELi1ELi8ELb1EEvPKcS1_S1_S1_S1_PKiPfP15HIP_vector_typeIfLj2EEffffjfiS5_IjLj3EEiiiiiiiiiiiliiliiiiil: ; @_ZL15flash_attn_tileILi512ELi512ELi1ELi8ELb1EEvPKcS1_S1_S1_S1_PKiPfP15HIP_vector_typeIfLj2EEffffjfiS5_IjLj3EEiiiiiiiiiiiliiliiiiil
; %bb.0:
	s_load_dwordx4 s[20:23], s[0:1], 0x5c
	s_load_dwordx2 s[28:29], s[0:1], 0x80
	s_load_dwordx2 s[34:35], s[0:1], 0xb8
	s_mov_b64 s[30:31], 0
	s_waitcnt lgkmcnt(0)
	s_ashr_i32 s5, s23, 31
	s_lshr_b32 s5, s5, 29
	s_add_i32 s5, s23, s5
	s_ashr_i32 s5, s5, 3
	v_cvt_f32_u32_e32 v1, s5
	s_sub_i32 s6, 0, s5
	v_rcp_iflag_f32_e32 v1, v1
	s_nop 0
	v_mul_f32_e32 v1, 0x4f7ffffe, v1
	v_cvt_u32_f32_e32 v1, v1
	s_nop 0
	v_readfirstlane_b32 s7, v1
	s_mul_i32 s6, s6, s7
	s_mul_hi_u32 s6, s7, s6
	s_add_i32 s7, s7, s6
	s_mul_hi_u32 s6, s4, s7
	s_mul_i32 s7, s6, s5
	s_sub_i32 s7, s4, s7
	s_add_i32 s8, s6, 1
	s_sub_i32 s9, s7, s5
	s_cmp_ge_u32 s7, s5
	s_cselect_b32 s6, s8, s6
	s_cselect_b32 s7, s9, s7
	s_add_i32 s8, s6, 1
	s_cmp_ge_u32 s7, s5
	s_cselect_b32 s33, s8, s6
	s_abs_i32 s5, s29
	v_cvt_f32_u32_e32 v1, s5
	s_lshl_b32 s4, s4, 3
	s_mul_i32 s8, s33, s23
	s_xor_b32 s6, s23, s29
	v_rcp_iflag_f32_e32 v1, v1
	s_sub_i32 s9, 0, s5
	s_sub_i32 s29, s4, s8
	s_abs_i32 s7, s23
	v_mul_f32_e32 v1, 0x4f7ffffe, v1
	v_cvt_u32_f32_e32 v1, v1
	s_ashr_i32 s6, s6, 31
	v_readfirstlane_b32 s4, v1
	s_mul_i32 s9, s9, s4
	s_mul_hi_u32 s8, s4, s9
	s_add_i32 s4, s4, s8
	s_mul_hi_u32 s4, s7, s4
	s_mul_i32 s8, s4, s5
	s_sub_i32 s7, s7, s8
	s_add_i32 s9, s4, 1
	s_sub_i32 s8, s7, s5
	s_cmp_ge_u32 s7, s5
	s_cselect_b32 s4, s9, s4
	s_cselect_b32 s7, s8, s7
	s_add_i32 s8, s4, 1
	s_cmp_ge_u32 s7, s5
	s_cselect_b32 s4, s8, s4
	s_xor_b32 s4, s4, s6
	s_sub_i32 s37, s4, s6
	s_abs_i32 s36, s37
	v_cvt_f32_u32_e32 v1, s36
	s_load_dwordx16 s[4:19], s[0:1], 0x0
	v_rcp_iflag_f32_e32 v1, v1
	s_waitcnt lgkmcnt(0)
	s_cmp_eq_u64 s[10:11], 0
	v_mul_f32_e32 v1, 0x4f7ffffe, v1
	v_cvt_u32_f32_e32 v1, v1
	s_nop 0
	v_readfirstlane_b32 s38, v1
	s_cbranch_scc1 .LBB28_2
; %bb.1:
	s_abs_i32 s26, s34
	v_cvt_f32_u32_e32 v1, s26
	s_sub_i32 s31, 0, s26
	s_abs_i32 s30, s33
	s_ashr_i32 s27, s33, 31
	v_rcp_iflag_f32_e32 v1, v1
	s_load_dwordx2 s[24:25], s[0:1], 0xc8
	v_mul_f32_e32 v1, 0x4f7ffffe, v1
	v_cvt_u32_f32_e32 v1, v1
	s_nop 0
	v_readfirstlane_b32 s34, v1
	s_mul_i32 s31, s31, s34
	s_mul_hi_u32 s31, s34, s31
	s_add_i32 s34, s34, s31
	s_mul_hi_u32 s31, s30, s34
	s_mul_i32 s31, s31, s26
	s_sub_i32 s30, s30, s31
	s_sub_i32 s31, s30, s26
	s_cmp_ge_u32 s30, s26
	s_cselect_b32 s30, s31, s30
	s_sub_i32 s31, s30, s26
	s_cmp_ge_u32 s30, s26
	s_cselect_b32 s26, s31, s30
	s_xor_b32 s26, s26, s27
	s_sub_i32 s26, s26, s27
	s_ashr_i32 s27, s26, 31
	s_waitcnt lgkmcnt(0)
	s_mul_hi_u32 s30, s24, s26
	s_mul_i32 s27, s24, s27
	s_mul_i32 s25, s25, s26
	s_add_i32 s27, s30, s27
	s_add_i32 s27, s27, s25
	s_mul_i32 s24, s24, s26
	s_add_u32 s30, s10, s24
	s_addc_u32 s31, s11, s27
.LBB28_2:
	s_load_dwordx4 s[24:27], s[0:1], 0x70
	v_bfe_u32 v16, v0, 10, 3
	v_lshrrev_b32_e32 v1, 10, v0
	v_bfe_u32 v1, v1, 3, 7
	s_waitcnt lgkmcnt(0)
	s_mul_i32 s10, s33, s26
	s_ashr_i32 s26, s10, 31
	s_mul_i32 s11, s29, s25
	s_add_u32 s4, s4, s10
	s_addc_u32 s5, s5, s26
	s_ashr_i32 s10, s11, 31
	s_add_u32 s4, s4, s11
	s_addc_u32 s5, s5, s10
	s_ashr_i32 s11, s25, 31
	s_mov_b32 s10, s25
	s_lshr_b64 s[26:27], s[10:11], 2
	s_lshr_b32 s25, s11, 2
	v_mad_u64_u32 v[4:5], s[10:11], s26, v16, 0
	v_mov_b32_e32 v2, v5
	v_mad_u64_u32 v[2:3], s[10:11], s25, v16, v[2:3]
	v_add_u32_e32 v3, s2, v1
	v_mul_hi_u32 v1, s20, v3
	v_add_u32_e32 v1, v3, v1
	v_lshrrev_b32_e32 v1, s21, v1
	v_mul_lo_u32 v1, v1, s22
	s_ashr_i32 s25, s24, 31
	v_sub_u32_e32 v8, v3, v1
	s_lshr_b64 s[10:11], s[24:25], 2
	v_mad_u64_u32 v[6:7], s[10:11], s10, v8, 0
	v_mov_b32_e32 v5, v2
	v_mov_b32_e32 v2, v7
	s_lshr_b32 s10, s25, 2
	v_mad_u64_u32 v[10:11], s[10:11], s10, v8, v[2:3]
	v_mov_b32_e32 v7, v10
	v_and_b32_e32 v2, 0x3ff, v0
	v_lshl_add_u64 v[4:5], v[4:5], 2, s[4:5]
	v_mov_b32_e32 v11, 0
	v_lshl_add_u64 v[4:5], v[6:7], 2, v[4:5]
	v_lshlrev_b32_e32 v10, 4, v2
	v_lshl_add_u64 v[10:11], v[4:5], 0, v[10:11]
	global_load_dwordx4 v[4:7], v[10:11], off
	global_load_dwordx4 v[12:15], v[10:11], off offset:512
	global_load_dwordx4 v[20:23], v[10:11], off offset:1024
	global_load_dwordx4 v[24:27], v[10:11], off offset:1536
	s_load_dword s4, s[0:1], 0x40
	v_bfe_u32 v10, v0, 10, 10
	v_lshlrev_b32_e32 v11, 10, v10
	v_lshlrev_b32_e32 v18, 3, v2
	v_add_u32_e32 v19, 0x2400, v11
	v_add_u32_e32 v9, v19, v18
	s_cmp_eq_u64 s[14:15], 0
	s_waitcnt vmcnt(3) lgkmcnt(0)
	v_fma_mixlo_f16 v0, s4, v4, 0
	v_fma_mixlo_f16 v1, s4, v5, 0
	;; [unrolled: 1-line block ×4, first 2 shown]
	s_waitcnt vmcnt(2)
	v_fma_mixlo_f16 v6, s4, v12, 0
	v_fma_mixlo_f16 v7, s4, v13, 0
	;; [unrolled: 1-line block ×4, first 2 shown]
	s_waitcnt vmcnt(1)
	v_fma_mixlo_f16 v14, s4, v20, 0
	v_fma_mixlo_f16 v15, s4, v21, 0
	;; [unrolled: 1-line block ×3, first 2 shown]
	s_waitcnt vmcnt(0)
	v_fma_mixlo_f16 v21, s4, v24, 0
	v_fma_mixlo_f16 v22, s4, v25, 0
	v_lshlrev_b32_e32 v1, 16, v1
	v_and_b32_e32 v0, 0xffff, v0
	v_lshlrev_b32_e32 v5, 16, v5
	v_and_b32_e32 v4, 0xffff, v4
	;; [unrolled: 2-line block ×3, first 2 shown]
	v_fma_mixlo_f16 v20, s4, v23, 0
	v_fma_mixlo_f16 v23, s4, v26, 0
	;; [unrolled: 1-line block ×3, first 2 shown]
	v_lshlrev_b32_e32 v13, 16, v13
	v_and_b32_e32 v12, 0xffff, v12
	v_lshlrev_b32_e32 v15, 16, v15
	v_and_b32_e32 v14, 0xffff, v14
	;; [unrolled: 2-line block ×3, first 2 shown]
	v_or_b32_e32 v0, v1, v0
	v_or3_b32 v1, v5, v4, 0
	v_or_b32_e32 v4, v7, v6
	v_lshlrev_b32_e32 v20, 16, v20
	v_and_b32_e32 v17, 0xffff, v17
	v_lshlrev_b32_e32 v24, 16, v24
	v_and_b32_e32 v23, 0xffff, v23
	v_or3_b32 v5, v13, v12, 0
	v_or_b32_e32 v6, v15, v14
	v_or_b32_e32 v12, v22, v21
	v_or3_b32 v0, 0, 0, v0
	v_or3_b32 v4, 0, 0, v4
	;; [unrolled: 1-line block ×6, first 2 shown]
	ds_write2_b64 v9, v[0:1], v[4:5] offset1:32
	ds_write2_b64 v9, v[6:7], v[12:13] offset0:64 offset1:96
	s_waitcnt lgkmcnt(0)
	s_barrier
	s_cbranch_scc1 .LBB28_4
; %bb.3:
	s_load_dword s4, s[0:1], 0xd0
	s_mov_b32 s5, 0
	s_waitcnt lgkmcnt(0)
	s_mul_i32 s4, s4, s33
	s_add_i32 s4, s4, s2
	s_lshl_b64 s[4:5], s[4:5], 2
	s_add_u32 s4, s14, s4
	s_addc_u32 s5, s15, s5
	s_load_dword s28, s[4:5], 0x0
.LBB28_4:
	s_lshl_b32 s2, s3, 6
	v_lshlrev_b32_e32 v17, 2, v2
	s_waitcnt lgkmcnt(0)
	s_cmp_lt_i32 s2, s28
	v_mbcnt_lo_u32_b32 v12, -1, 0
	s_cbranch_scc1 .LBB28_9
; %bb.5:
	v_mbcnt_hi_u32_b32 v9, -1, v12
	v_and_b32_e32 v0, 0x60, v9
	v_add_u32_e32 v15, 32, v0
	v_xor_b32_e32 v14, 16, v9
	v_xor_b32_e32 v13, 8, v9
	;; [unrolled: 1-line block ×5, first 2 shown]
	s_cbranch_execz .LBB28_10
; %bb.6:
	v_mov_b32_e32 v35, 0
	v_mov_b32_e32 v42, 0
	;; [unrolled: 1-line block ×10, first 2 shown]
.LBB28_7:
	v_cmp_lt_i32_e32 vcc, v14, v15
	s_cmp_lg_u64 s[12:13], 0
	s_cselect_b64 s[4:5], -1, 0
	v_cndmask_b32_e32 v0, v9, v14, vcc
	v_lshlrev_b32_e32 v0, 2, v0
	ds_bpermute_b32 v0, v0, v42
	v_cmp_lt_i32_e32 vcc, v13, v15
	s_cmp_eq_u32 s3, 0
	s_cselect_b64 s[6:7], -1, 0
	v_cndmask_b32_e32 v1, v9, v13, vcc
	v_lshlrev_b32_e32 v1, 2, v1
	s_waitcnt lgkmcnt(0)
	v_add_f32_e32 v0, v42, v0
	ds_bpermute_b32 v1, v1, v0
	v_cmp_lt_i32_e32 vcc, v39, v15
	s_and_b64 s[4:5], s[6:7], s[4:5]
	s_waitcnt lgkmcnt(0)
	v_add_f32_e32 v0, v0, v1
	v_cndmask_b32_e32 v4, v9, v39, vcc
	v_lshlrev_b32_e32 v4, 2, v4
	ds_bpermute_b32 v1, v4, v0
	v_cmp_lt_i32_e32 vcc, v40, v15
	s_waitcnt lgkmcnt(0)
	v_add_f32_e32 v1, v0, v1
	v_cndmask_b32_e32 v4, v9, v40, vcc
	v_lshlrev_b32_e32 v4, 2, v4
	ds_bpermute_b32 v4, v4, v1
	v_cmp_lt_i32_e32 vcc, v41, v15
	v_add_u32_e32 v0, s29, v16
	s_waitcnt lgkmcnt(0)
	v_add_f32_e32 v1, v1, v4
	v_cndmask_b32_e32 v5, v9, v41, vcc
	v_lshlrev_b32_e32 v5, 2, v5
	ds_bpermute_b32 v4, v5, v1
	s_and_b64 vcc, exec, s[4:5]
	s_waitcnt lgkmcnt(0)
	v_add_f32_e32 v13, v1, v4
	s_cbranch_vccz .LBB28_21
; %bb.8:
	v_ashrrev_i32_e32 v1, 31, v0
	v_lshl_add_u64 v[4:5], v[0:1], 2, s[12:13]
	global_load_dword v1, v[4:5], off
	v_max_f32_e32 v4, v12, v12
	s_mov_b32 s2, 0x3fb8aa3b
	s_mov_b32 s4, 0xc2ce8ed0
	s_waitcnt vmcnt(0)
	v_max_f32_e32 v5, v1, v1
	v_max_f32_e32 v4, v4, v5
	v_sub_f32_e32 v5, v12, v4
	v_sub_f32_e32 v1, v1, v4
	v_mul_f32_e32 v6, 0x3fb8aa3b, v5
	v_mul_f32_e32 v7, 0x3fb8aa3b, v1
	v_fma_f32 v8, v5, s2, -v6
	v_rndne_f32_e32 v9, v6
	v_fma_f32 v10, v1, s2, -v7
	v_rndne_f32_e32 v11, v7
	v_fmac_f32_e32 v8, 0x32a5705f, v5
	v_sub_f32_e32 v6, v6, v9
	v_fmac_f32_e32 v10, 0x32a5705f, v1
	v_sub_f32_e32 v7, v7, v11
	v_add_f32_e32 v6, v6, v8
	v_cvt_i32_f32_e32 v9, v9
	v_add_f32_e32 v7, v7, v10
	v_exp_f32_e32 v6, v6
	v_cvt_i32_f32_e32 v11, v11
	v_exp_f32_e32 v7, v7
	v_cmp_ngt_f32_e32 vcc, s4, v5
	v_ldexp_f32 v6, v6, v9
	s_mov_b32 s2, 0x42b17218
	v_ldexp_f32 v7, v7, v11
	v_cndmask_b32_e32 v6, 0, v6, vcc
	v_cmp_ngt_f32_e32 vcc, s4, v1
	v_mov_b32_e32 v8, 0x7f800000
	s_nop 0
	v_cndmask_b32_e32 v7, 0, v7, vcc
	v_cmp_nlt_f32_e32 vcc, s2, v5
	s_nop 1
	v_cndmask_b32_e32 v6, v8, v6, vcc
	v_cvt_f16_f32_e32 v9, v6
	v_cmp_nlt_f32_e32 vcc, s2, v1
	v_mul_u32_u24_e32 v1, 0x10001, v9
	s_nop 0
	v_cndmask_b32_e32 v5, v8, v7, vcc
	v_fmac_f32_e32 v5, v13, v6
	v_pk_mul_f16 v35, v35, v1
	v_pk_mul_f16 v34, v34, v1
	;; [unrolled: 1-line block ×8, first 2 shown]
	v_mov_b64_e32 v[12:13], v[4:5]
	s_branch .LBB28_22
.LBB28_9:
                                        ; implicit-def: $vgpr9
                                        ; implicit-def: $vgpr15
                                        ; implicit-def: $vgpr14
                                        ; implicit-def: $vgpr13
                                        ; implicit-def: $vgpr39
                                        ; implicit-def: $vgpr40
                                        ; implicit-def: $vgpr41
.LBB28_10:
	s_sub_i32 s4, 0, s36
	s_mul_i32 s4, s4, s38
	s_mul_hi_u32 s4, s38, s4
	s_add_i32 s38, s38, s4
	s_load_dwordx4 s[24:27], s[0:1], 0x98
	s_load_dword s10, s[0:1], 0x54
	s_load_dwordx2 s[4:5], s[0:1], 0x8c
	s_ashr_i32 s34, s37, 31
	s_abs_i32 s15, s29
	s_waitcnt lgkmcnt(0)
	s_ashr_i32 s11, s26, 2
	s_ashr_i32 s26, s35, 1
	s_ashr_i32 s14, s4, 2
	s_ashr_i32 s4, s33, 31
	s_mul_hi_u32 s35, s24, s33
	s_mul_i32 s37, s24, s4
	s_add_i32 s35, s35, s37
	s_mul_i32 s25, s25, s33
	s_mul_hi_u32 s20, s15, s38
	s_ashr_i32 s21, s29, 31
	s_add_i32 s35, s35, s25
	s_mul_i32 s24, s24, s33
	s_add_u32 s6, s6, s24
	s_mul_i32 s24, s20, s36
	s_addc_u32 s7, s7, s35
	s_sub_i32 s15, s15, s24
	s_xor_b32 s21, s21, s34
	s_add_i32 s24, s20, 1
	s_sub_i32 s25, s15, s36
	s_cmp_ge_u32 s15, s36
	s_cselect_b32 s20, s24, s20
	s_cselect_b32 s15, s25, s15
	s_add_i32 s24, s20, 1
	s_cmp_ge_u32 s15, s36
	s_load_dwordx2 s[38:39], s[0:1], 0xa8
	s_cselect_b32 s15, s24, s20
	s_xor_b32 s15, s15, s21
	s_sub_i32 s21, s15, s21
	s_mul_i32 s5, s21, s5
	s_ashr_i32 s20, s5, 31
	s_add_u32 s15, s6, s5
	s_waitcnt lgkmcnt(0)
	s_mul_hi_u32 s5, s38, s33
	s_mul_i32 s4, s38, s4
	s_addc_u32 s20, s7, s20
	s_add_i32 s4, s5, s4
	s_mul_i32 s5, s39, s33
	s_add_i32 s4, s4, s5
	s_mul_i32 s5, s38, s33
	s_add_u32 s5, s8, s5
	s_mul_i32 s21, s21, s27
	s_addc_u32 s6, s9, s4
	s_ashr_i32 s7, s21, 31
	s_add_u32 s4, s5, s21
	v_lshrrev_b32_e32 v0, 3, v2
	v_and_b32_e32 v14, 28, v17
	s_addc_u32 s5, s6, s7
	v_lshl_add_u32 v0, v10, 2, v0
	v_lshlrev_b32_e32 v4, 2, v14
	s_movk_i32 s6, 0x90
	v_mad_u32_u24 v20, v0, s6, v4
	v_mul_lo_u32 v4, s14, v0
	v_mov_b32_e32 v0, 0x4400
	v_lshl_add_u32 v23, v10, 7, v0
	v_lshlrev_b32_e32 v0, 2, v17
	v_mul_lo_u32 v10, s11, v10
	v_mad_u64_u32 v[8:9], s[6:7], v8, s26, v[2:3]
	v_add_u32_e32 v25, v11, v0
	v_ashrrev_i32_e32 v11, 31, v10
	v_mov_b32_e32 v1, 0
	v_lshl_add_u32 v6, s14, 5, v4
	v_lshl_add_u64 v[10:11], v[10:11], 2, s[4:5]
	s_add_u32 s4, s0, 0xd0
                                        ; implicit-def: $vgpr9
                                        ; implicit-def: $vgpr9
	;; [unrolled: 1-line block ×3, first 2 shown]
	v_ashrrev_i32_e32 v5, 31, v4
	v_add_u32_e32 v21, 0x1200, v20
	v_ashrrev_i32_e32 v7, 31, v6
	v_mul_u32_u24_e32 v22, 0x90, v2
	v_lshl_add_u32 v24, v2, 1, v23
	v_add_u32_e32 v26, 0x200, v25
	s_addc_u32 s5, s1, 0
	v_lshl_add_u64 v[10:11], v[10:11], 0, v[0:1]
	v_mov_b32_e32 v38, 0xfeffffff
	v_lshlrev_b32_e32 v0, 2, v14
	s_mov_b32 s8, 0x3f200000
	s_mov_b32 s9, 0x3fb8aa3b
	;; [unrolled: 1-line block ×4, first 2 shown]
	v_mov_b32_e32 v27, 0x3ca908c9
	s_brev_b32 s25, -2
	s_mov_b32 s26, 0x10001
	v_mov_b32_e32 v28, 0x7f800000
	v_mbcnt_hi_u32_b32 v9, -1, v12
	v_mov_b32_e32 v30, v1
	v_mov_b32_e32 v31, v1
	;; [unrolled: 1-line block ×9, first 2 shown]
.LBB28_11:                              ; =>This Inner Loop Header: Depth=1
	s_mul_hi_i32 s7, s2, s14
	s_mul_i32 s6, s2, s14
	s_lshl_b64 s[6:7], s[6:7], 2
	s_add_u32 s6, s15, s6
	s_addc_u32 s7, s20, s7
	v_lshl_add_u64 v[12:13], v[4:5], 2, s[6:7]
	v_lshl_add_u64 v[12:13], v[12:13], 0, v[0:1]
	;; [unrolled: 1-line block ×4, first 2 shown]
	global_load_dwordx4 v[40:43], v[12:13], off
	global_load_dwordx4 v[44:47], v[14:15], off
	v_mov_b32_e32 v39, 0
	s_waitcnt vmcnt(1)
	ds_write_b128 v20, v[40:43]
	s_waitcnt vmcnt(0)
	ds_write_b128 v21, v[44:47]
	s_waitcnt lgkmcnt(0)
	s_barrier
	ds_read_b128 v[42:45], v22
	ds_read_b128 v[46:49], v19
	ds_read_b128 v[50:53], v22 offset:4608
	s_waitcnt lgkmcnt(1)
	;;#ASMSTART
	v_dot2_f32_f16 v39, v42, v46, v39
	;;#ASMEND
	s_nop 0
	;;#ASMSTART
	v_dot2_f32_f16 v39, v43, v47, v39
	;;#ASMEND
	v_mov_b32_e32 v40, 0
	;;#ASMSTART
	v_dot2_f32_f16 v39, v44, v48, v39
	;;#ASMEND
	s_nop 0
	;;#ASMSTART
	v_dot2_f32_f16 v39, v45, v49, v39
	;;#ASMEND
	s_waitcnt lgkmcnt(0)
	;;#ASMSTART
	v_dot2_f32_f16 v40, v50, v46, v40
	;;#ASMEND
	s_nop 0
	;;#ASMSTART
	v_dot2_f32_f16 v40, v51, v47, v40
	;;#ASMEND
	s_nop 0
	;;#ASMSTART
	v_dot2_f32_f16 v40, v52, v48, v40
	;;#ASMEND
	s_nop 0
	;;#ASMSTART
	v_dot2_f32_f16 v40, v53, v49, v40
	;;#ASMEND
	ds_read_b128 v[42:45], v22 offset:16
	ds_read_b128 v[46:49], v19 offset:16
	ds_read_b128 v[50:53], v22 offset:4624
	s_waitcnt lgkmcnt(1)
	;;#ASMSTART
	v_dot2_f32_f16 v39, v42, v46, v39
	;;#ASMEND
	s_nop 0
	;;#ASMSTART
	v_dot2_f32_f16 v39, v43, v47, v39
	;;#ASMEND
	s_nop 0
	;;#ASMSTART
	v_dot2_f32_f16 v39, v44, v48, v39
	;;#ASMEND
	s_nop 0
	;;#ASMSTART
	v_dot2_f32_f16 v39, v45, v49, v39
	;;#ASMEND
	s_waitcnt lgkmcnt(0)
	;;#ASMSTART
	v_dot2_f32_f16 v40, v50, v46, v40
	;;#ASMEND
	s_nop 0
	;;#ASMSTART
	v_dot2_f32_f16 v40, v51, v47, v40
	;;#ASMEND
	s_nop 0
	;;#ASMSTART
	v_dot2_f32_f16 v40, v52, v48, v40
	;;#ASMEND
	s_nop 0
	;;#ASMSTART
	v_dot2_f32_f16 v40, v53, v49, v40
	;;#ASMEND
	ds_read_b128 v[42:45], v22 offset:32
	ds_read_b128 v[46:49], v19 offset:32
	ds_read_b128 v[50:53], v22 offset:4640
	s_waitcnt lgkmcnt(1)
	;;#ASMSTART
	v_dot2_f32_f16 v39, v42, v46, v39
	;;#ASMEND
	s_nop 0
	;;#ASMSTART
	v_dot2_f32_f16 v39, v43, v47, v39
	;;#ASMEND
	s_nop 0
	;; [unrolled: 35-line block ×7, first 2 shown]
	;;#ASMSTART
	v_dot2_f32_f16 v39, v44, v48, v39
	;;#ASMEND
	s_nop 0
	;;#ASMSTART
	v_dot2_f32_f16 v39, v45, v49, v39
	;;#ASMEND
	s_waitcnt lgkmcnt(0)
	;;#ASMSTART
	v_dot2_f32_f16 v40, v50, v46, v40
	;;#ASMEND
	s_nop 0
	;;#ASMSTART
	v_dot2_f32_f16 v40, v51, v47, v40
	;;#ASMEND
	s_nop 0
	;;#ASMSTART
	v_dot2_f32_f16 v40, v52, v48, v40
	;;#ASMEND
	s_nop 0
	;;#ASMSTART
	v_dot2_f32_f16 v40, v53, v49, v40
	;;#ASMEND
	s_barrier
	global_load_dwordx4 v[42:45], v[12:13], off offset:128
	global_load_dwordx4 v[46:49], v[14:15], off offset:128
	s_waitcnt vmcnt(1)
	ds_write_b128 v20, v[42:45]
	s_waitcnt vmcnt(0)
	ds_write_b128 v21, v[46:49]
	s_waitcnt lgkmcnt(0)
	s_barrier
	ds_read_b128 v[42:45], v22
	ds_read_b128 v[46:49], v19 offset:128
	ds_read_b128 v[50:53], v22 offset:4608
	s_waitcnt lgkmcnt(1)
	;;#ASMSTART
	v_dot2_f32_f16 v39, v42, v46, v39
	;;#ASMEND
	s_nop 0
	;;#ASMSTART
	v_dot2_f32_f16 v39, v43, v47, v39
	;;#ASMEND
	s_nop 0
	;;#ASMSTART
	v_dot2_f32_f16 v39, v44, v48, v39
	;;#ASMEND
	s_nop 0
	;;#ASMSTART
	v_dot2_f32_f16 v39, v45, v49, v39
	;;#ASMEND
	s_waitcnt lgkmcnt(0)
	;;#ASMSTART
	v_dot2_f32_f16 v40, v50, v46, v40
	;;#ASMEND
	s_nop 0
	;;#ASMSTART
	v_dot2_f32_f16 v40, v51, v47, v40
	;;#ASMEND
	s_nop 0
	;;#ASMSTART
	v_dot2_f32_f16 v40, v52, v48, v40
	;;#ASMEND
	s_nop 0
	;;#ASMSTART
	v_dot2_f32_f16 v40, v53, v49, v40
	;;#ASMEND
	ds_read_b128 v[42:45], v22 offset:16
	ds_read_b128 v[46:49], v19 offset:144
	ds_read_b128 v[50:53], v22 offset:4624
	s_waitcnt lgkmcnt(1)
	;;#ASMSTART
	v_dot2_f32_f16 v39, v42, v46, v39
	;;#ASMEND
	s_nop 0
	;;#ASMSTART
	v_dot2_f32_f16 v39, v43, v47, v39
	;;#ASMEND
	s_nop 0
	;;#ASMSTART
	v_dot2_f32_f16 v39, v44, v48, v39
	;;#ASMEND
	s_nop 0
	;;#ASMSTART
	v_dot2_f32_f16 v39, v45, v49, v39
	;;#ASMEND
	s_waitcnt lgkmcnt(0)
	;;#ASMSTART
	v_dot2_f32_f16 v40, v50, v46, v40
	;;#ASMEND
	s_nop 0
	;;#ASMSTART
	v_dot2_f32_f16 v40, v51, v47, v40
	;;#ASMEND
	s_nop 0
	;;#ASMSTART
	v_dot2_f32_f16 v40, v52, v48, v40
	;;#ASMEND
	s_nop 0
	;;#ASMSTART
	v_dot2_f32_f16 v40, v53, v49, v40
	;;#ASMEND
	ds_read_b128 v[42:45], v22 offset:32
	;; [unrolled: 35-line block ×7, first 2 shown]
	ds_read_b128 v[46:49], v19 offset:240
	ds_read_b128 v[50:53], v22 offset:4720
	s_waitcnt lgkmcnt(1)
	;;#ASMSTART
	v_dot2_f32_f16 v39, v42, v46, v39
	;;#ASMEND
	s_nop 0
	;;#ASMSTART
	v_dot2_f32_f16 v39, v43, v47, v39
	;;#ASMEND
	s_nop 0
	;; [unrolled: 4-line block ×3, first 2 shown]
	;;#ASMSTART
	v_dot2_f32_f16 v39, v45, v49, v39
	;;#ASMEND
	s_waitcnt lgkmcnt(0)
	;;#ASMSTART
	v_dot2_f32_f16 v40, v50, v46, v40
	;;#ASMEND
	s_nop 0
	;;#ASMSTART
	v_dot2_f32_f16 v40, v51, v47, v40
	;;#ASMEND
	s_nop 0
	;; [unrolled: 4-line block ×3, first 2 shown]
	;;#ASMSTART
	v_dot2_f32_f16 v40, v53, v49, v40
	;;#ASMEND
	s_barrier
	global_load_dwordx4 v[42:45], v[12:13], off offset:256
	global_load_dwordx4 v[46:49], v[14:15], off offset:256
	s_waitcnt vmcnt(1)
	ds_write_b128 v20, v[42:45]
	s_waitcnt vmcnt(0)
	ds_write_b128 v21, v[46:49]
	s_waitcnt lgkmcnt(0)
	s_barrier
	ds_read_b128 v[42:45], v22
	ds_read_b128 v[46:49], v19 offset:256
	ds_read_b128 v[50:53], v22 offset:4608
	s_waitcnt lgkmcnt(1)
	;;#ASMSTART
	v_dot2_f32_f16 v39, v42, v46, v39
	;;#ASMEND
	s_nop 0
	;;#ASMSTART
	v_dot2_f32_f16 v39, v43, v47, v39
	;;#ASMEND
	s_nop 0
	;;#ASMSTART
	v_dot2_f32_f16 v39, v44, v48, v39
	;;#ASMEND
	s_nop 0
	;;#ASMSTART
	v_dot2_f32_f16 v39, v45, v49, v39
	;;#ASMEND
	s_waitcnt lgkmcnt(0)
	;;#ASMSTART
	v_dot2_f32_f16 v40, v50, v46, v40
	;;#ASMEND
	s_nop 0
	;;#ASMSTART
	v_dot2_f32_f16 v40, v51, v47, v40
	;;#ASMEND
	s_nop 0
	;;#ASMSTART
	v_dot2_f32_f16 v40, v52, v48, v40
	;;#ASMEND
	s_nop 0
	;;#ASMSTART
	v_dot2_f32_f16 v40, v53, v49, v40
	;;#ASMEND
	ds_read_b128 v[42:45], v22 offset:16
	ds_read_b128 v[46:49], v19 offset:272
	ds_read_b128 v[50:53], v22 offset:4624
	s_waitcnt lgkmcnt(1)
	;;#ASMSTART
	v_dot2_f32_f16 v39, v42, v46, v39
	;;#ASMEND
	s_nop 0
	;;#ASMSTART
	v_dot2_f32_f16 v39, v43, v47, v39
	;;#ASMEND
	s_nop 0
	;;#ASMSTART
	v_dot2_f32_f16 v39, v44, v48, v39
	;;#ASMEND
	s_nop 0
	;;#ASMSTART
	v_dot2_f32_f16 v39, v45, v49, v39
	;;#ASMEND
	s_waitcnt lgkmcnt(0)
	;;#ASMSTART
	v_dot2_f32_f16 v40, v50, v46, v40
	;;#ASMEND
	s_nop 0
	;;#ASMSTART
	v_dot2_f32_f16 v40, v51, v47, v40
	;;#ASMEND
	s_nop 0
	;;#ASMSTART
	v_dot2_f32_f16 v40, v52, v48, v40
	;;#ASMEND
	s_nop 0
	;;#ASMSTART
	v_dot2_f32_f16 v40, v53, v49, v40
	;;#ASMEND
	ds_read_b128 v[42:45], v22 offset:32
	;; [unrolled: 35-line block ×7, first 2 shown]
	ds_read_b128 v[46:49], v19 offset:368
	ds_read_b128 v[50:53], v22 offset:4720
	s_waitcnt lgkmcnt(1)
	;;#ASMSTART
	v_dot2_f32_f16 v39, v42, v46, v39
	;;#ASMEND
	s_nop 0
	;;#ASMSTART
	v_dot2_f32_f16 v39, v43, v47, v39
	;;#ASMEND
	s_nop 0
	;; [unrolled: 4-line block ×3, first 2 shown]
	;;#ASMSTART
	v_dot2_f32_f16 v39, v45, v49, v39
	;;#ASMEND
	s_waitcnt lgkmcnt(0)
	;;#ASMSTART
	v_dot2_f32_f16 v40, v50, v46, v40
	;;#ASMEND
	s_nop 0
	;;#ASMSTART
	v_dot2_f32_f16 v40, v51, v47, v40
	;;#ASMEND
	s_nop 0
	;; [unrolled: 4-line block ×3, first 2 shown]
	;;#ASMSTART
	v_dot2_f32_f16 v40, v53, v49, v40
	;;#ASMEND
	s_barrier
	global_load_dwordx4 v[42:45], v[12:13], off offset:384
	global_load_dwordx4 v[46:49], v[14:15], off offset:384
	s_waitcnt vmcnt(1)
	ds_write_b128 v20, v[42:45]
	s_waitcnt vmcnt(0)
	ds_write_b128 v21, v[46:49]
	s_waitcnt lgkmcnt(0)
	s_barrier
	ds_read_b128 v[42:45], v22
	ds_read_b128 v[46:49], v19 offset:384
	ds_read_b128 v[50:53], v22 offset:4608
	s_waitcnt lgkmcnt(1)
	;;#ASMSTART
	v_dot2_f32_f16 v39, v42, v46, v39
	;;#ASMEND
	s_nop 0
	;;#ASMSTART
	v_dot2_f32_f16 v39, v43, v47, v39
	;;#ASMEND
	s_nop 0
	;;#ASMSTART
	v_dot2_f32_f16 v39, v44, v48, v39
	;;#ASMEND
	s_nop 0
	;;#ASMSTART
	v_dot2_f32_f16 v39, v45, v49, v39
	;;#ASMEND
	s_waitcnt lgkmcnt(0)
	;;#ASMSTART
	v_dot2_f32_f16 v40, v50, v46, v40
	;;#ASMEND
	s_nop 0
	;;#ASMSTART
	v_dot2_f32_f16 v40, v51, v47, v40
	;;#ASMEND
	s_nop 0
	;;#ASMSTART
	v_dot2_f32_f16 v40, v52, v48, v40
	;;#ASMEND
	s_nop 0
	;;#ASMSTART
	v_dot2_f32_f16 v40, v53, v49, v40
	;;#ASMEND
	ds_read_b128 v[42:45], v22 offset:16
	ds_read_b128 v[46:49], v19 offset:400
	ds_read_b128 v[50:53], v22 offset:4624
	s_waitcnt lgkmcnt(1)
	;;#ASMSTART
	v_dot2_f32_f16 v39, v42, v46, v39
	;;#ASMEND
	s_nop 0
	;;#ASMSTART
	v_dot2_f32_f16 v39, v43, v47, v39
	;;#ASMEND
	s_nop 0
	;;#ASMSTART
	v_dot2_f32_f16 v39, v44, v48, v39
	;;#ASMEND
	s_nop 0
	;;#ASMSTART
	v_dot2_f32_f16 v39, v45, v49, v39
	;;#ASMEND
	s_waitcnt lgkmcnt(0)
	;;#ASMSTART
	v_dot2_f32_f16 v40, v50, v46, v40
	;;#ASMEND
	s_nop 0
	;;#ASMSTART
	v_dot2_f32_f16 v40, v51, v47, v40
	;;#ASMEND
	s_nop 0
	;;#ASMSTART
	v_dot2_f32_f16 v40, v52, v48, v40
	;;#ASMEND
	s_nop 0
	;;#ASMSTART
	v_dot2_f32_f16 v40, v53, v49, v40
	;;#ASMEND
	ds_read_b128 v[42:45], v22 offset:32
	;; [unrolled: 35-line block ×7, first 2 shown]
	ds_read_b128 v[46:49], v19 offset:496
	ds_read_b128 v[50:53], v22 offset:4720
	s_waitcnt lgkmcnt(1)
	;;#ASMSTART
	v_dot2_f32_f16 v39, v42, v46, v39
	;;#ASMEND
	s_nop 0
	;;#ASMSTART
	v_dot2_f32_f16 v39, v43, v47, v39
	;;#ASMEND
	s_nop 0
	;; [unrolled: 4-line block ×3, first 2 shown]
	;;#ASMSTART
	v_dot2_f32_f16 v39, v45, v49, v39
	;;#ASMEND
	s_waitcnt lgkmcnt(0)
	;;#ASMSTART
	v_dot2_f32_f16 v40, v50, v46, v40
	;;#ASMEND
	s_nop 0
	;;#ASMSTART
	v_dot2_f32_f16 v40, v51, v47, v40
	;;#ASMEND
	s_nop 0
	;; [unrolled: 4-line block ×3, first 2 shown]
	;;#ASMSTART
	v_dot2_f32_f16 v40, v53, v49, v40
	;;#ASMEND
	s_barrier
	global_load_dwordx4 v[42:45], v[12:13], off offset:512
	global_load_dwordx4 v[46:49], v[14:15], off offset:512
	s_waitcnt vmcnt(1)
	ds_write_b128 v20, v[42:45]
	s_waitcnt vmcnt(0)
	ds_write_b128 v21, v[46:49]
	s_waitcnt lgkmcnt(0)
	s_barrier
	ds_read_b128 v[42:45], v22
	ds_read_b128 v[46:49], v19 offset:512
	ds_read_b128 v[50:53], v22 offset:4608
	s_waitcnt lgkmcnt(1)
	;;#ASMSTART
	v_dot2_f32_f16 v39, v42, v46, v39
	;;#ASMEND
	s_nop 0
	;;#ASMSTART
	v_dot2_f32_f16 v39, v43, v47, v39
	;;#ASMEND
	s_nop 0
	;;#ASMSTART
	v_dot2_f32_f16 v39, v44, v48, v39
	;;#ASMEND
	s_nop 0
	;;#ASMSTART
	v_dot2_f32_f16 v39, v45, v49, v39
	;;#ASMEND
	s_waitcnt lgkmcnt(0)
	;;#ASMSTART
	v_dot2_f32_f16 v40, v50, v46, v40
	;;#ASMEND
	s_nop 0
	;;#ASMSTART
	v_dot2_f32_f16 v40, v51, v47, v40
	;;#ASMEND
	s_nop 0
	;;#ASMSTART
	v_dot2_f32_f16 v40, v52, v48, v40
	;;#ASMEND
	s_nop 0
	;;#ASMSTART
	v_dot2_f32_f16 v40, v53, v49, v40
	;;#ASMEND
	ds_read_b128 v[42:45], v22 offset:16
	ds_read_b128 v[46:49], v19 offset:528
	ds_read_b128 v[50:53], v22 offset:4624
	s_waitcnt lgkmcnt(1)
	;;#ASMSTART
	v_dot2_f32_f16 v39, v42, v46, v39
	;;#ASMEND
	s_nop 0
	;;#ASMSTART
	v_dot2_f32_f16 v39, v43, v47, v39
	;;#ASMEND
	s_nop 0
	;;#ASMSTART
	v_dot2_f32_f16 v39, v44, v48, v39
	;;#ASMEND
	s_nop 0
	;;#ASMSTART
	v_dot2_f32_f16 v39, v45, v49, v39
	;;#ASMEND
	s_waitcnt lgkmcnt(0)
	;;#ASMSTART
	v_dot2_f32_f16 v40, v50, v46, v40
	;;#ASMEND
	s_nop 0
	;;#ASMSTART
	v_dot2_f32_f16 v40, v51, v47, v40
	;;#ASMEND
	s_nop 0
	;;#ASMSTART
	v_dot2_f32_f16 v40, v52, v48, v40
	;;#ASMEND
	s_nop 0
	;;#ASMSTART
	v_dot2_f32_f16 v40, v53, v49, v40
	;;#ASMEND
	ds_read_b128 v[42:45], v22 offset:32
	;; [unrolled: 35-line block ×7, first 2 shown]
	ds_read_b128 v[46:49], v19 offset:624
	ds_read_b128 v[50:53], v22 offset:4720
	s_waitcnt lgkmcnt(1)
	;;#ASMSTART
	v_dot2_f32_f16 v39, v42, v46, v39
	;;#ASMEND
	s_nop 0
	;;#ASMSTART
	v_dot2_f32_f16 v39, v43, v47, v39
	;;#ASMEND
	s_nop 0
	;; [unrolled: 4-line block ×3, first 2 shown]
	;;#ASMSTART
	v_dot2_f32_f16 v39, v45, v49, v39
	;;#ASMEND
	s_waitcnt lgkmcnt(0)
	;;#ASMSTART
	v_dot2_f32_f16 v40, v50, v46, v40
	;;#ASMEND
	s_nop 0
	;;#ASMSTART
	v_dot2_f32_f16 v40, v51, v47, v40
	;;#ASMEND
	s_nop 0
	;; [unrolled: 4-line block ×3, first 2 shown]
	;;#ASMSTART
	v_dot2_f32_f16 v40, v53, v49, v40
	;;#ASMEND
	s_barrier
	global_load_dwordx4 v[42:45], v[12:13], off offset:640
	global_load_dwordx4 v[46:49], v[14:15], off offset:640
	s_waitcnt vmcnt(1)
	ds_write_b128 v20, v[42:45]
	s_waitcnt vmcnt(0)
	ds_write_b128 v21, v[46:49]
	s_waitcnt lgkmcnt(0)
	s_barrier
	ds_read_b128 v[42:45], v22
	ds_read_b128 v[46:49], v19 offset:640
	ds_read_b128 v[50:53], v22 offset:4608
	s_waitcnt lgkmcnt(1)
	;;#ASMSTART
	v_dot2_f32_f16 v39, v42, v46, v39
	;;#ASMEND
	s_nop 0
	;;#ASMSTART
	v_dot2_f32_f16 v39, v43, v47, v39
	;;#ASMEND
	s_nop 0
	;;#ASMSTART
	v_dot2_f32_f16 v39, v44, v48, v39
	;;#ASMEND
	s_nop 0
	;;#ASMSTART
	v_dot2_f32_f16 v39, v45, v49, v39
	;;#ASMEND
	s_waitcnt lgkmcnt(0)
	;;#ASMSTART
	v_dot2_f32_f16 v40, v50, v46, v40
	;;#ASMEND
	s_nop 0
	;;#ASMSTART
	v_dot2_f32_f16 v40, v51, v47, v40
	;;#ASMEND
	s_nop 0
	;;#ASMSTART
	v_dot2_f32_f16 v40, v52, v48, v40
	;;#ASMEND
	s_nop 0
	;;#ASMSTART
	v_dot2_f32_f16 v40, v53, v49, v40
	;;#ASMEND
	ds_read_b128 v[42:45], v22 offset:16
	ds_read_b128 v[46:49], v19 offset:656
	ds_read_b128 v[50:53], v22 offset:4624
	s_waitcnt lgkmcnt(1)
	;;#ASMSTART
	v_dot2_f32_f16 v39, v42, v46, v39
	;;#ASMEND
	s_nop 0
	;;#ASMSTART
	v_dot2_f32_f16 v39, v43, v47, v39
	;;#ASMEND
	s_nop 0
	;;#ASMSTART
	v_dot2_f32_f16 v39, v44, v48, v39
	;;#ASMEND
	s_nop 0
	;;#ASMSTART
	v_dot2_f32_f16 v39, v45, v49, v39
	;;#ASMEND
	s_waitcnt lgkmcnt(0)
	;;#ASMSTART
	v_dot2_f32_f16 v40, v50, v46, v40
	;;#ASMEND
	s_nop 0
	;;#ASMSTART
	v_dot2_f32_f16 v40, v51, v47, v40
	;;#ASMEND
	s_nop 0
	;;#ASMSTART
	v_dot2_f32_f16 v40, v52, v48, v40
	;;#ASMEND
	s_nop 0
	;;#ASMSTART
	v_dot2_f32_f16 v40, v53, v49, v40
	;;#ASMEND
	ds_read_b128 v[42:45], v22 offset:32
	;; [unrolled: 35-line block ×7, first 2 shown]
	ds_read_b128 v[46:49], v19 offset:752
	ds_read_b128 v[50:53], v22 offset:4720
	s_waitcnt lgkmcnt(1)
	;;#ASMSTART
	v_dot2_f32_f16 v39, v42, v46, v39
	;;#ASMEND
	s_nop 0
	;;#ASMSTART
	v_dot2_f32_f16 v39, v43, v47, v39
	;;#ASMEND
	s_nop 0
	;;#ASMSTART
	v_dot2_f32_f16 v39, v44, v48, v39
	;;#ASMEND
	s_nop 0
	;;#ASMSTART
	v_dot2_f32_f16 v39, v45, v49, v39
	;;#ASMEND
	s_waitcnt lgkmcnt(0)
	;;#ASMSTART
	v_dot2_f32_f16 v40, v50, v46, v40
	;;#ASMEND
	s_nop 0
	;;#ASMSTART
	v_dot2_f32_f16 v40, v51, v47, v40
	;;#ASMEND
	s_nop 0
	;; [unrolled: 4-line block ×3, first 2 shown]
	;;#ASMSTART
	v_dot2_f32_f16 v40, v53, v49, v40
	;;#ASMEND
	s_barrier
	global_load_dwordx4 v[42:45], v[12:13], off offset:768
	global_load_dwordx4 v[46:49], v[14:15], off offset:768
	s_waitcnt vmcnt(1)
	ds_write_b128 v20, v[42:45]
	s_waitcnt vmcnt(0)
	ds_write_b128 v21, v[46:49]
	s_waitcnt lgkmcnt(0)
	s_barrier
	ds_read_b128 v[42:45], v22
	ds_read_b128 v[46:49], v19 offset:768
	ds_read_b128 v[50:53], v22 offset:4608
	s_waitcnt lgkmcnt(1)
	;;#ASMSTART
	v_dot2_f32_f16 v39, v42, v46, v39
	;;#ASMEND
	s_nop 0
	;;#ASMSTART
	v_dot2_f32_f16 v39, v43, v47, v39
	;;#ASMEND
	s_nop 0
	;;#ASMSTART
	v_dot2_f32_f16 v39, v44, v48, v39
	;;#ASMEND
	s_nop 0
	;;#ASMSTART
	v_dot2_f32_f16 v39, v45, v49, v39
	;;#ASMEND
	s_waitcnt lgkmcnt(0)
	;;#ASMSTART
	v_dot2_f32_f16 v40, v50, v46, v40
	;;#ASMEND
	s_nop 0
	;;#ASMSTART
	v_dot2_f32_f16 v40, v51, v47, v40
	;;#ASMEND
	s_nop 0
	;;#ASMSTART
	v_dot2_f32_f16 v40, v52, v48, v40
	;;#ASMEND
	s_nop 0
	;;#ASMSTART
	v_dot2_f32_f16 v40, v53, v49, v40
	;;#ASMEND
	ds_read_b128 v[42:45], v22 offset:16
	ds_read_b128 v[46:49], v19 offset:784
	ds_read_b128 v[50:53], v22 offset:4624
	s_waitcnt lgkmcnt(1)
	;;#ASMSTART
	v_dot2_f32_f16 v39, v42, v46, v39
	;;#ASMEND
	s_nop 0
	;;#ASMSTART
	v_dot2_f32_f16 v39, v43, v47, v39
	;;#ASMEND
	s_nop 0
	;;#ASMSTART
	v_dot2_f32_f16 v39, v44, v48, v39
	;;#ASMEND
	s_nop 0
	;;#ASMSTART
	v_dot2_f32_f16 v39, v45, v49, v39
	;;#ASMEND
	s_waitcnt lgkmcnt(0)
	;;#ASMSTART
	v_dot2_f32_f16 v40, v50, v46, v40
	;;#ASMEND
	s_nop 0
	;;#ASMSTART
	v_dot2_f32_f16 v40, v51, v47, v40
	;;#ASMEND
	s_nop 0
	;;#ASMSTART
	v_dot2_f32_f16 v40, v52, v48, v40
	;;#ASMEND
	s_nop 0
	;;#ASMSTART
	v_dot2_f32_f16 v40, v53, v49, v40
	;;#ASMEND
	ds_read_b128 v[42:45], v22 offset:32
	;; [unrolled: 35-line block ×7, first 2 shown]
	ds_read_b128 v[46:49], v19 offset:880
	ds_read_b128 v[50:53], v22 offset:4720
	s_waitcnt lgkmcnt(1)
	;;#ASMSTART
	v_dot2_f32_f16 v39, v42, v46, v39
	;;#ASMEND
	s_nop 0
	;;#ASMSTART
	v_dot2_f32_f16 v39, v43, v47, v39
	;;#ASMEND
	s_nop 0
	;; [unrolled: 4-line block ×3, first 2 shown]
	;;#ASMSTART
	v_dot2_f32_f16 v39, v45, v49, v39
	;;#ASMEND
	s_waitcnt lgkmcnt(0)
	;;#ASMSTART
	v_dot2_f32_f16 v40, v50, v46, v40
	;;#ASMEND
	s_nop 0
	;;#ASMSTART
	v_dot2_f32_f16 v40, v51, v47, v40
	;;#ASMEND
	s_nop 0
	;; [unrolled: 4-line block ×3, first 2 shown]
	;;#ASMSTART
	v_dot2_f32_f16 v40, v53, v49, v40
	;;#ASMEND
	s_barrier
	global_load_dwordx4 v[42:45], v[12:13], off offset:896
	global_load_dwordx4 v[46:49], v[14:15], off offset:896
	s_waitcnt vmcnt(1)
	ds_write_b128 v20, v[42:45]
	s_waitcnt vmcnt(0)
	ds_write_b128 v21, v[46:49]
	s_waitcnt lgkmcnt(0)
	s_barrier
	ds_read_b128 v[12:15], v22
	ds_read_b128 v[42:45], v19 offset:896
	ds_read_b128 v[46:49], v22 offset:4608
	s_waitcnt lgkmcnt(1)
	;;#ASMSTART
	v_dot2_f32_f16 v39, v12, v42, v39
	;;#ASMEND
	s_nop 0
	;;#ASMSTART
	v_dot2_f32_f16 v39, v13, v43, v39
	;;#ASMEND
	s_nop 0
	;;#ASMSTART
	v_dot2_f32_f16 v39, v14, v44, v39
	;;#ASMEND
	s_nop 0
	;;#ASMSTART
	v_dot2_f32_f16 v39, v15, v45, v39
	;;#ASMEND
	s_waitcnt lgkmcnt(0)
	;;#ASMSTART
	v_dot2_f32_f16 v40, v46, v42, v40
	;;#ASMEND
	s_nop 0
	;;#ASMSTART
	v_dot2_f32_f16 v40, v47, v43, v40
	;;#ASMEND
	s_nop 0
	;;#ASMSTART
	v_dot2_f32_f16 v40, v48, v44, v40
	;;#ASMEND
	s_nop 0
	;;#ASMSTART
	v_dot2_f32_f16 v40, v49, v45, v40
	;;#ASMEND
	ds_read_b128 v[12:15], v22 offset:16
	ds_read_b128 v[42:45], v19 offset:912
	ds_read_b128 v[46:49], v22 offset:4624
	s_waitcnt lgkmcnt(1)
	;;#ASMSTART
	v_dot2_f32_f16 v39, v12, v42, v39
	;;#ASMEND
	s_nop 0
	;;#ASMSTART
	v_dot2_f32_f16 v39, v13, v43, v39
	;;#ASMEND
	s_nop 0
	;;#ASMSTART
	v_dot2_f32_f16 v39, v14, v44, v39
	;;#ASMEND
	s_nop 0
	;;#ASMSTART
	v_dot2_f32_f16 v39, v15, v45, v39
	;;#ASMEND
	s_waitcnt lgkmcnt(0)
	;;#ASMSTART
	v_dot2_f32_f16 v40, v46, v42, v40
	;;#ASMEND
	s_nop 0
	;;#ASMSTART
	v_dot2_f32_f16 v40, v47, v43, v40
	;;#ASMEND
	s_nop 0
	;;#ASMSTART
	v_dot2_f32_f16 v40, v48, v44, v40
	;;#ASMEND
	s_nop 0
	;;#ASMSTART
	v_dot2_f32_f16 v40, v49, v45, v40
	;;#ASMEND
	ds_read_b128 v[12:15], v22 offset:32
	;; [unrolled: 35-line block ×7, first 2 shown]
	ds_read_b128 v[42:45], v19 offset:1008
	ds_read_b128 v[46:49], v22 offset:4720
	s_waitcnt lgkmcnt(1)
	;;#ASMSTART
	v_dot2_f32_f16 v39, v12, v42, v39
	;;#ASMEND
	s_nop 0
	;;#ASMSTART
	v_dot2_f32_f16 v39, v13, v43, v39
	;;#ASMEND
	s_nop 0
	;;#ASMSTART
	v_dot2_f32_f16 v39, v14, v44, v39
	;;#ASMEND
                                        ; implicit-def: $vgpr14
	s_nop 0
	;;#ASMSTART
	v_dot2_f32_f16 v39, v15, v45, v39
	;;#ASMEND
	s_waitcnt lgkmcnt(0)
	;;#ASMSTART
	v_dot2_f32_f16 v40, v46, v42, v40
	;;#ASMEND
	s_nop 0
	;;#ASMSTART
	v_dot2_f32_f16 v40, v47, v43, v40
	;;#ASMEND
	v_cmp_nlt_f32_e64 s[6:7], |v39|, s8
	;;#ASMSTART
	v_dot2_f32_f16 v40, v48, v44, v40
	;;#ASMEND
	s_nop 0
	;;#ASMSTART
	v_dot2_f32_f16 v40, v49, v45, v40
	;;#ASMEND
	s_and_saveexec_b64 s[34:35], s[6:7]
	s_xor_b64 s[6:7], exec, s[34:35]
	s_cbranch_execz .LBB28_13
; %bb.12:                               ;   in Loop: Header=BB28_11 Depth=1
	v_add_f32_e64 v12, |v39|, |v39|
	v_mul_f32_e32 v13, 0x3fb8aa3b, v12
	v_rndne_f32_e32 v14, v13
	v_sub_f32_e32 v15, v13, v14
	v_fma_f32 v13, v12, s9, -v13
	v_fmac_f32_e32 v13, 0x32a5705f, v12
	v_add_f32_e32 v13, v15, v13
	v_cvt_i32_f32_e32 v14, v14
	v_exp_f32_e32 v13, v13
	v_cmp_ngt_f32_e32 vcc, s21, v12
	v_ldexp_f32 v13, v13, v14
	s_nop 0
	v_cndmask_b32_e32 v13, 0, v13, vcc
	v_cmp_nlt_f32_e32 vcc, s24, v12
	s_nop 1
	v_cndmask_b32_e32 v12, v28, v13, vcc
	v_add_f32_e32 v12, 1.0, v12
	v_rcp_f32_e32 v12, v12
	s_nop 0
	v_fma_f32 v14, v12, -2.0, 1.0
.LBB28_13:                              ;   in Loop: Header=BB28_11 Depth=1
	s_andn2_saveexec_b64 s[6:7], s[6:7]
; %bb.14:                               ;   in Loop: Header=BB28_11 Depth=1
	v_mul_f32_e32 v12, v39, v39
	v_fmamk_f32 v13, v12, 0xbbbac73d, v27
	v_fmaak_f32 v13, v12, v13, 0xbd5c1c4e
	v_fmaak_f32 v13, v12, v13, 0x3e088382
	v_fmaak_f32 v13, v12, v13, 0xbeaaaa99
	v_mul_f32_e64 v13, |v39|, v13
	v_fma_f32 v14, v12, v13, |v39|
; %bb.15:                               ;   in Loop: Header=BB28_11 Depth=1
	s_or_b64 exec, exec, s[6:7]
	v_add_u32_e32 v12, s2, v8
	v_ashrrev_i32_e32 v13, 31, v12
	v_lshl_add_u64 v[12:13], v[12:13], 1, s[30:31]
	global_load_ushort v15, v[12:13], off
	v_cmp_nlt_f32_e64 s[6:7], |v40|, s8
                                        ; implicit-def: $vgpr41
	s_and_saveexec_b64 s[34:35], s[6:7]
	s_xor_b64 s[6:7], exec, s[34:35]
	s_cbranch_execz .LBB28_17
; %bb.16:                               ;   in Loop: Header=BB28_11 Depth=1
	v_add_f32_e64 v41, |v40|, |v40|
	v_mul_f32_e32 v42, 0x3fb8aa3b, v41
	v_rndne_f32_e32 v43, v42
	v_sub_f32_e32 v44, v42, v43
	v_fma_f32 v42, v41, s9, -v42
	v_fmac_f32_e32 v42, 0x32a5705f, v41
	v_add_f32_e32 v42, v44, v42
	v_cvt_i32_f32_e32 v43, v43
	v_exp_f32_e32 v42, v42
	v_cmp_ngt_f32_e32 vcc, s21, v41
	v_ldexp_f32 v42, v42, v43
	s_nop 0
	v_cndmask_b32_e32 v42, 0, v42, vcc
	v_cmp_nlt_f32_e32 vcc, s24, v41
	s_nop 1
	v_cndmask_b32_e32 v41, v28, v42, vcc
	v_add_f32_e32 v41, 1.0, v41
	v_rcp_f32_e32 v41, v41
	s_nop 0
	v_fma_f32 v41, v41, -2.0, 1.0
.LBB28_17:                              ;   in Loop: Header=BB28_11 Depth=1
	s_andn2_saveexec_b64 s[6:7], s[6:7]
; %bb.18:                               ;   in Loop: Header=BB28_11 Depth=1
	v_mul_f32_e32 v41, v40, v40
	v_fmamk_f32 v42, v41, 0xbbbac73d, v27
	v_fmaak_f32 v42, v41, v42, 0xbd5c1c4e
	v_fmaak_f32 v42, v41, v42, 0x3e088382
	;; [unrolled: 1-line block ×3, first 2 shown]
	v_mul_f32_e64 v42, |v40|, v42
	v_fma_f32 v41, v41, v42, |v40|
; %bb.19:                               ;   in Loop: Header=BB28_11 Depth=1
	s_or_b64 exec, exec, s[6:7]
	global_load_ushort v12, v[12:13], off offset:64
	s_mul_hi_i32 s7, s2, s11
	s_mul_i32 s6, s2, s11
	v_bfi_b32 v43, s25, v41, v40
	v_lshl_add_u64 v[40:41], s[6:7], 2, v[10:11]
	s_barrier
	global_load_dwordx4 v[46:49], v[40:41], off
	global_load_dwordx4 v[50:53], v[40:41], off offset:512
	v_bfi_b32 v39, s25, v14, v39
	v_and_b32_e32 v42, 0x60, v9
	v_xor_b32_e32 v14, 16, v9
	s_waitcnt vmcnt(3)
	v_fma_mix_f32 v44, s10, v39, v15 op_sel_hi:[0,0,1]
	v_add_u32_e32 v15, 32, v42
	v_cmp_lt_i32_e32 vcc, v14, v15
	v_add_f32_e32 v39, 0x40051340, v44
	v_xor_b32_e32 v13, 8, v9
	v_cndmask_b32_e32 v42, v9, v14, vcc
	v_lshlrev_b32_e32 v42, 2, v42
	v_cmp_lt_i32_e32 vcc, v13, v15
	s_or_b32 s6, s2, 8
	s_mul_hi_i32 s7, s6, s11
	v_cndmask_b32_e32 v40, v9, v13, vcc
	v_lshlrev_b32_e32 v40, 2, v40
	s_mul_i32 s6, s6, s11
	s_waitcnt vmcnt(2)
	v_fma_mix_f32 v43, s10, v43, v12 op_sel_hi:[0,0,1]
	v_add_f32_e32 v12, 0x40051340, v43
	v_max3_f32 v12, v38, v39, v12
	ds_bpermute_b32 v39, v42, v12
	s_waitcnt lgkmcnt(0)
	v_max_f32_e32 v39, v39, v39
	v_max_f32_e32 v12, v12, v39
	ds_bpermute_b32 v40, v40, v12
	v_xor_b32_e32 v39, 4, v9
	v_cmp_lt_i32_e32 vcc, v39, v15
	s_waitcnt lgkmcnt(0)
	v_max_f32_e32 v40, v40, v40
	v_cndmask_b32_e32 v41, v9, v39, vcc
	v_lshlrev_b32_e32 v41, 2, v41
	v_max_f32_e32 v12, v12, v40
	ds_bpermute_b32 v41, v41, v12
	v_xor_b32_e32 v40, 2, v9
	v_cmp_lt_i32_e32 vcc, v40, v15
	s_waitcnt lgkmcnt(0)
	v_max_f32_e32 v41, v41, v41
	v_cndmask_b32_e32 v42, v9, v40, vcc
	v_lshlrev_b32_e32 v42, 2, v42
	;; [unrolled: 8-line block ×3, first 2 shown]
	v_max_f32_e32 v12, v12, v42
	ds_bpermute_b32 v42, v45, v12
	s_waitcnt lgkmcnt(0)
	v_max_f32_e32 v42, v42, v42
	v_max_f32_e32 v12, v12, v42
	v_sub_f32_e32 v42, v44, v12
	v_sub_f32_e32 v43, v43, v12
	v_mul_f32_e32 v44, 0x3fb8aa3b, v42
	v_sub_f32_e32 v38, v38, v12
	v_mul_f32_e32 v45, 0x3fb8aa3b, v43
	v_fma_f32 v55, v42, s9, -v44
	v_rndne_f32_e32 v56, v44
	v_mul_f32_e32 v54, 0x3fb8aa3b, v38
	v_fma_f32 v57, v43, s9, -v45
	v_rndne_f32_e32 v58, v45
	v_fmac_f32_e32 v55, 0x32a5705f, v42
	v_sub_f32_e32 v44, v44, v56
	v_fma_f32 v59, v38, s9, -v54
	v_rndne_f32_e32 v60, v54
	v_fmac_f32_e32 v57, 0x32a5705f, v43
	v_sub_f32_e32 v45, v45, v58
	v_add_f32_e32 v44, v44, v55
	v_cvt_i32_f32_e32 v56, v56
	v_fmac_f32_e32 v59, 0x32a5705f, v38
	v_sub_f32_e32 v54, v54, v60
	v_add_f32_e32 v45, v45, v57
	v_exp_f32_e32 v44, v44
	v_cvt_i32_f32_e32 v58, v58
	v_add_f32_e32 v54, v54, v59
	v_exp_f32_e32 v45, v45
	v_cvt_i32_f32_e32 v60, v60
	v_exp_f32_e32 v54, v54
	v_ldexp_f32 v44, v44, v56
	v_cmp_ngt_f32_e32 vcc, s21, v42
	v_ldexp_f32 v45, v45, v58
	v_ldexp_f32 v54, v54, v60
	v_cndmask_b32_e32 v44, 0, v44, vcc
	v_cmp_ngt_f32_e32 vcc, s21, v43
	s_nop 1
	v_cndmask_b32_e32 v45, 0, v45, vcc
	v_cmp_ngt_f32_e32 vcc, s21, v38
	s_nop 1
	v_cndmask_b32_e32 v54, 0, v54, vcc
	v_cmp_nlt_f32_e32 vcc, s24, v42
	s_nop 1
	v_cndmask_b32_e32 v42, v28, v44, vcc
	v_cmp_nlt_f32_e32 vcc, s24, v43
	;; [unrolled: 3-line block ×3, first 2 shown]
	v_cvt_f16_f32_e32 v55, v43
	v_add_u32_e32 v38, 0x800, v18
	v_cndmask_b32_e32 v44, v28, v54, vcc
	v_cvt_f16_f32_e32 v54, v42
	v_cvt_f16_f32_e32 v45, v44
	ds_write_b16 v24, v54
	ds_write_b16 v24, v55 offset:64
	s_waitcnt vmcnt(1)
	ds_write_b128 v25, v[46:49]
	s_waitcnt vmcnt(0)
	ds_write_b128 v26, v[50:53]
	s_waitcnt lgkmcnt(0)
	s_barrier
	ds_read2_b64 v[46:49], v18 offset1:32
	ds_read2_b64 v[50:53], v18 offset0:64 offset1:96
	ds_read_b128 v[54:57], v23
	ds_read2_b64 v[58:61], v18 offset0:128 offset1:160
	ds_read2_b64 v[62:65], v18 offset0:192 offset1:224
	ds_read2_b64 v[66:69], v38 offset1:32
	ds_read2_b64 v[70:73], v38 offset0:64 offset1:96
	v_mul_u32_u24_e32 v45, 0x10001, v45
	s_waitcnt lgkmcnt(4)
	v_mul_u32_u24_sdwa v74, v54, s26 dst_sel:DWORD dst_unused:UNUSED_PAD src0_sel:WORD_0 src1_sel:DWORD
	v_pk_mul_f16 v36, v36, v45
	v_pk_mul_f16 v37, v37, v45
	;; [unrolled: 1-line block ×8, first 2 shown]
	v_mul_u32_u24_sdwa v54, v54, s26 dst_sel:DWORD dst_unused:UNUSED_PAD src0_sel:WORD_1 src1_sel:DWORD
	v_pk_fma_f16 v36, v48, v74, v36
	v_pk_fma_f16 v37, v49, v74, v37
	;; [unrolled: 1-line block ×8, first 2 shown]
	v_mul_u32_u24_sdwa v75, v55, s26 dst_sel:DWORD dst_unused:UNUSED_PAD src0_sel:WORD_0 src1_sel:DWORD
	s_waitcnt lgkmcnt(3)
	v_pk_fma_f16 v36, v60, v54, v36
	v_pk_fma_f16 v37, v61, v54, v37
	s_waitcnt lgkmcnt(2)
	v_pk_fma_f16 v33, v62, v54, v33
	v_pk_fma_f16 v32, v63, v54, v32
	;; [unrolled: 1-line block ×6, first 2 shown]
	s_waitcnt lgkmcnt(1)
	v_pk_fma_f16 v47, v68, v75, v36
	v_pk_fma_f16 v48, v66, v75, v30
	;; [unrolled: 1-line block ×4, first 2 shown]
	s_waitcnt lgkmcnt(0)
	v_pk_fma_f16 v51, v70, v75, v33
	v_pk_fma_f16 v52, v71, v75, v32
	ds_read2_b64 v[30:33], v38 offset0:128 offset1:160
	ds_read2_b64 v[34:37], v38 offset0:192 offset1:224
	v_pk_fma_f16 v45, v72, v75, v45
	v_pk_fma_f16 v46, v73, v75, v46
	v_mul_u32_u24_sdwa v53, v55, s26 dst_sel:DWORD dst_unused:UNUSED_PAD src0_sel:WORD_1 src1_sel:DWORD
	s_waitcnt lgkmcnt(1)
	v_pk_fma_f16 v82, v30, v53, v48
	v_pk_fma_f16 v83, v31, v53, v49
	v_add_u32_e32 v30, 0x1000, v18
	s_waitcnt lgkmcnt(0)
	v_pk_fma_f16 v45, v36, v53, v45
	v_pk_fma_f16 v88, v37, v53, v46
	v_add_u32_e32 v31, 0x1800, v18
	v_lshl_add_u64 v[36:37], s[6:7], 2, v[10:11]
	v_pk_fma_f16 v84, v32, v53, v47
	v_pk_fma_f16 v85, v33, v53, v50
	;; [unrolled: 1-line block ×4, first 2 shown]
	ds_read2_b64 v[32:35], v30 offset1:32
	ds_read2_b64 v[46:49], v30 offset0:64 offset1:96
	v_mul_u32_u24_sdwa v89, v56, s26 dst_sel:DWORD dst_unused:UNUSED_PAD src0_sel:WORD_0 src1_sel:DWORD
	ds_read2_b64 v[50:53], v30 offset0:128 offset1:160
	ds_read2_b64 v[58:61], v30 offset0:192 offset1:224
	v_mul_u32_u24_sdwa v90, v56, s26 dst_sel:DWORD dst_unused:UNUSED_PAD src0_sel:WORD_1 src1_sel:DWORD
	ds_read2_b64 v[62:65], v31 offset1:32
	ds_read2_b64 v[66:69], v31 offset0:64 offset1:96
	ds_read2_b64 v[70:73], v31 offset0:128 offset1:160
	;; [unrolled: 1-line block ×3, first 2 shown]
	s_waitcnt lgkmcnt(0)
	s_barrier
	v_mul_u32_u24_sdwa v91, v57, s26 dst_sel:DWORD dst_unused:UNUSED_PAD src0_sel:WORD_0 src1_sel:DWORD
	v_mul_u32_u24_sdwa v92, v57, s26 dst_sel:DWORD dst_unused:UNUSED_PAD src0_sel:WORD_1 src1_sel:DWORD
	global_load_dwordx4 v[54:57], v[36:37], off
	global_load_dwordx4 v[78:81], v[36:37], off offset:512
	v_pk_fma_f16 v34, v34, v89, v84
	v_pk_fma_f16 v35, v35, v89, v85
	;; [unrolled: 1-line block ×25, first 2 shown]
	s_waitcnt vmcnt(1)
	ds_write_b128 v25, v[54:57]
	s_waitcnt vmcnt(0)
	ds_write_b128 v26, v[78:81]
	s_waitcnt lgkmcnt(0)
	s_barrier
	ds_read_b128 v[32:35], v23 offset:16
	ds_read2_b64 v[46:49], v18 offset1:32
	v_pk_fma_f16 v54, v77, v92, v50
	ds_read2_b64 v[50:53], v18 offset0:64 offset1:96
	v_pk_fma_f16 v36, v66, v91, v36
	s_waitcnt lgkmcnt(2)
	v_mul_u32_u24_sdwa v55, v32, s26 dst_sel:DWORD dst_unused:UNUSED_PAD src0_sel:WORD_0 src1_sel:DWORD
	s_waitcnt lgkmcnt(1)
	v_pk_fma_f16 v56, v46, v55, v60
	v_pk_fma_f16 v57, v47, v55, v61
	;; [unrolled: 1-line block ×4, first 2 shown]
	ds_read2_b64 v[46:49], v18 offset0:128 offset1:160
	v_pk_fma_f16 v37, v67, v91, v37
	v_pk_fma_f16 v45, v68, v91, v45
	;; [unrolled: 1-line block ×5, first 2 shown]
	s_waitcnt lgkmcnt(1)
	v_pk_fma_f16 v36, v50, v55, v36
	v_pk_fma_f16 v37, v51, v55, v37
	;; [unrolled: 1-line block ×4, first 2 shown]
	ds_read2_b64 v[50:53], v18 offset0:192 offset1:224
	v_mul_u32_u24_sdwa v32, v32, s26 dst_sel:DWORD dst_unused:UNUSED_PAD src0_sel:WORD_1 src1_sel:DWORD
	s_waitcnt lgkmcnt(1)
	v_pk_fma_f16 v55, v46, v32, v56
	v_pk_fma_f16 v56, v47, v32, v57
	;; [unrolled: 1-line block ×4, first 2 shown]
	ds_read2_b64 v[46:49], v38 offset1:32
	s_waitcnt lgkmcnt(1)
	v_pk_fma_f16 v36, v50, v32, v36
	v_pk_fma_f16 v37, v51, v32, v37
	;; [unrolled: 1-line block ×4, first 2 shown]
	ds_read2_b64 v[50:53], v38 offset0:64 offset1:96
	v_mul_u32_u24_sdwa v54, v33, s26 dst_sel:DWORD dst_unused:UNUSED_PAD src0_sel:WORD_0 src1_sel:DWORD
	s_waitcnt lgkmcnt(1)
	v_pk_fma_f16 v55, v46, v54, v55
	v_pk_fma_f16 v56, v47, v54, v56
	;; [unrolled: 1-line block ×4, first 2 shown]
	ds_read2_b64 v[46:49], v38 offset0:128 offset1:160
	s_waitcnt lgkmcnt(1)
	v_pk_fma_f16 v36, v50, v54, v36
	v_pk_fma_f16 v37, v51, v54, v37
	;; [unrolled: 1-line block ×4, first 2 shown]
	ds_read2_b64 v[50:53], v38 offset0:192 offset1:224
	v_mul_u32_u24_sdwa v33, v33, s26 dst_sel:DWORD dst_unused:UNUSED_PAD src0_sel:WORD_1 src1_sel:DWORD
	s_waitcnt lgkmcnt(1)
	v_pk_fma_f16 v54, v46, v33, v55
	v_pk_fma_f16 v55, v47, v33, v56
	;; [unrolled: 1-line block ×4, first 2 shown]
	ds_read2_b64 v[46:49], v30 offset1:32
	s_or_b32 s6, s2, 16
	s_mul_hi_i32 s7, s6, s11
	s_mul_i32 s6, s6, s11
	s_waitcnt lgkmcnt(1)
	v_pk_fma_f16 v36, v50, v33, v36
	v_pk_fma_f16 v37, v51, v33, v37
	;; [unrolled: 1-line block ×4, first 2 shown]
	v_mul_u32_u24_sdwa v83, v34, s26 dst_sel:DWORD dst_unused:UNUSED_PAD src0_sel:WORD_0 src1_sel:DWORD
	v_lshl_add_u64 v[32:33], s[6:7], 2, v[10:11]
	ds_read2_b64 v[50:53], v30 offset0:64 offset1:96
	s_waitcnt lgkmcnt(1)
	v_pk_fma_f16 v84, v46, v83, v54
	v_pk_fma_f16 v85, v47, v83, v55
	;; [unrolled: 1-line block ×4, first 2 shown]
	ds_read2_b64 v[46:49], v30 offset0:128 offset1:160
	ds_read2_b64 v[54:57], v30 offset0:192 offset1:224
	ds_read2_b64 v[58:61], v31 offset1:32
	ds_read2_b64 v[62:65], v31 offset0:64 offset1:96
	ds_read2_b64 v[66:69], v31 offset0:128 offset1:160
	;; [unrolled: 1-line block ×3, first 2 shown]
	s_waitcnt lgkmcnt(0)
	s_barrier
	global_load_dwordx4 v[74:77], v[32:33], off
	global_load_dwordx4 v[78:81], v[32:33], off offset:512
	v_pk_fma_f16 v32, v50, v83, v36
	v_pk_fma_f16 v33, v51, v83, v37
	;; [unrolled: 1-line block ×4, first 2 shown]
	v_mul_u32_u24_sdwa v34, v34, s26 dst_sel:DWORD dst_unused:UNUSED_PAD src0_sel:WORD_1 src1_sel:DWORD
	v_pk_fma_f16 v45, v46, v34, v84
	v_pk_fma_f16 v46, v47, v34, v85
	;; [unrolled: 1-line block ×8, first 2 shown]
	v_mul_u32_u24_sdwa v37, v35, s26 dst_sel:DWORD dst_unused:UNUSED_PAD src0_sel:WORD_0 src1_sel:DWORD
	v_pk_fma_f16 v46, v59, v37, v46
	v_pk_fma_f16 v47, v60, v37, v47
	;; [unrolled: 1-line block ×5, first 2 shown]
	v_mul_u32_u24_sdwa v50, v35, s26 dst_sel:DWORD dst_unused:UNUSED_PAD src0_sel:WORD_1 src1_sel:DWORD
	v_pk_fma_f16 v45, v58, v37, v45
	v_pk_fma_f16 v36, v64, v37, v36
	;; [unrolled: 1-line block ×8, first 2 shown]
	s_waitcnt vmcnt(1)
	ds_write_b128 v25, v[74:77]
	s_waitcnt vmcnt(0)
	ds_write_b128 v26, v[78:81]
	s_waitcnt lgkmcnt(0)
	s_barrier
	ds_read_b128 v[32:35], v23 offset:32
	ds_read2_b64 v[46:49], v18 offset1:32
	v_pk_fma_f16 v45, v66, v50, v45
	v_pk_fma_f16 v36, v72, v50, v36
	;; [unrolled: 1-line block ×3, first 2 shown]
	ds_read2_b64 v[50:53], v18 offset0:64 offset1:96
	s_waitcnt lgkmcnt(2)
	v_mul_u32_u24_sdwa v59, v32, s26 dst_sel:DWORD dst_unused:UNUSED_PAD src0_sel:WORD_0 src1_sel:DWORD
	s_waitcnt lgkmcnt(1)
	v_pk_fma_f16 v45, v46, v59, v45
	v_pk_fma_f16 v54, v47, v59, v54
	;; [unrolled: 1-line block ×4, first 2 shown]
	ds_read2_b64 v[46:49], v18 offset0:128 offset1:160
	s_waitcnt lgkmcnt(1)
	v_pk_fma_f16 v57, v50, v59, v57
	v_pk_fma_f16 v58, v51, v59, v58
	;; [unrolled: 1-line block ×4, first 2 shown]
	ds_read2_b64 v[50:53], v18 offset0:192 offset1:224
	v_mul_u32_u24_sdwa v32, v32, s26 dst_sel:DWORD dst_unused:UNUSED_PAD src0_sel:WORD_1 src1_sel:DWORD
	s_waitcnt lgkmcnt(1)
	v_pk_fma_f16 v45, v46, v32, v45
	v_pk_fma_f16 v54, v47, v32, v54
	;; [unrolled: 1-line block ×4, first 2 shown]
	ds_read2_b64 v[46:49], v38 offset1:32
	s_waitcnt lgkmcnt(1)
	v_pk_fma_f16 v57, v50, v32, v57
	v_pk_fma_f16 v58, v51, v32, v58
	;; [unrolled: 1-line block ×4, first 2 shown]
	ds_read2_b64 v[50:53], v38 offset0:64 offset1:96
	v_mul_u32_u24_sdwa v37, v33, s26 dst_sel:DWORD dst_unused:UNUSED_PAD src0_sel:WORD_0 src1_sel:DWORD
	s_waitcnt lgkmcnt(1)
	v_pk_fma_f16 v45, v46, v37, v45
	v_pk_fma_f16 v54, v47, v37, v54
	;; [unrolled: 1-line block ×4, first 2 shown]
	ds_read2_b64 v[46:49], v38 offset0:128 offset1:160
	s_waitcnt lgkmcnt(1)
	v_pk_fma_f16 v57, v50, v37, v57
	v_pk_fma_f16 v58, v51, v37, v58
	;; [unrolled: 1-line block ×4, first 2 shown]
	ds_read2_b64 v[50:53], v38 offset0:192 offset1:224
	v_mul_u32_u24_sdwa v33, v33, s26 dst_sel:DWORD dst_unused:UNUSED_PAD src0_sel:WORD_1 src1_sel:DWORD
	s_waitcnt lgkmcnt(1)
	v_pk_fma_f16 v37, v46, v33, v45
	v_pk_fma_f16 v45, v47, v33, v54
	;; [unrolled: 1-line block ×4, first 2 shown]
	ds_read2_b64 v[46:49], v30 offset1:32
	s_or_b32 s6, s2, 24
	s_mul_hi_i32 s7, s6, s11
	s_mul_i32 s6, s6, s11
	s_waitcnt lgkmcnt(1)
	v_pk_fma_f16 v82, v50, v33, v57
	v_pk_fma_f16 v83, v51, v33, v58
	;; [unrolled: 1-line block ×4, first 2 shown]
	v_mul_u32_u24_sdwa v85, v34, s26 dst_sel:DWORD dst_unused:UNUSED_PAD src0_sel:WORD_0 src1_sel:DWORD
	v_lshl_add_u64 v[32:33], s[6:7], 2, v[10:11]
	ds_read2_b64 v[50:53], v30 offset0:64 offset1:96
	s_waitcnt lgkmcnt(1)
	v_pk_fma_f16 v37, v46, v85, v37
	v_pk_fma_f16 v45, v47, v85, v45
	;; [unrolled: 1-line block ×4, first 2 shown]
	ds_read2_b64 v[46:49], v30 offset0:128 offset1:160
	ds_read2_b64 v[54:57], v30 offset0:192 offset1:224
	ds_read2_b64 v[58:61], v31 offset1:32
	ds_read2_b64 v[62:65], v31 offset0:64 offset1:96
	ds_read2_b64 v[66:69], v31 offset0:128 offset1:160
	;; [unrolled: 1-line block ×3, first 2 shown]
	s_waitcnt lgkmcnt(0)
	s_barrier
	global_load_dwordx4 v[74:77], v[32:33], off
	global_load_dwordx4 v[78:81], v[32:33], off offset:512
	v_pk_fma_f16 v32, v50, v85, v82
	v_pk_fma_f16 v33, v51, v85, v83
	v_mul_u32_u24_sdwa v34, v34, s26 dst_sel:DWORD dst_unused:UNUSED_PAD src0_sel:WORD_1 src1_sel:DWORD
	v_pk_fma_f16 v36, v52, v85, v36
	v_pk_fma_f16 v50, v53, v85, v84
	;; [unrolled: 1-line block ×8, first 2 shown]
	v_mul_u32_u24_sdwa v48, v35, s26 dst_sel:DWORD dst_unused:UNUSED_PAD src0_sel:WORD_0 src1_sel:DWORD
	v_pk_fma_f16 v36, v56, v34, v36
	v_pk_fma_f16 v34, v57, v34, v50
	;; [unrolled: 1-line block ×6, first 2 shown]
	v_mul_u32_u24_sdwa v51, v35, s26 dst_sel:DWORD dst_unused:UNUSED_PAD src0_sel:WORD_1 src1_sel:DWORD
	v_pk_fma_f16 v37, v58, v48, v37
	v_pk_fma_f16 v45, v59, v48, v45
	;; [unrolled: 1-line block ×8, first 2 shown]
	s_waitcnt vmcnt(1)
	ds_write_b128 v25, v[74:77]
	s_waitcnt vmcnt(0)
	ds_write_b128 v26, v[78:81]
	s_waitcnt lgkmcnt(0)
	s_barrier
	ds_read_b128 v[32:35], v23 offset:48
	ds_read2_b64 v[46:49], v18 offset1:32
	v_pk_fma_f16 v37, v66, v51, v37
	v_pk_fma_f16 v45, v67, v51, v45
	;; [unrolled: 1-line block ×4, first 2 shown]
	ds_read2_b64 v[50:53], v18 offset0:64 offset1:96
	s_waitcnt lgkmcnt(2)
	v_mul_u32_u24_sdwa v59, v32, s26 dst_sel:DWORD dst_unused:UNUSED_PAD src0_sel:WORD_0 src1_sel:DWORD
	s_waitcnt lgkmcnt(1)
	v_pk_fma_f16 v37, v46, v59, v37
	v_pk_fma_f16 v45, v47, v59, v45
	;; [unrolled: 1-line block ×4, first 2 shown]
	ds_read2_b64 v[46:49], v18 offset0:128 offset1:160
	s_waitcnt lgkmcnt(1)
	v_pk_fma_f16 v56, v50, v59, v56
	v_pk_fma_f16 v57, v51, v59, v57
	;; [unrolled: 1-line block ×4, first 2 shown]
	ds_read2_b64 v[50:53], v18 offset0:192 offset1:224
	v_mul_u32_u24_sdwa v32, v32, s26 dst_sel:DWORD dst_unused:UNUSED_PAD src0_sel:WORD_1 src1_sel:DWORD
	s_waitcnt lgkmcnt(1)
	v_pk_fma_f16 v37, v46, v32, v37
	v_pk_fma_f16 v45, v47, v32, v45
	;; [unrolled: 1-line block ×4, first 2 shown]
	ds_read2_b64 v[46:49], v38 offset1:32
	s_waitcnt lgkmcnt(1)
	v_pk_fma_f16 v56, v50, v32, v56
	v_pk_fma_f16 v57, v51, v32, v57
	;; [unrolled: 1-line block ×4, first 2 shown]
	ds_read2_b64 v[50:53], v38 offset0:64 offset1:96
	v_mul_u32_u24_sdwa v58, v33, s26 dst_sel:DWORD dst_unused:UNUSED_PAD src0_sel:WORD_0 src1_sel:DWORD
	s_waitcnt lgkmcnt(1)
	v_pk_fma_f16 v37, v46, v58, v37
	v_pk_fma_f16 v45, v47, v58, v45
	;; [unrolled: 1-line block ×4, first 2 shown]
	ds_read2_b64 v[46:49], v38 offset0:128 offset1:160
	s_waitcnt lgkmcnt(1)
	v_pk_fma_f16 v56, v50, v58, v56
	v_pk_fma_f16 v57, v51, v58, v57
	;; [unrolled: 1-line block ×4, first 2 shown]
	ds_read2_b64 v[50:53], v38 offset0:192 offset1:224
	v_mul_u32_u24_sdwa v33, v33, s26 dst_sel:DWORD dst_unused:UNUSED_PAD src0_sel:WORD_1 src1_sel:DWORD
	s_waitcnt lgkmcnt(1)
	v_pk_fma_f16 v37, v46, v33, v37
	v_pk_fma_f16 v45, v47, v33, v45
	;; [unrolled: 1-line block ×4, first 2 shown]
	ds_read2_b64 v[46:49], v30 offset1:32
	s_or_b32 s6, s2, 32
	s_mul_hi_i32 s7, s6, s11
	s_mul_i32 s6, s6, s11
	s_waitcnt lgkmcnt(1)
	v_pk_fma_f16 v82, v50, v33, v56
	v_pk_fma_f16 v83, v51, v33, v57
	;; [unrolled: 1-line block ×4, first 2 shown]
	v_mul_u32_u24_sdwa v85, v34, s26 dst_sel:DWORD dst_unused:UNUSED_PAD src0_sel:WORD_0 src1_sel:DWORD
	v_lshl_add_u64 v[32:33], s[6:7], 2, v[10:11]
	ds_read2_b64 v[50:53], v30 offset0:64 offset1:96
	s_waitcnt lgkmcnt(1)
	v_pk_fma_f16 v37, v46, v85, v37
	v_pk_fma_f16 v45, v47, v85, v45
	;; [unrolled: 1-line block ×4, first 2 shown]
	ds_read2_b64 v[46:49], v30 offset0:128 offset1:160
	ds_read2_b64 v[54:57], v30 offset0:192 offset1:224
	ds_read2_b64 v[58:61], v31 offset1:32
	ds_read2_b64 v[62:65], v31 offset0:64 offset1:96
	ds_read2_b64 v[66:69], v31 offset0:128 offset1:160
	;; [unrolled: 1-line block ×3, first 2 shown]
	s_waitcnt lgkmcnt(0)
	s_barrier
	global_load_dwordx4 v[74:77], v[32:33], off
	global_load_dwordx4 v[78:81], v[32:33], off offset:512
	v_pk_fma_f16 v32, v50, v85, v82
	v_pk_fma_f16 v33, v51, v85, v83
	v_mul_u32_u24_sdwa v34, v34, s26 dst_sel:DWORD dst_unused:UNUSED_PAD src0_sel:WORD_1 src1_sel:DWORD
	v_pk_fma_f16 v36, v52, v85, v36
	v_pk_fma_f16 v50, v53, v85, v84
	;; [unrolled: 1-line block ×8, first 2 shown]
	v_mul_u32_u24_sdwa v48, v35, s26 dst_sel:DWORD dst_unused:UNUSED_PAD src0_sel:WORD_0 src1_sel:DWORD
	v_pk_fma_f16 v36, v56, v34, v36
	v_pk_fma_f16 v34, v57, v34, v50
	;; [unrolled: 1-line block ×6, first 2 shown]
	v_mul_u32_u24_sdwa v51, v35, s26 dst_sel:DWORD dst_unused:UNUSED_PAD src0_sel:WORD_1 src1_sel:DWORD
	v_pk_fma_f16 v37, v58, v48, v37
	v_pk_fma_f16 v45, v59, v48, v45
	;; [unrolled: 1-line block ×8, first 2 shown]
	s_waitcnt vmcnt(1)
	ds_write_b128 v25, v[74:77]
	s_waitcnt vmcnt(0)
	ds_write_b128 v26, v[78:81]
	s_waitcnt lgkmcnt(0)
	s_barrier
	ds_read_b128 v[32:35], v23 offset:64
	ds_read2_b64 v[46:49], v18 offset1:32
	v_pk_fma_f16 v37, v66, v51, v37
	v_pk_fma_f16 v45, v67, v51, v45
	;; [unrolled: 1-line block ×4, first 2 shown]
	ds_read2_b64 v[50:53], v18 offset0:64 offset1:96
	s_waitcnt lgkmcnt(2)
	v_mul_u32_u24_sdwa v59, v32, s26 dst_sel:DWORD dst_unused:UNUSED_PAD src0_sel:WORD_0 src1_sel:DWORD
	s_waitcnt lgkmcnt(1)
	v_pk_fma_f16 v37, v46, v59, v37
	v_pk_fma_f16 v45, v47, v59, v45
	;; [unrolled: 1-line block ×4, first 2 shown]
	ds_read2_b64 v[46:49], v18 offset0:128 offset1:160
	s_waitcnt lgkmcnt(1)
	v_pk_fma_f16 v56, v50, v59, v56
	v_pk_fma_f16 v57, v51, v59, v57
	;; [unrolled: 1-line block ×4, first 2 shown]
	ds_read2_b64 v[50:53], v18 offset0:192 offset1:224
	v_mul_u32_u24_sdwa v32, v32, s26 dst_sel:DWORD dst_unused:UNUSED_PAD src0_sel:WORD_1 src1_sel:DWORD
	s_waitcnt lgkmcnt(1)
	v_pk_fma_f16 v37, v46, v32, v37
	v_pk_fma_f16 v45, v47, v32, v45
	;; [unrolled: 1-line block ×4, first 2 shown]
	ds_read2_b64 v[46:49], v38 offset1:32
	s_waitcnt lgkmcnt(1)
	v_pk_fma_f16 v56, v50, v32, v56
	v_pk_fma_f16 v57, v51, v32, v57
	;; [unrolled: 1-line block ×4, first 2 shown]
	ds_read2_b64 v[50:53], v38 offset0:64 offset1:96
	v_mul_u32_u24_sdwa v58, v33, s26 dst_sel:DWORD dst_unused:UNUSED_PAD src0_sel:WORD_0 src1_sel:DWORD
	s_waitcnt lgkmcnt(1)
	v_pk_fma_f16 v37, v46, v58, v37
	v_pk_fma_f16 v45, v47, v58, v45
	;; [unrolled: 1-line block ×4, first 2 shown]
	ds_read2_b64 v[46:49], v38 offset0:128 offset1:160
	s_waitcnt lgkmcnt(1)
	v_pk_fma_f16 v56, v50, v58, v56
	v_pk_fma_f16 v57, v51, v58, v57
	;; [unrolled: 1-line block ×4, first 2 shown]
	ds_read2_b64 v[50:53], v38 offset0:192 offset1:224
	v_mul_u32_u24_sdwa v33, v33, s26 dst_sel:DWORD dst_unused:UNUSED_PAD src0_sel:WORD_1 src1_sel:DWORD
	s_waitcnt lgkmcnt(1)
	v_pk_fma_f16 v37, v46, v33, v37
	v_pk_fma_f16 v45, v47, v33, v45
	;; [unrolled: 1-line block ×4, first 2 shown]
	ds_read2_b64 v[46:49], v30 offset1:32
	s_or_b32 s6, s2, 40
	s_mul_hi_i32 s7, s6, s11
	s_mul_i32 s6, s6, s11
	s_waitcnt lgkmcnt(1)
	v_pk_fma_f16 v82, v50, v33, v56
	v_pk_fma_f16 v83, v51, v33, v57
	;; [unrolled: 1-line block ×4, first 2 shown]
	v_mul_u32_u24_sdwa v85, v34, s26 dst_sel:DWORD dst_unused:UNUSED_PAD src0_sel:WORD_0 src1_sel:DWORD
	v_lshl_add_u64 v[32:33], s[6:7], 2, v[10:11]
	ds_read2_b64 v[50:53], v30 offset0:64 offset1:96
	s_waitcnt lgkmcnt(1)
	v_pk_fma_f16 v37, v46, v85, v37
	v_pk_fma_f16 v45, v47, v85, v45
	;; [unrolled: 1-line block ×4, first 2 shown]
	ds_read2_b64 v[46:49], v30 offset0:128 offset1:160
	ds_read2_b64 v[54:57], v30 offset0:192 offset1:224
	ds_read2_b64 v[58:61], v31 offset1:32
	ds_read2_b64 v[62:65], v31 offset0:64 offset1:96
	ds_read2_b64 v[66:69], v31 offset0:128 offset1:160
	;; [unrolled: 1-line block ×3, first 2 shown]
	s_waitcnt lgkmcnt(0)
	s_barrier
	global_load_dwordx4 v[74:77], v[32:33], off
	global_load_dwordx4 v[78:81], v[32:33], off offset:512
	v_pk_fma_f16 v32, v50, v85, v82
	v_pk_fma_f16 v33, v51, v85, v83
	v_mul_u32_u24_sdwa v34, v34, s26 dst_sel:DWORD dst_unused:UNUSED_PAD src0_sel:WORD_1 src1_sel:DWORD
	v_pk_fma_f16 v36, v52, v85, v36
	v_pk_fma_f16 v50, v53, v85, v84
	;; [unrolled: 1-line block ×8, first 2 shown]
	v_mul_u32_u24_sdwa v48, v35, s26 dst_sel:DWORD dst_unused:UNUSED_PAD src0_sel:WORD_0 src1_sel:DWORD
	v_pk_fma_f16 v36, v56, v34, v36
	v_pk_fma_f16 v34, v57, v34, v50
	;; [unrolled: 1-line block ×6, first 2 shown]
	v_mul_u32_u24_sdwa v51, v35, s26 dst_sel:DWORD dst_unused:UNUSED_PAD src0_sel:WORD_1 src1_sel:DWORD
	v_pk_fma_f16 v37, v58, v48, v37
	v_pk_fma_f16 v45, v59, v48, v45
	v_pk_fma_f16 v36, v64, v48, v36
	v_pk_fma_f16 v50, v65, v48, v34
	v_pk_fma_f16 v54, v68, v51, v46
	v_pk_fma_f16 v55, v69, v51, v47
	v_pk_fma_f16 v56, v70, v51, v32
	v_pk_fma_f16 v57, v71, v51, v33
	s_waitcnt vmcnt(1)
	ds_write_b128 v25, v[74:77]
	s_waitcnt vmcnt(0)
	ds_write_b128 v26, v[78:81]
	s_waitcnt lgkmcnt(0)
	s_barrier
	ds_read_b128 v[32:35], v23 offset:80
	ds_read2_b64 v[46:49], v18 offset1:32
	v_pk_fma_f16 v37, v66, v51, v37
	v_pk_fma_f16 v45, v67, v51, v45
	;; [unrolled: 1-line block ×4, first 2 shown]
	ds_read2_b64 v[50:53], v18 offset0:64 offset1:96
	s_waitcnt lgkmcnt(2)
	v_mul_u32_u24_sdwa v59, v32, s26 dst_sel:DWORD dst_unused:UNUSED_PAD src0_sel:WORD_0 src1_sel:DWORD
	s_waitcnt lgkmcnt(1)
	v_pk_fma_f16 v37, v46, v59, v37
	v_pk_fma_f16 v45, v47, v59, v45
	;; [unrolled: 1-line block ×4, first 2 shown]
	ds_read2_b64 v[46:49], v18 offset0:128 offset1:160
	s_waitcnt lgkmcnt(1)
	v_pk_fma_f16 v56, v50, v59, v56
	v_pk_fma_f16 v57, v51, v59, v57
	;; [unrolled: 1-line block ×4, first 2 shown]
	ds_read2_b64 v[50:53], v18 offset0:192 offset1:224
	v_mul_u32_u24_sdwa v32, v32, s26 dst_sel:DWORD dst_unused:UNUSED_PAD src0_sel:WORD_1 src1_sel:DWORD
	s_waitcnt lgkmcnt(1)
	v_pk_fma_f16 v37, v46, v32, v37
	v_pk_fma_f16 v45, v47, v32, v45
	;; [unrolled: 1-line block ×4, first 2 shown]
	ds_read2_b64 v[46:49], v38 offset1:32
	s_waitcnt lgkmcnt(1)
	v_pk_fma_f16 v56, v50, v32, v56
	v_pk_fma_f16 v57, v51, v32, v57
	;; [unrolled: 1-line block ×4, first 2 shown]
	ds_read2_b64 v[50:53], v38 offset0:64 offset1:96
	v_mul_u32_u24_sdwa v58, v33, s26 dst_sel:DWORD dst_unused:UNUSED_PAD src0_sel:WORD_0 src1_sel:DWORD
	s_waitcnt lgkmcnt(1)
	v_pk_fma_f16 v37, v46, v58, v37
	v_pk_fma_f16 v45, v47, v58, v45
	;; [unrolled: 1-line block ×4, first 2 shown]
	ds_read2_b64 v[46:49], v38 offset0:128 offset1:160
	s_waitcnt lgkmcnt(1)
	v_pk_fma_f16 v56, v50, v58, v56
	v_pk_fma_f16 v57, v51, v58, v57
	v_pk_fma_f16 v36, v52, v58, v36
	v_pk_fma_f16 v32, v53, v58, v32
	ds_read2_b64 v[50:53], v38 offset0:192 offset1:224
	v_mul_u32_u24_sdwa v33, v33, s26 dst_sel:DWORD dst_unused:UNUSED_PAD src0_sel:WORD_1 src1_sel:DWORD
	s_waitcnt lgkmcnt(1)
	v_pk_fma_f16 v37, v46, v33, v37
	v_pk_fma_f16 v45, v47, v33, v45
	;; [unrolled: 1-line block ×4, first 2 shown]
	ds_read2_b64 v[46:49], v30 offset1:32
	s_or_b32 s6, s2, 48
	s_mul_hi_i32 s7, s6, s11
	s_mul_i32 s6, s6, s11
	s_waitcnt lgkmcnt(1)
	v_pk_fma_f16 v82, v50, v33, v56
	v_pk_fma_f16 v83, v51, v33, v57
	v_pk_fma_f16 v36, v52, v33, v36
	v_pk_fma_f16 v84, v53, v33, v32
	v_mul_u32_u24_sdwa v85, v34, s26 dst_sel:DWORD dst_unused:UNUSED_PAD src0_sel:WORD_0 src1_sel:DWORD
	v_lshl_add_u64 v[32:33], s[6:7], 2, v[10:11]
	ds_read2_b64 v[50:53], v30 offset0:64 offset1:96
	s_waitcnt lgkmcnt(1)
	v_pk_fma_f16 v37, v46, v85, v37
	v_pk_fma_f16 v45, v47, v85, v45
	;; [unrolled: 1-line block ×4, first 2 shown]
	ds_read2_b64 v[46:49], v30 offset0:128 offset1:160
	ds_read2_b64 v[54:57], v30 offset0:192 offset1:224
	ds_read2_b64 v[58:61], v31 offset1:32
	ds_read2_b64 v[62:65], v31 offset0:64 offset1:96
	ds_read2_b64 v[66:69], v31 offset0:128 offset1:160
	;; [unrolled: 1-line block ×3, first 2 shown]
	s_waitcnt lgkmcnt(0)
	s_barrier
	global_load_dwordx4 v[74:77], v[32:33], off
	global_load_dwordx4 v[78:81], v[32:33], off offset:512
	v_pk_fma_f16 v32, v50, v85, v82
	v_pk_fma_f16 v33, v51, v85, v83
	v_mul_u32_u24_sdwa v34, v34, s26 dst_sel:DWORD dst_unused:UNUSED_PAD src0_sel:WORD_1 src1_sel:DWORD
	v_pk_fma_f16 v36, v52, v85, v36
	v_pk_fma_f16 v50, v53, v85, v84
	;; [unrolled: 1-line block ×8, first 2 shown]
	v_mul_u32_u24_sdwa v48, v35, s26 dst_sel:DWORD dst_unused:UNUSED_PAD src0_sel:WORD_0 src1_sel:DWORD
	v_pk_fma_f16 v36, v56, v34, v36
	v_pk_fma_f16 v34, v57, v34, v50
	;; [unrolled: 1-line block ×6, first 2 shown]
	v_mul_u32_u24_sdwa v51, v35, s26 dst_sel:DWORD dst_unused:UNUSED_PAD src0_sel:WORD_1 src1_sel:DWORD
	v_pk_fma_f16 v37, v58, v48, v37
	v_pk_fma_f16 v45, v59, v48, v45
	v_pk_fma_f16 v36, v64, v48, v36
	v_pk_fma_f16 v50, v65, v48, v34
	v_pk_fma_f16 v54, v68, v51, v46
	v_pk_fma_f16 v55, v69, v51, v47
	v_pk_fma_f16 v56, v70, v51, v32
	v_pk_fma_f16 v57, v71, v51, v33
	s_waitcnt vmcnt(1)
	ds_write_b128 v25, v[74:77]
	s_waitcnt vmcnt(0)
	ds_write_b128 v26, v[78:81]
	s_waitcnt lgkmcnt(0)
	s_barrier
	ds_read_b128 v[32:35], v23 offset:96
	ds_read2_b64 v[46:49], v18 offset1:32
	v_pk_fma_f16 v37, v66, v51, v37
	v_pk_fma_f16 v45, v67, v51, v45
	;; [unrolled: 1-line block ×4, first 2 shown]
	ds_read2_b64 v[50:53], v18 offset0:64 offset1:96
	s_waitcnt lgkmcnt(2)
	v_mul_u32_u24_sdwa v59, v32, s26 dst_sel:DWORD dst_unused:UNUSED_PAD src0_sel:WORD_0 src1_sel:DWORD
	s_waitcnt lgkmcnt(1)
	v_pk_fma_f16 v37, v46, v59, v37
	v_pk_fma_f16 v45, v47, v59, v45
	;; [unrolled: 1-line block ×4, first 2 shown]
	ds_read2_b64 v[46:49], v18 offset0:128 offset1:160
	s_waitcnt lgkmcnt(1)
	v_pk_fma_f16 v56, v50, v59, v56
	v_pk_fma_f16 v57, v51, v59, v57
	;; [unrolled: 1-line block ×4, first 2 shown]
	ds_read2_b64 v[50:53], v18 offset0:192 offset1:224
	v_mul_u32_u24_sdwa v32, v32, s26 dst_sel:DWORD dst_unused:UNUSED_PAD src0_sel:WORD_1 src1_sel:DWORD
	s_waitcnt lgkmcnt(1)
	v_pk_fma_f16 v37, v46, v32, v37
	v_pk_fma_f16 v45, v47, v32, v45
	;; [unrolled: 1-line block ×4, first 2 shown]
	ds_read2_b64 v[46:49], v38 offset1:32
	s_waitcnt lgkmcnt(1)
	v_pk_fma_f16 v56, v50, v32, v56
	v_pk_fma_f16 v57, v51, v32, v57
	;; [unrolled: 1-line block ×4, first 2 shown]
	ds_read2_b64 v[50:53], v38 offset0:64 offset1:96
	v_mul_u32_u24_sdwa v58, v33, s26 dst_sel:DWORD dst_unused:UNUSED_PAD src0_sel:WORD_0 src1_sel:DWORD
	s_waitcnt lgkmcnt(1)
	v_pk_fma_f16 v37, v46, v58, v37
	v_pk_fma_f16 v45, v47, v58, v45
	;; [unrolled: 1-line block ×4, first 2 shown]
	ds_read2_b64 v[46:49], v38 offset0:128 offset1:160
	s_waitcnt lgkmcnt(1)
	v_pk_fma_f16 v56, v50, v58, v56
	v_pk_fma_f16 v57, v51, v58, v57
	;; [unrolled: 1-line block ×4, first 2 shown]
	ds_read2_b64 v[50:53], v38 offset0:192 offset1:224
	v_mul_u32_u24_sdwa v33, v33, s26 dst_sel:DWORD dst_unused:UNUSED_PAD src0_sel:WORD_1 src1_sel:DWORD
	s_waitcnt lgkmcnt(1)
	v_pk_fma_f16 v37, v46, v33, v37
	v_pk_fma_f16 v45, v47, v33, v45
	;; [unrolled: 1-line block ×4, first 2 shown]
	ds_read2_b64 v[46:49], v30 offset1:32
	s_or_b32 s6, s2, 56
	s_mul_hi_i32 s7, s6, s11
	s_mul_i32 s6, s6, s11
	s_waitcnt lgkmcnt(1)
	v_pk_fma_f16 v82, v50, v33, v56
	v_pk_fma_f16 v83, v51, v33, v57
	v_pk_fma_f16 v36, v52, v33, v36
	v_pk_fma_f16 v84, v53, v33, v32
	v_mul_u32_u24_sdwa v85, v34, s26 dst_sel:DWORD dst_unused:UNUSED_PAD src0_sel:WORD_0 src1_sel:DWORD
	v_lshl_add_u64 v[32:33], s[6:7], 2, v[10:11]
	ds_read2_b64 v[50:53], v30 offset0:64 offset1:96
	s_waitcnt lgkmcnt(1)
	v_pk_fma_f16 v37, v46, v85, v37
	v_pk_fma_f16 v45, v47, v85, v45
	;; [unrolled: 1-line block ×4, first 2 shown]
	ds_read2_b64 v[46:49], v30 offset0:128 offset1:160
	ds_read2_b64 v[54:57], v30 offset0:192 offset1:224
	ds_read2_b64 v[58:61], v31 offset1:32
	ds_read2_b64 v[62:65], v31 offset0:64 offset1:96
	ds_read2_b64 v[66:69], v31 offset0:128 offset1:160
	;; [unrolled: 1-line block ×3, first 2 shown]
	s_waitcnt lgkmcnt(0)
	s_barrier
	global_load_dwordx4 v[74:77], v[32:33], off
	global_load_dwordx4 v[78:81], v[32:33], off offset:512
	v_pk_fma_f16 v32, v50, v85, v82
	v_pk_fma_f16 v33, v51, v85, v83
	;; [unrolled: 1-line block ×4, first 2 shown]
	v_mul_u32_u24_sdwa v34, v34, s26 dst_sel:DWORD dst_unused:UNUSED_PAD src0_sel:WORD_1 src1_sel:DWORD
	v_add_f32_e32 v42, v42, v43
	v_pk_fma_f16 v37, v46, v34, v37
	v_pk_fma_f16 v45, v47, v34, v45
	;; [unrolled: 1-line block ×8, first 2 shown]
	v_fmac_f32_e32 v42, v29, v44
	v_mul_u32_u24_sdwa v29, v35, s26 dst_sel:DWORD dst_unused:UNUSED_PAD src0_sel:WORD_0 src1_sel:DWORD
	v_pk_fma_f16 v37, v58, v29, v37
	v_pk_fma_f16 v43, v59, v29, v45
	;; [unrolled: 1-line block ×8, first 2 shown]
	v_mul_u32_u24_sdwa v48, v35, s26 dst_sel:DWORD dst_unused:UNUSED_PAD src0_sel:WORD_1 src1_sel:DWORD
	v_pk_fma_f16 v37, v66, v48, v37
	v_pk_fma_f16 v43, v67, v48, v43
	;; [unrolled: 1-line block ×6, first 2 shown]
	s_waitcnt vmcnt(1)
	ds_write_b128 v25, v[74:77]
	s_waitcnt vmcnt(0)
	ds_write_b128 v26, v[78:81]
	s_waitcnt lgkmcnt(0)
	s_barrier
	ds_read_b128 v[32:35], v23 offset:112
	ds_read2_b64 v[44:47], v18 offset1:32
	v_pk_fma_f16 v36, v72, v48, v36
	v_pk_fma_f16 v29, v73, v48, v29
	ds_read2_b64 v[48:51], v18 offset0:64 offset1:96
	s_waitcnt lgkmcnt(2)
	v_mul_u32_u24_sdwa v56, v32, s26 dst_sel:DWORD dst_unused:UNUSED_PAD src0_sel:WORD_0 src1_sel:DWORD
	s_waitcnt lgkmcnt(1)
	v_pk_fma_f16 v37, v44, v56, v37
	v_pk_fma_f16 v43, v45, v56, v43
	v_pk_fma_f16 v52, v46, v56, v52
	v_pk_fma_f16 v53, v47, v56, v53
	s_waitcnt lgkmcnt(0)
	v_pk_fma_f16 v54, v48, v56, v54
	v_pk_fma_f16 v55, v49, v56, v55
	ds_read2_b64 v[44:47], v18 offset0:128 offset1:160
	v_pk_fma_f16 v36, v50, v56, v36
	v_pk_fma_f16 v29, v51, v56, v29
	ds_read2_b64 v[48:51], v18 offset0:192 offset1:224
	v_mul_u32_u24_sdwa v32, v32, s26 dst_sel:DWORD dst_unused:UNUSED_PAD src0_sel:WORD_1 src1_sel:DWORD
	s_waitcnt lgkmcnt(1)
	v_pk_fma_f16 v37, v44, v32, v37
	v_pk_fma_f16 v43, v45, v32, v43
	v_pk_fma_f16 v52, v46, v32, v52
	v_pk_fma_f16 v53, v47, v32, v53
	s_waitcnt lgkmcnt(0)
	v_pk_fma_f16 v54, v48, v32, v54
	v_pk_fma_f16 v55, v49, v32, v55
	ds_read2_b64 v[44:47], v38 offset1:32
	v_pk_fma_f16 v36, v50, v32, v36
	v_pk_fma_f16 v29, v51, v32, v29
	ds_read2_b64 v[48:51], v38 offset0:64 offset1:96
	v_mul_u32_u24_sdwa v32, v33, s26 dst_sel:DWORD dst_unused:UNUSED_PAD src0_sel:WORD_0 src1_sel:DWORD
	s_waitcnt lgkmcnt(1)
	v_pk_fma_f16 v37, v44, v32, v37
	v_pk_fma_f16 v43, v45, v32, v43
	v_pk_fma_f16 v52, v46, v32, v52
	v_pk_fma_f16 v53, v47, v32, v53
	s_waitcnt lgkmcnt(0)
	v_pk_fma_f16 v54, v48, v32, v54
	v_pk_fma_f16 v55, v49, v32, v55
	ds_read2_b64 v[44:47], v38 offset0:128 offset1:160
	v_pk_fma_f16 v36, v50, v32, v36
	v_pk_fma_f16 v29, v51, v32, v29
	ds_read2_b64 v[48:51], v38 offset0:192 offset1:224
	v_mul_u32_u24_sdwa v32, v33, s26 dst_sel:DWORD dst_unused:UNUSED_PAD src0_sel:WORD_1 src1_sel:DWORD
	s_waitcnt lgkmcnt(1)
	v_pk_fma_f16 v33, v44, v32, v37
	v_pk_fma_f16 v37, v45, v32, v43
	v_pk_fma_f16 v38, v46, v32, v52
	v_pk_fma_f16 v43, v47, v32, v53
	s_waitcnt lgkmcnt(0)
	v_pk_fma_f16 v52, v48, v32, v54
	v_pk_fma_f16 v53, v49, v32, v55
	ds_read2_b64 v[44:47], v30 offset1:32
	v_pk_fma_f16 v36, v50, v32, v36
	v_pk_fma_f16 v29, v51, v32, v29
	ds_read2_b64 v[48:51], v30 offset0:64 offset1:96
	;; [unrolled: 26-line block ×3, first 2 shown]
	v_mul_u32_u24_sdwa v30, v35, s26 dst_sel:DWORD dst_unused:UNUSED_PAD src0_sel:WORD_0 src1_sel:DWORD
	s_waitcnt lgkmcnt(1)
	v_pk_fma_f16 v32, v44, v30, v32
	v_pk_fma_f16 v33, v45, v30, v33
	;; [unrolled: 1-line block ×4, first 2 shown]
	s_waitcnt lgkmcnt(0)
	v_pk_fma_f16 v38, v48, v30, v38
	v_pk_fma_f16 v43, v49, v30, v43
	ds_read2_b64 v[44:47], v31 offset0:128 offset1:160
	v_pk_fma_f16 v53, v50, v30, v36
	v_pk_fma_f16 v29, v51, v30, v29
	ds_read2_b64 v[48:51], v31 offset0:192 offset1:224
	s_waitcnt lgkmcnt(0)
	s_barrier
	s_load_dword s6, s[4:5], 0x4
	v_mul_u32_u24_sdwa v30, v35, s26 dst_sel:DWORD dst_unused:UNUSED_PAD src0_sel:WORD_1 src1_sel:DWORD
	v_pk_fma_f16 v35, v44, v30, v32
	v_pk_fma_f16 v34, v45, v30, v33
	;; [unrolled: 1-line block ×3, first 2 shown]
	s_waitcnt lgkmcnt(0)
	s_lshl_b32 s6, s6, 6
	s_add_i32 s2, s6, s2
	v_pk_fma_f16 v37, v47, v30, v37
	v_pk_fma_f16 v33, v48, v30, v38
	;; [unrolled: 1-line block ×4, first 2 shown]
	s_cmp_ge_i32 s2, s28
	v_pk_fma_f16 v30, v51, v30, v29
	s_cbranch_scc1 .LBB28_7
; %bb.20:                               ;   in Loop: Header=BB28_11 Depth=1
	v_mov_b32_e32 v38, v12
	v_mov_b32_e32 v29, v42
	s_branch .LBB28_11
.LBB28_21:
	v_mov_b32_e32 v5, v13
.LBB28_22:
	s_load_dword s2, s[0:1], 0xd4
	v_div_scale_f32 v1, s[0:1], v5, v5, 1.0
	v_rcp_f32_e32 v4, v1
	s_mul_i32 s33, s33, s22
	s_waitcnt lgkmcnt(0)
	s_cmp_lg_u32 s2, 1
	s_cselect_b64 s[0:1], -1, 0
	v_fma_f32 v6, -v1, v4, 1.0
	v_fmac_f32_e32 v4, v6, v4
	v_div_scale_f32 v6, vcc, 1.0, v5, 1.0
	v_mul_f32_e32 v7, v6, v4
	v_fma_f32 v8, -v1, v7, v6
	v_fmac_f32_e32 v7, v8, v4
	v_fma_f32 v1, -v1, v7, v6
	v_div_fmas_f32 v1, v1, v4, v7
	v_div_fixup_f32 v1, v1, v5, 1.0
	v_cndmask_b32_e64 v6, v1, 1.0, s[0:1]
	v_add_u32_e32 v1, s33, v3
	v_mad_u64_u32 v[0:1], s[4:5], v1, s23, v[0:1]
	v_cmp_eq_u32_e32 vcc, 0, v2
	v_cvt_f32_f16_sdwa v3, v35 dst_sel:DWORD dst_unused:UNUSED_PAD src0_sel:WORD_1
	v_cvt_f32_f16_e32 v2, v35
	v_cvt_f32_f16_sdwa v5, v34 dst_sel:DWORD dst_unused:UNUSED_PAD src0_sel:WORD_1
	v_cvt_f32_f16_e32 v4, v34
	v_mul_lo_u32 v0, s2, v0
	v_add_u32_e32 v0, s3, v0
	v_lshl_add_u32 v8, v0, 9, v17
	v_mov_b32_e32 v9, 0
	v_lshl_add_u64 v[10:11], v[8:9], 2, s[16:17]
	v_pk_mul_f32 v[2:3], v[6:7], v[2:3] op_sel_hi:[0,1]
	v_pk_mul_f32 v[4:5], v[6:7], v[4:5] op_sel_hi:[0,1]
	global_store_dwordx4 v[10:11], v[2:5], off
	v_cvt_f32_f16_sdwa v11, v37 dst_sel:DWORD dst_unused:UNUSED_PAD src0_sel:WORD_1
	v_cvt_f32_f16_e32 v10, v37
	v_cvt_f32_f16_sdwa v5, v36 dst_sel:DWORD dst_unused:UNUSED_PAD src0_sel:WORD_1
	v_cvt_f32_f16_e32 v4, v36
	v_add_u32_e32 v2, 0x80, v8
	v_mov_b32_e32 v3, v9
	v_lshl_add_u64 v[14:15], v[2:3], 2, s[16:17]
	v_pk_mul_f32 v[2:3], v[6:7], v[4:5] op_sel_hi:[0,1]
	v_pk_mul_f32 v[4:5], v[6:7], v[10:11] op_sel_hi:[0,1]
	global_store_dwordx4 v[14:15], v[2:5], off
	v_cvt_f32_f16_sdwa v11, v32 dst_sel:DWORD dst_unused:UNUSED_PAD src0_sel:WORD_1
	v_cvt_f32_f16_e32 v10, v32
	v_cvt_f32_f16_sdwa v5, v33 dst_sel:DWORD dst_unused:UNUSED_PAD src0_sel:WORD_1
	v_cvt_f32_f16_e32 v4, v33
	v_add_u32_e32 v2, 0x100, v8
	v_mov_b32_e32 v3, v9
	v_lshl_add_u64 v[14:15], v[2:3], 2, s[16:17]
	v_pk_mul_f32 v[2:3], v[6:7], v[4:5] op_sel_hi:[0,1]
	v_pk_mul_f32 v[4:5], v[6:7], v[10:11] op_sel_hi:[0,1]
	global_store_dwordx4 v[14:15], v[2:5], off
	v_add_u32_e32 v8, 0x180, v8
	v_lshl_add_u64 v[8:9], v[8:9], 2, s[16:17]
	v_cvt_f32_f16_sdwa v3, v31 dst_sel:DWORD dst_unused:UNUSED_PAD src0_sel:WORD_1
	v_cvt_f32_f16_e32 v2, v31
	v_cvt_f32_f16_sdwa v5, v30 dst_sel:DWORD dst_unused:UNUSED_PAD src0_sel:WORD_1
	v_cvt_f32_f16_e32 v4, v30
	s_and_b64 s[0:1], vcc, s[0:1]
	v_pk_mul_f32 v[2:3], v[6:7], v[2:3] op_sel_hi:[0,1]
	v_pk_mul_f32 v[4:5], v[6:7], v[4:5] op_sel_hi:[0,1]
	global_store_dwordx4 v[8:9], v[2:5], off
	s_and_saveexec_b64 s[2:3], s[0:1]
	s_cbranch_execz .LBB28_24
; %bb.23:
	v_mov_b32_e32 v2, s18
	v_mov_b32_e32 v3, s19
	v_ashrrev_i32_e32 v1, 31, v0
	v_lshl_add_u64 v[0:1], v[0:1], 3, v[2:3]
	global_store_dwordx2 v[0:1], v[12:13], off
.LBB28_24:
	s_endpgm
	.section	.rodata,"a",@progbits
	.p2align	6, 0x0
	.amdhsa_kernel _ZL15flash_attn_tileILi512ELi512ELi1ELi8ELb1EEvPKcS1_S1_S1_S1_PKiPfP15HIP_vector_typeIfLj2EEffffjfiS5_IjLj3EEiiiiiiiiiiiliiliiiiil
		.amdhsa_group_segment_fixed_size 18432
		.amdhsa_private_segment_fixed_size 0
		.amdhsa_kernarg_size 464
		.amdhsa_user_sgpr_count 2
		.amdhsa_user_sgpr_dispatch_ptr 0
		.amdhsa_user_sgpr_queue_ptr 0
		.amdhsa_user_sgpr_kernarg_segment_ptr 1
		.amdhsa_user_sgpr_dispatch_id 0
		.amdhsa_user_sgpr_kernarg_preload_length 0
		.amdhsa_user_sgpr_kernarg_preload_offset 0
		.amdhsa_user_sgpr_private_segment_size 0
		.amdhsa_uses_dynamic_stack 0
		.amdhsa_enable_private_segment 0
		.amdhsa_system_sgpr_workgroup_id_x 1
		.amdhsa_system_sgpr_workgroup_id_y 1
		.amdhsa_system_sgpr_workgroup_id_z 1
		.amdhsa_system_sgpr_workgroup_info 0
		.amdhsa_system_vgpr_workitem_id 1
		.amdhsa_next_free_vgpr 93
		.amdhsa_next_free_sgpr 40
		.amdhsa_accum_offset 96
		.amdhsa_reserve_vcc 1
		.amdhsa_float_round_mode_32 0
		.amdhsa_float_round_mode_16_64 0
		.amdhsa_float_denorm_mode_32 3
		.amdhsa_float_denorm_mode_16_64 3
		.amdhsa_dx10_clamp 1
		.amdhsa_ieee_mode 1
		.amdhsa_fp16_overflow 0
		.amdhsa_tg_split 0
		.amdhsa_exception_fp_ieee_invalid_op 0
		.amdhsa_exception_fp_denorm_src 0
		.amdhsa_exception_fp_ieee_div_zero 0
		.amdhsa_exception_fp_ieee_overflow 0
		.amdhsa_exception_fp_ieee_underflow 0
		.amdhsa_exception_fp_ieee_inexact 0
		.amdhsa_exception_int_div_zero 0
	.end_amdhsa_kernel
	.section	.text._ZL15flash_attn_tileILi512ELi512ELi1ELi8ELb1EEvPKcS1_S1_S1_S1_PKiPfP15HIP_vector_typeIfLj2EEffffjfiS5_IjLj3EEiiiiiiiiiiiliiliiiiil,"axG",@progbits,_ZL15flash_attn_tileILi512ELi512ELi1ELi8ELb1EEvPKcS1_S1_S1_S1_PKiPfP15HIP_vector_typeIfLj2EEffffjfiS5_IjLj3EEiiiiiiiiiiiliiliiiiil,comdat
.Lfunc_end28:
	.size	_ZL15flash_attn_tileILi512ELi512ELi1ELi8ELb1EEvPKcS1_S1_S1_S1_PKiPfP15HIP_vector_typeIfLj2EEffffjfiS5_IjLj3EEiiiiiiiiiiiliiliiiiil, .Lfunc_end28-_ZL15flash_attn_tileILi512ELi512ELi1ELi8ELb1EEvPKcS1_S1_S1_S1_PKiPfP15HIP_vector_typeIfLj2EEffffjfiS5_IjLj3EEiiiiiiiiiiiliiliiiiil
                                        ; -- End function
	.set _ZL15flash_attn_tileILi512ELi512ELi1ELi8ELb1EEvPKcS1_S1_S1_S1_PKiPfP15HIP_vector_typeIfLj2EEffffjfiS5_IjLj3EEiiiiiiiiiiiliiliiiiil.num_vgpr, 93
	.set _ZL15flash_attn_tileILi512ELi512ELi1ELi8ELb1EEvPKcS1_S1_S1_S1_PKiPfP15HIP_vector_typeIfLj2EEffffjfiS5_IjLj3EEiiiiiiiiiiiliiliiiiil.num_agpr, 0
	.set _ZL15flash_attn_tileILi512ELi512ELi1ELi8ELb1EEvPKcS1_S1_S1_S1_PKiPfP15HIP_vector_typeIfLj2EEffffjfiS5_IjLj3EEiiiiiiiiiiiliiliiiiil.numbered_sgpr, 40
	.set _ZL15flash_attn_tileILi512ELi512ELi1ELi8ELb1EEvPKcS1_S1_S1_S1_PKiPfP15HIP_vector_typeIfLj2EEffffjfiS5_IjLj3EEiiiiiiiiiiiliiliiiiil.num_named_barrier, 0
	.set _ZL15flash_attn_tileILi512ELi512ELi1ELi8ELb1EEvPKcS1_S1_S1_S1_PKiPfP15HIP_vector_typeIfLj2EEffffjfiS5_IjLj3EEiiiiiiiiiiiliiliiiiil.private_seg_size, 0
	.set _ZL15flash_attn_tileILi512ELi512ELi1ELi8ELb1EEvPKcS1_S1_S1_S1_PKiPfP15HIP_vector_typeIfLj2EEffffjfiS5_IjLj3EEiiiiiiiiiiiliiliiiiil.uses_vcc, 1
	.set _ZL15flash_attn_tileILi512ELi512ELi1ELi8ELb1EEvPKcS1_S1_S1_S1_PKiPfP15HIP_vector_typeIfLj2EEffffjfiS5_IjLj3EEiiiiiiiiiiiliiliiiiil.uses_flat_scratch, 0
	.set _ZL15flash_attn_tileILi512ELi512ELi1ELi8ELb1EEvPKcS1_S1_S1_S1_PKiPfP15HIP_vector_typeIfLj2EEffffjfiS5_IjLj3EEiiiiiiiiiiiliiliiiiil.has_dyn_sized_stack, 0
	.set _ZL15flash_attn_tileILi512ELi512ELi1ELi8ELb1EEvPKcS1_S1_S1_S1_PKiPfP15HIP_vector_typeIfLj2EEffffjfiS5_IjLj3EEiiiiiiiiiiiliiliiiiil.has_recursion, 0
	.set _ZL15flash_attn_tileILi512ELi512ELi1ELi8ELb1EEvPKcS1_S1_S1_S1_PKiPfP15HIP_vector_typeIfLj2EEffffjfiS5_IjLj3EEiiiiiiiiiiiliiliiiiil.has_indirect_call, 0
	.section	.AMDGPU.csdata,"",@progbits
; Kernel info:
; codeLenInByte = 22632
; TotalNumSgprs: 46
; NumVgprs: 93
; NumAgprs: 0
; TotalNumVgprs: 93
; ScratchSize: 0
; MemoryBound: 0
; FloatMode: 240
; IeeeMode: 1
; LDSByteSize: 18432 bytes/workgroup (compile time only)
; SGPRBlocks: 5
; VGPRBlocks: 11
; NumSGPRsForWavesPerEU: 46
; NumVGPRsForWavesPerEU: 93
; AccumOffset: 96
; Occupancy: 5
; WaveLimiterHint : 1
; COMPUTE_PGM_RSRC2:SCRATCH_EN: 0
; COMPUTE_PGM_RSRC2:USER_SGPR: 2
; COMPUTE_PGM_RSRC2:TRAP_HANDLER: 0
; COMPUTE_PGM_RSRC2:TGID_X_EN: 1
; COMPUTE_PGM_RSRC2:TGID_Y_EN: 1
; COMPUTE_PGM_RSRC2:TGID_Z_EN: 1
; COMPUTE_PGM_RSRC2:TIDIG_COMP_CNT: 1
; COMPUTE_PGM_RSRC3_GFX90A:ACCUM_OFFSET: 23
; COMPUTE_PGM_RSRC3_GFX90A:TG_SPLIT: 0
	.section	.text._ZL15flash_attn_tileILi512ELi512ELi8ELi4ELb1EEvPKcS1_S1_S1_S1_PKiPfP15HIP_vector_typeIfLj2EEffffjfiS5_IjLj3EEiiiiiiiiiiiliiliiiiil,"axG",@progbits,_ZL15flash_attn_tileILi512ELi512ELi8ELi4ELb1EEvPKcS1_S1_S1_S1_PKiPfP15HIP_vector_typeIfLj2EEffffjfiS5_IjLj3EEiiiiiiiiiiiliiliiiiil,comdat
	.globl	_ZL15flash_attn_tileILi512ELi512ELi8ELi4ELb1EEvPKcS1_S1_S1_S1_PKiPfP15HIP_vector_typeIfLj2EEffffjfiS5_IjLj3EEiiiiiiiiiiiliiliiiiil ; -- Begin function _ZL15flash_attn_tileILi512ELi512ELi8ELi4ELb1EEvPKcS1_S1_S1_S1_PKiPfP15HIP_vector_typeIfLj2EEffffjfiS5_IjLj3EEiiiiiiiiiiiliiliiiiil
	.p2align	8
	.type	_ZL15flash_attn_tileILi512ELi512ELi8ELi4ELb1EEvPKcS1_S1_S1_S1_PKiPfP15HIP_vector_typeIfLj2EEffffjfiS5_IjLj3EEiiiiiiiiiiiliiliiiiil,@function
_ZL15flash_attn_tileILi512ELi512ELi8ELi4ELb1EEvPKcS1_S1_S1_S1_PKiPfP15HIP_vector_typeIfLj2EEffffjfiS5_IjLj3EEiiiiiiiiiiiliiliiiiil: ; @_ZL15flash_attn_tileILi512ELi512ELi8ELi4ELb1EEvPKcS1_S1_S1_S1_PKiPfP15HIP_vector_typeIfLj2EEffffjfiS5_IjLj3EEiiiiiiiiiiiliiliiiiil
; %bb.0:
	s_load_dwordx4 s[20:23], s[0:1], 0x5c
	s_load_dwordx2 s[24:25], s[0:1], 0x80
	s_load_dwordx2 s[28:29], s[0:1], 0xb8
	s_mov_b64 s[26:27], 0
	s_waitcnt lgkmcnt(0)
	s_ashr_i32 s5, s23, 31
	s_lshr_b32 s5, s5, 30
	s_add_i32 s5, s23, s5
	s_ashr_i32 s5, s5, 2
	v_cvt_f32_u32_e32 v1, s5
	s_sub_i32 s6, 0, s5
	v_rcp_iflag_f32_e32 v1, v1
	s_nop 0
	v_mul_f32_e32 v1, 0x4f7ffffe, v1
	v_cvt_u32_f32_e32 v1, v1
	s_nop 0
	v_readfirstlane_b32 s7, v1
	s_mul_i32 s6, s6, s7
	s_mul_hi_u32 s6, s7, s6
	s_add_i32 s7, s7, s6
	s_mul_hi_u32 s6, s4, s7
	s_mul_i32 s7, s6, s5
	s_sub_i32 s7, s4, s7
	s_add_i32 s8, s6, 1
	s_sub_i32 s9, s7, s5
	s_cmp_ge_u32 s7, s5
	s_cselect_b32 s6, s8, s6
	s_cselect_b32 s7, s9, s7
	s_add_i32 s8, s6, 1
	s_cmp_ge_u32 s7, s5
	s_cselect_b32 s30, s8, s6
	s_abs_i32 s5, s25
	v_cvt_f32_u32_e32 v1, s5
	s_lshl_b32 s4, s4, 2
	s_mul_i32 s8, s30, s23
	s_xor_b32 s6, s23, s25
	v_rcp_iflag_f32_e32 v1, v1
	s_sub_i32 s9, 0, s5
	s_sub_i32 s25, s4, s8
	s_abs_i32 s7, s23
	v_mul_f32_e32 v1, 0x4f7ffffe, v1
	v_cvt_u32_f32_e32 v1, v1
	s_ashr_i32 s6, s6, 31
	v_readfirstlane_b32 s4, v1
	s_mul_i32 s9, s9, s4
	s_mul_hi_u32 s8, s4, s9
	s_add_i32 s4, s4, s8
	s_mul_hi_u32 s4, s7, s4
	s_mul_i32 s8, s4, s5
	s_sub_i32 s7, s7, s8
	s_add_i32 s9, s4, 1
	s_sub_i32 s8, s7, s5
	s_cmp_ge_u32 s7, s5
	s_cselect_b32 s4, s9, s4
	s_cselect_b32 s7, s8, s7
	s_add_i32 s8, s4, 1
	s_cmp_ge_u32 s7, s5
	s_cselect_b32 s4, s8, s4
	s_xor_b32 s4, s4, s6
	s_sub_i32 s33, s4, s6
	s_abs_i32 s31, s33
	v_cvt_f32_u32_e32 v1, s31
	s_load_dwordx16 s[4:19], s[0:1], 0x0
	v_rcp_iflag_f32_e32 v1, v1
	s_waitcnt lgkmcnt(0)
	s_cmp_eq_u64 s[10:11], 0
	v_mul_f32_e32 v1, 0x4f7ffffe, v1
	v_cvt_u32_f32_e32 v1, v1
	s_nop 0
	v_readfirstlane_b32 s34, v1
	s_cbranch_scc1 .LBB29_2
; %bb.1:
	s_abs_i32 s28, s28
	v_cvt_f32_u32_e32 v1, s28
	s_sub_i32 s37, 0, s28
	s_abs_i32 s36, s30
	s_ashr_i32 s35, s30, 31
	v_rcp_iflag_f32_e32 v1, v1
	s_load_dwordx2 s[26:27], s[0:1], 0xc8
	v_mul_f32_e32 v1, 0x4f7ffffe, v1
	v_cvt_u32_f32_e32 v1, v1
	s_nop 0
	v_readfirstlane_b32 s38, v1
	s_mul_i32 s37, s37, s38
	s_mul_hi_u32 s37, s38, s37
	s_add_i32 s38, s38, s37
	s_mul_hi_u32 s37, s36, s38
	s_mul_i32 s37, s37, s28
	s_sub_i32 s36, s36, s37
	s_sub_i32 s37, s36, s28
	s_cmp_ge_u32 s36, s28
	s_cselect_b32 s36, s37, s36
	s_sub_i32 s37, s36, s28
	s_cmp_ge_u32 s36, s28
	s_cselect_b32 s28, s37, s36
	s_xor_b32 s28, s28, s35
	s_sub_i32 s28, s28, s35
	s_ashr_i32 s35, s28, 31
	s_waitcnt lgkmcnt(0)
	s_mul_hi_u32 s36, s26, s28
	s_mul_i32 s35, s26, s35
	s_mul_i32 s27, s27, s28
	s_add_i32 s35, s36, s35
	s_add_i32 s35, s35, s27
	s_mul_i32 s26, s26, s28
	s_add_u32 s26, s10, s26
	s_addc_u32 s27, s11, s35
.LBB29_2:
	s_load_dwordx4 s[36:39], s[0:1], 0x70
	v_lshrrev_b32_e32 v2, 10, v0
	v_bfe_u32 v2, v2, 1, 9
	v_lshl_add_u32 v9, s2, 3, v2
	v_mul_hi_u32 v2, s20, v9
	s_waitcnt lgkmcnt(0)
	s_mul_i32 s10, s30, s38
	s_ashr_i32 s28, s10, 31
	s_mul_i32 s11, s25, s37
	s_add_u32 s4, s4, s10
	s_addc_u32 s5, s5, s28
	s_ashr_i32 s10, s11, 31
	v_add_u32_e32 v2, v9, v2
	s_add_u32 s4, s4, s11
	v_lshrrev_b32_e32 v2, s21, v2
	s_addc_u32 s5, s5, s10
	s_ashr_i32 s11, s37, 31
	s_mov_b32 s10, s37
	v_mul_lo_u32 v2, v2, s22
	s_ashr_i32 s37, s36, 31
	v_sub_u32_e32 v2, v9, v2
	s_lshr_b64 s[20:21], s[36:37], 2
	v_mad_u64_u32 v[4:5], s[20:21], s20, v2, 0
	s_lshr_b64 s[38:39], s[10:11], 2
	v_mov_b32_e32 v6, v5
	s_lshr_b32 s10, s37, 2
	v_bfe_u32 v1, v0, 10, 10
	v_mad_u64_u32 v[6:7], s[20:21], s10, v2, v[6:7]
	v_lshlrev_b32_e32 v3, 1, v1
	v_mov_b32_e32 v5, v6
	v_and_b32_e32 v8, 0x3ff, v0
	v_mov_b32_e32 v7, 0
	v_lshl_add_u64 v[4:5], v[4:5], 2, s[4:5]
	v_lshlrev_b32_e32 v6, 4, v8
	v_and_b32_e32 v24, 2, v3
	s_lshr_b32 s10, s11, 2
	v_lshl_add_u64 v[22:23], v[4:5], 0, v[6:7]
	v_mul_lo_u32 v0, s10, v24
	v_mad_u64_u32 v[4:5], s[4:5], s38, v24, 0
	v_or_b32_e32 v5, v5, v0
	v_lshl_add_u64 v[26:27], v[4:5], 2, v[22:23]
	global_load_dwordx4 v[4:7], v[26:27], off
	global_load_dwordx4 v[10:13], v[26:27], off offset:512
	global_load_dwordx4 v[14:17], v[26:27], off offset:1024
	;; [unrolled: 1-line block ×3, first 2 shown]
	v_bitop3_b32 v25, v3, 3, 1 bitop3:0xc8
	v_mad_u64_u32 v[26:27], s[4:5], s38, v25, 0
	v_mov_b32_e32 v0, v27
	v_mad_u64_u32 v[28:29], s[4:5], s10, v25, v[0:1]
	v_mov_b32_e32 v27, v28
	v_lshl_add_u64 v[22:23], v[26:27], 2, v[22:23]
	global_load_dwordx4 v[28:31], v[22:23], off
	global_load_dwordx4 v[32:35], v[22:23], off offset:512
	global_load_dwordx4 v[36:39], v[22:23], off offset:1024
	;; [unrolled: 1-line block ×3, first 2 shown]
	s_load_dword s4, s[0:1], 0x40
	v_lshlrev_b32_e32 v0, 3, v8
	v_lshlrev_b32_e32 v26, 11, v1
	v_add_u32_e32 v25, v0, v26
	v_or_b32_e32 v3, 1, v3
	v_lshl_add_u32 v3, v3, 10, v0
	s_cmp_eq_u64 s[14:15], 0
	s_waitcnt vmcnt(7) lgkmcnt(0)
	v_fma_mixlo_f16 v4, s4, v4, 0
	v_fma_mixlo_f16 v5, s4, v5, 0
	;; [unrolled: 1-line block ×4, first 2 shown]
	s_waitcnt vmcnt(6)
	v_fma_mixlo_f16 v10, s4, v10, 0
	v_fma_mixlo_f16 v11, s4, v11, 0
	v_fma_mixlo_f16 v12, s4, v12, 0
	v_fma_mixlo_f16 v13, s4, v13, 0
	v_lshlrev_b32_e32 v5, 16, v5
	v_and_b32_e32 v4, 0xffff, v4
	v_lshlrev_b32_e32 v7, 16, v7
	v_and_b32_e32 v6, 0xffff, v6
	;; [unrolled: 2-line block ×3, first 2 shown]
	s_waitcnt vmcnt(5)
	v_fma_mixlo_f16 v14, s4, v14, 0
	v_fma_mixlo_f16 v15, s4, v15, 0
	s_waitcnt vmcnt(4)
	v_fma_mixlo_f16 v18, s4, v18, 0
	v_fma_mixlo_f16 v19, s4, v19, 0
	v_lshlrev_b32_e32 v13, 16, v13
	v_and_b32_e32 v12, 0xffff, v12
	v_or_b32_e32 v4, v5, v4
	v_or3_b32 v5, v7, v6, 0
	v_or_b32_e32 v6, v11, v10
	v_fma_mixlo_f16 v16, s4, v16, 0
	v_fma_mixlo_f16 v17, s4, v17, 0
	;; [unrolled: 1-line block ×4, first 2 shown]
	v_lshlrev_b32_e32 v15, 16, v15
	v_and_b32_e32 v14, 0xffff, v14
	v_lshlrev_b32_e32 v19, 16, v19
	v_and_b32_e32 v18, 0xffff, v18
	v_or3_b32 v7, v13, v12, 0
	v_or3_b32 v4, 0, 0, v4
	;; [unrolled: 1-line block ×3, first 2 shown]
	v_lshlrev_b32_e32 v17, 16, v17
	v_and_b32_e32 v16, 0xffff, v16
	v_or_b32_e32 v10, v15, v14
	v_or_b32_e32 v12, v19, v18
	ds_write2_b64 v25, v[4:5], v[6:7] offset1:32
	v_lshlrev_b32_e32 v4, 16, v21
	v_and_b32_e32 v5, 0xffff, v20
	v_or3_b32 v11, v17, v16, 0
	v_or3_b32 v10, 0, 0, v10
	;; [unrolled: 1-line block ×4, first 2 shown]
	ds_write2_b64 v25, v[10:11], v[4:5] offset0:64 offset1:96
	s_waitcnt vmcnt(3)
	v_fma_mixlo_f16 v4, s4, v28, 0
	v_fma_mixlo_f16 v5, s4, v29, 0
	v_lshlrev_b32_e32 v5, 16, v5
	v_and_b32_e32 v4, 0xffff, v4
	v_or_b32_e32 v4, v5, v4
	v_fma_mixlo_f16 v5, s4, v30, 0
	v_fma_mixlo_f16 v6, s4, v31, 0
	v_lshlrev_b32_e32 v6, 16, v6
	v_and_b32_e32 v5, 0xffff, v5
	v_or3_b32 v5, v6, v5, 0
	s_waitcnt vmcnt(2)
	v_fma_mixlo_f16 v6, s4, v32, 0
	v_fma_mixlo_f16 v7, s4, v33, 0
	v_lshlrev_b32_e32 v7, 16, v7
	v_and_b32_e32 v6, 0xffff, v6
	v_or_b32_e32 v6, v7, v6
	v_fma_mixlo_f16 v7, s4, v34, 0
	v_fma_mixlo_f16 v10, s4, v35, 0
	v_lshlrev_b32_e32 v10, 16, v10
	v_and_b32_e32 v7, 0xffff, v7
	v_or3_b32 v4, 0, 0, v4
	v_or3_b32 v7, v10, v7, 0
	;; [unrolled: 1-line block ×3, first 2 shown]
	ds_write2_b64 v3, v[4:5], v[6:7] offset1:32
	s_waitcnt vmcnt(1)
	v_fma_mixlo_f16 v4, s4, v36, 0
	v_fma_mixlo_f16 v5, s4, v37, 0
	v_lshlrev_b32_e32 v5, 16, v5
	v_and_b32_e32 v4, 0xffff, v4
	v_or_b32_e32 v4, v5, v4
	v_fma_mixlo_f16 v5, s4, v38, 0
	v_fma_mixlo_f16 v6, s4, v39, 0
	v_lshlrev_b32_e32 v6, 16, v6
	v_and_b32_e32 v5, 0xffff, v5
	v_or3_b32 v5, v6, v5, 0
	s_waitcnt vmcnt(0)
	v_fma_mixlo_f16 v6, s4, v40, 0
	v_fma_mixlo_f16 v7, s4, v41, 0
	v_lshlrev_b32_e32 v7, 16, v7
	v_and_b32_e32 v6, 0xffff, v6
	v_or_b32_e32 v6, v7, v6
	v_fma_mixlo_f16 v7, s4, v42, 0
	v_fma_mixlo_f16 v10, s4, v43, 0
	v_lshlrev_b32_e32 v10, 16, v10
	v_and_b32_e32 v7, 0xffff, v7
	v_or3_b32 v4, 0, 0, v4
	v_or3_b32 v7, v10, v7, 0
	;; [unrolled: 1-line block ×3, first 2 shown]
	ds_write2_b64 v3, v[4:5], v[6:7] offset0:64 offset1:96
	s_waitcnt lgkmcnt(0)
	s_barrier
	s_cbranch_scc1 .LBB29_4
; %bb.3:
	s_load_dword s4, s[0:1], 0xd0
	s_mov_b32 s5, 0
	s_waitcnt lgkmcnt(0)
	s_mul_i32 s4, s4, s30
	s_add_i32 s4, s4, s2
	s_lshl_b64 s[4:5], s[4:5], 2
	s_add_u32 s4, s14, s4
	s_addc_u32 s5, s15, s5
	s_load_dword s24, s[4:5], 0x0
.LBB29_4:
	s_lshl_b32 s2, s3, 7
	v_lshlrev_b32_e32 v25, 2, v8
	s_waitcnt lgkmcnt(0)
	s_cmp_lt_i32 s2, s24
	v_mbcnt_lo_u32_b32 v3, -1, 0
	s_cbranch_scc1 .LBB29_19
; %bb.5:
	v_mbcnt_hi_u32_b32 v19, -1, v3
	v_and_b32_e32 v4, 0x60, v19
	v_add_u32_e32 v52, 32, v4
	v_xor_b32_e32 v57, 16, v19
	v_xor_b32_e32 v53, 8, v19
	;; [unrolled: 1-line block ×5, first 2 shown]
	s_cbranch_execz .LBB29_20
; %bb.6:
	v_mov_b32_e32 v11, 0
	v_mov_b32_e32 v23, 0xfeffffff
	;; [unrolled: 1-line block ×20, first 2 shown]
.LBB29_7:
	v_cmp_lt_i32_e32 vcc, v57, v52
	s_cmp_lg_u64 s[12:13], 0
	s_cselect_b64 s[4:5], -1, 0
	v_cndmask_b32_e32 v0, v19, v57, vcc
	v_lshlrev_b32_e32 v1, 2, v0
	ds_bpermute_b32 v0, v1, v10
	ds_bpermute_b32 v1, v1, v11
	v_cmp_lt_i32_e32 vcc, v53, v52
	s_cmp_eq_u32 s3, 0
	s_cselect_b64 s[6:7], -1, 0
	v_cndmask_b32_e32 v2, v19, v53, vcc
	v_lshlrev_b32_e32 v3, 2, v2
	s_waitcnt lgkmcnt(0)
	v_pk_add_f32 v[0:1], v[10:11], v[0:1]
	ds_bpermute_b32 v2, v3, v0
	ds_bpermute_b32 v3, v3, v1
	v_cmp_lt_i32_e32 vcc, v54, v52
	s_and_b64 s[4:5], s[6:7], s[4:5]
	s_waitcnt lgkmcnt(0)
	v_pk_add_f32 v[0:1], v[0:1], v[2:3]
	v_cndmask_b32_e32 v4, v19, v54, vcc
	v_lshlrev_b32_e32 v4, 2, v4
	ds_bpermute_b32 v2, v4, v0
	ds_bpermute_b32 v3, v4, v1
	v_cmp_lt_i32_e32 vcc, v55, v52
	s_waitcnt lgkmcnt(0)
	v_pk_add_f32 v[0:1], v[0:1], v[2:3]
	v_cndmask_b32_e32 v4, v19, v55, vcc
	v_lshlrev_b32_e32 v4, 2, v4
	ds_bpermute_b32 v2, v4, v0
	ds_bpermute_b32 v3, v4, v1
	v_cmp_lt_i32_e32 vcc, v56, v52
	s_waitcnt lgkmcnt(0)
	v_pk_add_f32 v[0:1], v[0:1], v[2:3]
	v_cndmask_b32_e32 v4, v19, v56, vcc
	v_lshlrev_b32_e32 v4, 2, v4
	ds_bpermute_b32 v2, v4, v0
	ds_bpermute_b32 v3, v4, v1
	s_and_b64 vcc, exec, s[4:5]
	s_waitcnt lgkmcnt(0)
	v_pk_add_f32 v[0:1], v[0:1], v[2:3]
	s_cbranch_vccz .LBB29_9
; %bb.8:
	v_add_u32_e32 v2, s25, v24
	v_ashrrev_i32_e32 v3, 31, v2
	v_lshl_add_u64 v[2:3], v[2:3], 2, s[12:13]
	global_load_dwordx2 v[2:3], v[2:3], off
	v_max_f32_e32 v4, v22, v22
	v_max_f32_e32 v11, v23, v23
	s_mov_b32 s2, 0x3fb8aa3b
	s_mov_b32 s4, 0xc2ce8ed0
	;; [unrolled: 1-line block ×3, first 2 shown]
	v_mov_b32_e32 v13, 0x7f800000
	s_waitcnt vmcnt(0)
	v_max_f32_e32 v10, v2, v2
	v_max_f32_e32 v10, v4, v10
	;; [unrolled: 1-line block ×3, first 2 shown]
	v_sub_f32_e32 v4, v22, v10
	v_max_f32_e32 v11, v11, v12
	v_sub_f32_e32 v12, v2, v10
	v_mul_f32_e32 v2, 0x3fb8aa3b, v4
	v_sub_f32_e32 v14, v23, v11
	v_sub_f32_e32 v15, v3, v11
	v_mul_f32_e32 v3, 0x3fb8aa3b, v12
	v_fma_f32 v18, v4, s2, -v2
	v_rndne_f32_e32 v19, v2
	v_mul_f32_e32 v16, 0x3fb8aa3b, v14
	v_fma_f32 v20, v12, s2, -v3
	v_rndne_f32_e32 v21, v3
	v_fmac_f32_e32 v18, 0x32a5705f, v4
	v_sub_f32_e32 v2, v2, v19
	v_mul_f32_e32 v17, 0x3fb8aa3b, v15
	v_fma_f32 v22, v14, s2, -v16
	v_rndne_f32_e32 v23, v16
	v_fmac_f32_e32 v20, 0x32a5705f, v12
	v_sub_f32_e32 v3, v3, v21
	v_add_f32_e32 v2, v2, v18
	v_fma_f32 v26, v15, s2, -v17
	v_rndne_f32_e32 v27, v17
	v_cvt_i32_f32_e32 v19, v19
	v_fmac_f32_e32 v22, 0x32a5705f, v14
	v_sub_f32_e32 v16, v16, v23
	v_add_f32_e32 v3, v3, v20
	v_exp_f32_e32 v2, v2
	v_cvt_i32_f32_e32 v21, v21
	v_fmac_f32_e32 v26, 0x32a5705f, v15
	v_sub_f32_e32 v17, v17, v27
	v_add_f32_e32 v16, v16, v22
	v_exp_f32_e32 v3, v3
	v_cvt_i32_f32_e32 v23, v23
	v_add_f32_e32 v17, v17, v26
	v_exp_f32_e32 v16, v16
	v_cvt_i32_f32_e32 v27, v27
	v_exp_f32_e32 v17, v17
	v_ldexp_f32 v2, v2, v19
	v_cmp_ngt_f32_e32 vcc, s4, v4
	v_ldexp_f32 v3, v3, v21
	v_ldexp_f32 v16, v16, v23
	v_cndmask_b32_e32 v2, 0, v2, vcc
	v_cmp_ngt_f32_e32 vcc, s4, v12
	v_ldexp_f32 v17, v17, v27
	v_mov_b64_e32 v[22:23], v[10:11]
	v_cndmask_b32_e32 v3, 0, v3, vcc
	v_cmp_ngt_f32_e32 vcc, s4, v14
	s_nop 1
	v_cndmask_b32_e32 v16, 0, v16, vcc
	v_cmp_ngt_f32_e32 vcc, s4, v15
	s_nop 1
	v_cndmask_b32_e32 v17, 0, v17, vcc
	v_cmp_nlt_f32_e32 vcc, s5, v4
	s_nop 1
	v_cndmask_b32_e32 v2, v13, v2, vcc
	v_cmp_nlt_f32_e32 vcc, s5, v12
	v_cvt_f16_f32_e32 v4, v2
	s_nop 0
	v_cndmask_b32_e32 v12, v13, v3, vcc
	v_cmp_nlt_f32_e32 vcc, s5, v14
	s_nop 1
	v_cndmask_b32_e32 v3, v13, v16, vcc
	v_cvt_f16_f32_e32 v14, v3
	v_cmp_nlt_f32_e32 vcc, s5, v15
	s_nop 1
	v_cndmask_b32_e32 v13, v13, v17, vcc
	v_pk_fma_f32 v[0:1], v[0:1], v[2:3], v[12:13]
	v_mul_u32_u24_e32 v2, 0x10001, v4
	v_mul_u32_u24_e32 v3, 0x10001, v14
	v_pk_mul_f16 v41, v41, v2
	v_pk_mul_f16 v48, v48, v2
	v_pk_mul_f16 v47, v47, v2
	v_pk_mul_f16 v46, v46, v2
	v_pk_mul_f16 v45, v45, v2
	v_pk_mul_f16 v44, v44, v2
	v_pk_mul_f16 v43, v43, v2
	v_pk_mul_f16 v42, v42, v2
	v_pk_mul_f16 v37, v37, v3
	v_pk_mul_f16 v40, v40, v3
	v_pk_mul_f16 v39, v39, v3
	v_pk_mul_f16 v38, v38, v3
	v_pk_mul_f16 v7, v7, v3
	v_pk_mul_f16 v36, v36, v3
	v_pk_mul_f16 v6, v6, v3
	v_pk_mul_f16 v5, v5, v3
.LBB29_9:
	v_cmp_gt_i32_e32 vcc, s22, v9
	s_and_saveexec_b64 s[4:5], vcc
	s_cbranch_execz .LBB29_18
; %bb.10:
	s_load_dword s6, s[0:1], 0xd4
	v_mov_b32_e32 v4, 1.0
	s_waitcnt lgkmcnt(0)
	s_cmp_lg_u32 s6, 1
	s_cselect_b64 s[0:1], -1, 0
	s_cmp_eq_u32 s6, 1
	s_cselect_b64 s[4:5], -1, 0
	s_and_b64 vcc, exec, s[0:1]
	s_cbranch_vccnz .LBB29_12
; %bb.11:
	v_div_scale_f32 v2, s[8:9], v0, v0, 1.0
	v_rcp_f32_e32 v3, v2
	v_div_scale_f32 v4, vcc, 1.0, v0, 1.0
	v_fma_f32 v10, -v2, v3, 1.0
	v_fmac_f32_e32 v3, v10, v3
	v_mul_f32_e32 v10, v4, v3
	v_fma_f32 v11, -v2, v10, v4
	v_fmac_f32_e32 v10, v11, v3
	v_fma_f32 v2, -v2, v10, v4
	v_div_fmas_f32 v2, v2, v3, v10
	v_div_fixup_f32 v4, v2, v0, 1.0
.LBB29_12:
	s_mul_i32 s30, s30, s22
	v_add_u32_e32 v2, s30, v9
	v_mul_lo_u32 v2, v2, s23
	v_add3_u32 v2, s25, v24, v2
	v_cmp_eq_u32_e32 vcc, 0, v8
	v_cvt_f32_f16_sdwa v9, v41 dst_sel:DWORD dst_unused:UNUSED_PAD src0_sel:WORD_1
	v_cvt_f32_f16_e32 v8, v41
	v_cvt_f32_f16_sdwa v11, v48 dst_sel:DWORD dst_unused:UNUSED_PAD src0_sel:WORD_1
	v_cvt_f32_f16_e32 v10, v48
	v_mul_lo_u32 v2, s6, v2
	v_add_u32_e32 v2, s3, v2
	v_lshl_add_u32 v12, v2, 9, v25
	v_mov_b32_e32 v13, 0
	v_lshl_add_u64 v[14:15], v[12:13], 2, s[16:17]
	v_pk_mul_f32 v[8:9], v[4:5], v[8:9] op_sel_hi:[0,1]
	v_pk_mul_f32 v[10:11], v[4:5], v[10:11] op_sel_hi:[0,1]
	global_store_dwordx4 v[14:15], v[8:11], off
	v_cvt_f32_f16_sdwa v15, v46 dst_sel:DWORD dst_unused:UNUSED_PAD src0_sel:WORD_1
	v_cvt_f32_f16_e32 v14, v46
	v_cvt_f32_f16_sdwa v11, v47 dst_sel:DWORD dst_unused:UNUSED_PAD src0_sel:WORD_1
	v_cvt_f32_f16_e32 v10, v47
	v_add_u32_e32 v8, 0x80, v12
	v_mov_b32_e32 v9, v13
	v_lshl_add_u64 v[16:17], v[8:9], 2, s[16:17]
	v_pk_mul_f32 v[8:9], v[4:5], v[10:11] op_sel_hi:[0,1]
	v_pk_mul_f32 v[10:11], v[4:5], v[14:15] op_sel_hi:[0,1]
	global_store_dwordx4 v[16:17], v[8:11], off
	v_cvt_f32_f16_sdwa v15, v44 dst_sel:DWORD dst_unused:UNUSED_PAD src0_sel:WORD_1
	v_cvt_f32_f16_e32 v14, v44
	v_cvt_f32_f16_sdwa v11, v45 dst_sel:DWORD dst_unused:UNUSED_PAD src0_sel:WORD_1
	v_cvt_f32_f16_e32 v10, v45
	v_add_u32_e32 v8, 0x100, v12
	v_mov_b32_e32 v9, v13
	v_lshl_add_u64 v[16:17], v[8:9], 2, s[16:17]
	v_pk_mul_f32 v[8:9], v[4:5], v[10:11] op_sel_hi:[0,1]
	v_pk_mul_f32 v[10:11], v[4:5], v[14:15] op_sel_hi:[0,1]
	global_store_dwordx4 v[16:17], v[8:11], off
	v_add_u32_e32 v12, 0x180, v12
	s_and_b64 s[0:1], vcc, s[0:1]
	v_cvt_f32_f16_sdwa v9, v43 dst_sel:DWORD dst_unused:UNUSED_PAD src0_sel:WORD_1
	v_cvt_f32_f16_e32 v8, v43
	v_cvt_f32_f16_sdwa v11, v42 dst_sel:DWORD dst_unused:UNUSED_PAD src0_sel:WORD_1
	v_cvt_f32_f16_e32 v10, v42
	v_lshl_add_u64 v[12:13], v[12:13], 2, s[16:17]
	v_pk_mul_f32 v[8:9], v[4:5], v[8:9] op_sel_hi:[0,1]
	v_pk_mul_f32 v[10:11], v[4:5], v[10:11] op_sel_hi:[0,1]
	global_store_dwordx4 v[12:13], v[8:11], off
	s_and_saveexec_b64 s[2:3], s[0:1]
	s_cbranch_execz .LBB29_14
; %bb.13:
	v_ashrrev_i32_e32 v3, 31, v2
	v_lshl_add_u64 v[8:9], v[2:3], 3, s[18:19]
	v_mov_b32_e32 v10, v22
	v_mov_b32_e32 v11, v0
	global_store_dwordx2 v[8:9], v[10:11], off
.LBB29_14:
	s_or_b64 exec, exec, s[2:3]
	s_andn2_b64 vcc, exec, s[4:5]
	v_mov_b32_e32 v0, 1.0
	s_cbranch_vccnz .LBB29_16
; %bb.15:
	v_div_scale_f32 v0, s[2:3], v1, v1, 1.0
	v_rcp_f32_e32 v3, v0
	v_div_scale_f32 v4, vcc, 1.0, v1, 1.0
	v_fma_f32 v8, -v0, v3, 1.0
	v_fmac_f32_e32 v3, v8, v3
	v_mul_f32_e32 v8, v4, v3
	v_fma_f32 v9, -v0, v8, v4
	v_fmac_f32_e32 v8, v9, v3
	v_fma_f32 v0, -v0, v8, v4
	v_div_fmas_f32 v0, v0, v3, v8
	v_div_fixup_f32 v0, v0, v1, 1.0
.LBB29_16:
	v_cvt_f32_f16_sdwa v9, v37 dst_sel:DWORD dst_unused:UNUSED_PAD src0_sel:WORD_1
	v_cvt_f32_f16_e32 v8, v37
	v_cvt_f32_f16_sdwa v11, v40 dst_sel:DWORD dst_unused:UNUSED_PAD src0_sel:WORD_1
	v_cvt_f32_f16_e32 v10, v40
	v_add_u32_e32 v2, s6, v2
	v_lshl_add_u32 v12, v2, 9, v25
	v_mov_b32_e32 v13, 0
	v_lshl_add_u64 v[14:15], v[12:13], 2, s[16:17]
	v_pk_mul_f32 v[8:9], v[0:1], v[8:9] op_sel_hi:[0,1]
	v_pk_mul_f32 v[10:11], v[0:1], v[10:11] op_sel_hi:[0,1]
	global_store_dwordx4 v[14:15], v[8:11], off
	v_cvt_f32_f16_sdwa v15, v38 dst_sel:DWORD dst_unused:UNUSED_PAD src0_sel:WORD_1
	v_cvt_f32_f16_e32 v14, v38
	v_cvt_f32_f16_sdwa v11, v39 dst_sel:DWORD dst_unused:UNUSED_PAD src0_sel:WORD_1
	v_cvt_f32_f16_e32 v10, v39
	v_add_u32_e32 v8, 0x80, v12
	v_mov_b32_e32 v9, v13
	v_lshl_add_u64 v[16:17], v[8:9], 2, s[16:17]
	v_pk_mul_f32 v[8:9], v[0:1], v[10:11] op_sel_hi:[0,1]
	v_pk_mul_f32 v[10:11], v[0:1], v[14:15] op_sel_hi:[0,1]
	global_store_dwordx4 v[16:17], v[8:11], off
	v_cvt_f32_f16_sdwa v15, v36 dst_sel:DWORD dst_unused:UNUSED_PAD src0_sel:WORD_1
	v_cvt_f32_f16_e32 v14, v36
	v_cvt_f32_f16_sdwa v11, v7 dst_sel:DWORD dst_unused:UNUSED_PAD src0_sel:WORD_1
	v_cvt_f32_f16_e32 v10, v7
	v_add_u32_e32 v8, 0x100, v12
	;; [unrolled: 10-line block ×3, first 2 shown]
	v_lshl_add_u64 v[10:11], v[12:13], 2, s[16:17]
	v_pk_mul_f32 v[4:5], v[0:1], v[6:7] op_sel_hi:[0,1]
	v_pk_mul_f32 v[6:7], v[0:1], v[8:9] op_sel_hi:[0,1]
	global_store_dwordx4 v[10:11], v[4:7], off
	s_and_b64 exec, exec, s[0:1]
	s_cbranch_execz .LBB29_18
; %bb.17:
	v_ashrrev_i32_e32 v3, 31, v2
	v_lshl_add_u64 v[2:3], v[2:3], 3, s[18:19]
	v_mov_b32_e32 v0, v23
	global_store_dwordx2 v[2:3], v[0:1], off
.LBB29_18:
	s_endpgm
.LBB29_19:
                                        ; implicit-def: $vgpr19
                                        ; implicit-def: $vgpr52
                                        ; implicit-def: $vgpr57
                                        ; implicit-def: $vgpr53
                                        ; implicit-def: $vgpr54
                                        ; implicit-def: $vgpr55
                                        ; implicit-def: $vgpr56
.LBB29_20:
	s_sub_i32 s4, 0, s31
	s_mul_i32 s4, s4, s34
	s_mul_hi_u32 s4, s34, s4
	s_add_i32 s34, s34, s4
	s_load_dwordx4 s[36:39], s[0:1], 0x98
	s_load_dword s10, s[0:1], 0x54
	s_load_dwordx2 s[4:5], s[0:1], 0x8c
	s_ashr_i32 s28, s33, 31
	s_abs_i32 s15, s25
	s_waitcnt lgkmcnt(0)
	s_ashr_i32 s11, s38, 2
	s_mul_hi_u32 s33, s36, s30
	s_ashr_i32 s14, s4, 2
	s_ashr_i32 s4, s30, 31
	s_mul_i32 s38, s36, s4
	s_add_i32 s33, s33, s38
	s_mul_i32 s37, s37, s30
	s_ashr_i32 s21, s25, 31
	s_ashr_i32 s29, s29, 1
	s_add_i32 s33, s33, s37
	s_mul_i32 s36, s36, s30
	s_mul_hi_u32 s20, s15, s34
	s_add_u32 s6, s6, s36
	s_addc_u32 s7, s7, s33
	s_xor_b32 s21, s21, s28
	s_mul_i32 s28, s20, s31
	s_sub_i32 s15, s15, s28
	s_add_i32 s28, s20, 1
	s_sub_i32 s33, s15, s31
	s_cmp_ge_u32 s15, s31
	s_cselect_b32 s20, s28, s20
	s_cselect_b32 s15, s33, s15
	s_add_i32 s28, s20, 1
	s_cmp_ge_u32 s15, s31
	s_load_dwordx2 s[34:35], s[0:1], 0xa8
	s_cselect_b32 s15, s28, s20
	s_xor_b32 s15, s15, s21
	s_sub_i32 s21, s15, s21
	s_mul_i32 s5, s21, s5
	s_ashr_i32 s20, s5, 31
	s_add_u32 s15, s6, s5
	s_waitcnt lgkmcnt(0)
	s_mul_hi_u32 s5, s34, s30
	s_mul_i32 s4, s34, s4
	s_addc_u32 s20, s7, s20
	s_add_i32 s4, s5, s4
	s_mul_i32 s5, s35, s30
	s_add_i32 s4, s4, s5
	s_mul_i32 s5, s34, s30
	s_add_u32 s5, s8, s5
	s_mul_i32 s21, s21, s39
	s_addc_u32 s6, s9, s4
	s_ashr_i32 s7, s21, 31
	v_lshrrev_b32_e32 v4, 3, v8
	s_add_u32 s4, s5, s21
	v_lshl_add_u32 v5, v1, 2, v4
	v_and_b32_e32 v4, 28, v25
	s_addc_u32 s5, s6, s7
	v_lshlrev_b32_e32 v6, 2, v4
	s_movk_i32 s6, 0x90
	v_mad_u32_u24 v6, v5, s6, v6
	v_add_u32_e32 v27, 0x8000, v6
	v_mul_lo_u32 v14, s14, v5
	v_add_u32_e32 v28, 0xa400, v6
	v_mov_b32_e32 v5, 0x8000
	v_mul_lo_u32 v6, s11, v1
	v_mad_u32_u24 v29, v8, s6, v5
	v_mad_u64_u32 v[18:19], s[6:7], v2, s29, v[8:9]
	v_mov_b32_e32 v2, 0xc800
	v_lshlrev_b32_e32 v12, 2, v25
	v_ashrrev_i32_e32 v7, 31, v6
	v_mov_b32_e32 v13, 0
	v_lshl_add_u32 v16, s14, 6, v14
	v_lshl_add_u32 v30, v1, 9, v2
	;; [unrolled: 1-line block ×3, first 2 shown]
	v_lshl_add_u64 v[6:7], v[6:7], 2, s[4:5]
	s_add_u32 s4, s0, 0xd0
	v_ashrrev_i32_e32 v15, 31, v14
	v_ashrrev_i32_e32 v17, 31, v16
	v_add_u32_e32 v31, 0x8000, v2
	v_add_u32_e32 v32, 0x8200, v2
	v_or_b32_e32 v33, 0x8000, v0
	s_addc_u32 s5, s1, 0
	v_lshl_add_u64 v[20:21], v[6:7], 0, v[12:13]
	v_mov_b32_e32 v49, 0xfeffffff
	v_lshlrev_b32_e32 v12, 2, v4
	s_mov_b32 s8, 0x3f200000
	s_mov_b32 s9, 0x3fb8aa3b
	;; [unrolled: 1-line block ×4, first 2 shown]
	v_mov_b32_e32 v34, 0x3ca908c9
	s_brev_b32 s29, -2
	s_mov_b32 s31, 0x10001
	v_mov_b32_e32 v35, 0x7f800000
	v_mbcnt_hi_u32_b32 v19, -1, v3
	v_mov_b32_e32 v5, v13
	v_mov_b32_e32 v6, v13
	;; [unrolled: 1-line block ×19, first 2 shown]
                                        ; implicit-def: $vgpr0
                                        ; implicit-def: $vgpr0
	;; [unrolled: 1-line block ×3, first 2 shown]
.LBB29_21:                              ; =>This Inner Loop Header: Depth=1
	s_mul_hi_i32 s7, s2, s14
	s_mul_i32 s6, s2, s14
	s_lshl_b64 s[6:7], s[6:7], 2
	s_add_u32 s6, s15, s6
	s_addc_u32 s7, s20, s7
	v_lshl_add_u64 v[0:1], v[14:15], 2, s[6:7]
	v_lshl_add_u64 v[0:1], v[0:1], 0, v[12:13]
	;; [unrolled: 1-line block ×4, first 2 shown]
	global_load_dwordx4 v[56:59], v[0:1], off
	global_load_dwordx4 v[60:63], v[2:3], off
	v_mov_b32_e32 v52, 0
	v_mov_b32_e32 v22, 0
	;; [unrolled: 1-line block ×8, first 2 shown]
	s_waitcnt vmcnt(1)
	ds_write_b128 v27, v[56:59]
	s_waitcnt vmcnt(0)
	ds_write_b128 v28, v[60:63]
	s_waitcnt lgkmcnt(0)
	s_barrier
	ds_read_b128 v[56:59], v26
	ds_read_b128 v[60:63], v29
	ds_read_b128 v[64:67], v29 offset:4608
	ds_read_b128 v[68:71], v29 offset:9216
	;; [unrolled: 1-line block ×4, first 2 shown]
	s_waitcnt lgkmcnt(4)
	;;#ASMSTART
	v_dot2_f32_f16 v52, v60, v56, v52
	;;#ASMEND
	s_nop 0
	;;#ASMSTART
	v_dot2_f32_f16 v52, v61, v57, v52
	;;#ASMEND
	s_nop 0
	;; [unrolled: 4-line block ×3, first 2 shown]
	;;#ASMSTART
	v_dot2_f32_f16 v52, v63, v59, v52
	;;#ASMEND
	s_waitcnt lgkmcnt(0)
	;;#ASMSTART
	v_dot2_f32_f16 v22, v60, v76, v22
	;;#ASMEND
	s_nop 0
	;;#ASMSTART
	v_dot2_f32_f16 v22, v61, v77, v22
	;;#ASMEND
	s_nop 0
	;;#ASMSTART
	v_dot2_f32_f16 v22, v62, v78, v22
	;;#ASMEND
	s_nop 0
	;;#ASMSTART
	v_dot2_f32_f16 v22, v63, v79, v22
	;;#ASMEND
	;;#ASMSTART
	v_dot2_f32_f16 v53, v64, v56, v53
	;;#ASMEND
	s_nop 0
	;;#ASMSTART
	v_dot2_f32_f16 v53, v65, v57, v53
	;;#ASMEND
	s_nop 0
	;;#ASMSTART
	v_dot2_f32_f16 v53, v66, v58, v53
	;;#ASMEND
	s_nop 0
	;;#ASMSTART
	v_dot2_f32_f16 v53, v67, v59, v53
	;;#ASMEND
	;; [unrolled: 15-line block ×7, first 2 shown]
	ds_read_b128 v[56:59], v26 offset:16
	ds_read_b128 v[60:63], v29 offset:16
	;; [unrolled: 1-line block ×6, first 2 shown]
	s_waitcnt lgkmcnt(4)
	;;#ASMSTART
	v_dot2_f32_f16 v52, v60, v56, v52
	;;#ASMEND
	s_nop 0
	;;#ASMSTART
	v_dot2_f32_f16 v52, v61, v57, v52
	;;#ASMEND
	s_nop 0
	;; [unrolled: 4-line block ×3, first 2 shown]
	;;#ASMSTART
	v_dot2_f32_f16 v52, v63, v59, v52
	;;#ASMEND
	s_waitcnt lgkmcnt(0)
	;;#ASMSTART
	v_dot2_f32_f16 v22, v60, v76, v22
	;;#ASMEND
	s_nop 0
	;;#ASMSTART
	v_dot2_f32_f16 v22, v61, v77, v22
	;;#ASMEND
	s_nop 0
	;;#ASMSTART
	v_dot2_f32_f16 v22, v62, v78, v22
	;;#ASMEND
	s_nop 0
	;;#ASMSTART
	v_dot2_f32_f16 v22, v63, v79, v22
	;;#ASMEND
	;;#ASMSTART
	v_dot2_f32_f16 v53, v64, v56, v53
	;;#ASMEND
	s_nop 0
	;;#ASMSTART
	v_dot2_f32_f16 v53, v65, v57, v53
	;;#ASMEND
	s_nop 0
	;;#ASMSTART
	v_dot2_f32_f16 v53, v66, v58, v53
	;;#ASMEND
	s_nop 0
	;;#ASMSTART
	v_dot2_f32_f16 v53, v67, v59, v53
	;;#ASMEND
	;; [unrolled: 15-line block ×7, first 2 shown]
	ds_read_b128 v[56:59], v26 offset:32
	ds_read_b128 v[60:63], v29 offset:32
	;; [unrolled: 1-line block ×6, first 2 shown]
	s_waitcnt lgkmcnt(4)
	;;#ASMSTART
	v_dot2_f32_f16 v52, v60, v56, v52
	;;#ASMEND
	s_nop 0
	;;#ASMSTART
	v_dot2_f32_f16 v52, v61, v57, v52
	;;#ASMEND
	s_nop 0
	;; [unrolled: 4-line block ×3, first 2 shown]
	;;#ASMSTART
	v_dot2_f32_f16 v52, v63, v59, v52
	;;#ASMEND
	s_waitcnt lgkmcnt(0)
	;;#ASMSTART
	v_dot2_f32_f16 v22, v60, v76, v22
	;;#ASMEND
	s_nop 0
	;;#ASMSTART
	v_dot2_f32_f16 v22, v61, v77, v22
	;;#ASMEND
	s_nop 0
	;;#ASMSTART
	v_dot2_f32_f16 v22, v62, v78, v22
	;;#ASMEND
	s_nop 0
	;;#ASMSTART
	v_dot2_f32_f16 v22, v63, v79, v22
	;;#ASMEND
	;;#ASMSTART
	v_dot2_f32_f16 v53, v64, v56, v53
	;;#ASMEND
	s_nop 0
	;;#ASMSTART
	v_dot2_f32_f16 v53, v65, v57, v53
	;;#ASMEND
	s_nop 0
	;;#ASMSTART
	v_dot2_f32_f16 v53, v66, v58, v53
	;;#ASMEND
	s_nop 0
	;;#ASMSTART
	v_dot2_f32_f16 v53, v67, v59, v53
	;;#ASMEND
	;; [unrolled: 15-line block ×7, first 2 shown]
	ds_read_b128 v[56:59], v26 offset:48
	ds_read_b128 v[60:63], v29 offset:48
	;; [unrolled: 1-line block ×6, first 2 shown]
	s_waitcnt lgkmcnt(4)
	;;#ASMSTART
	v_dot2_f32_f16 v52, v60, v56, v52
	;;#ASMEND
	s_nop 0
	;;#ASMSTART
	v_dot2_f32_f16 v52, v61, v57, v52
	;;#ASMEND
	s_nop 0
	;; [unrolled: 4-line block ×3, first 2 shown]
	;;#ASMSTART
	v_dot2_f32_f16 v52, v63, v59, v52
	;;#ASMEND
	s_waitcnt lgkmcnt(0)
	;;#ASMSTART
	v_dot2_f32_f16 v22, v60, v76, v22
	;;#ASMEND
	s_nop 0
	;;#ASMSTART
	v_dot2_f32_f16 v22, v61, v77, v22
	;;#ASMEND
	s_nop 0
	;;#ASMSTART
	v_dot2_f32_f16 v22, v62, v78, v22
	;;#ASMEND
	s_nop 0
	;;#ASMSTART
	v_dot2_f32_f16 v22, v63, v79, v22
	;;#ASMEND
	;;#ASMSTART
	v_dot2_f32_f16 v53, v64, v56, v53
	;;#ASMEND
	s_nop 0
	;;#ASMSTART
	v_dot2_f32_f16 v53, v65, v57, v53
	;;#ASMEND
	s_nop 0
	;;#ASMSTART
	v_dot2_f32_f16 v53, v66, v58, v53
	;;#ASMEND
	s_nop 0
	;;#ASMSTART
	v_dot2_f32_f16 v53, v67, v59, v53
	;;#ASMEND
	;; [unrolled: 15-line block ×7, first 2 shown]
	ds_read_b128 v[56:59], v26 offset:64
	ds_read_b128 v[60:63], v29 offset:64
	;; [unrolled: 1-line block ×6, first 2 shown]
	s_waitcnt lgkmcnt(4)
	;;#ASMSTART
	v_dot2_f32_f16 v52, v60, v56, v52
	;;#ASMEND
	s_nop 0
	;;#ASMSTART
	v_dot2_f32_f16 v52, v61, v57, v52
	;;#ASMEND
	s_nop 0
	;; [unrolled: 4-line block ×3, first 2 shown]
	;;#ASMSTART
	v_dot2_f32_f16 v52, v63, v59, v52
	;;#ASMEND
	s_waitcnt lgkmcnt(0)
	;;#ASMSTART
	v_dot2_f32_f16 v22, v60, v76, v22
	;;#ASMEND
	s_nop 0
	;;#ASMSTART
	v_dot2_f32_f16 v22, v61, v77, v22
	;;#ASMEND
	s_nop 0
	;;#ASMSTART
	v_dot2_f32_f16 v22, v62, v78, v22
	;;#ASMEND
	s_nop 0
	;;#ASMSTART
	v_dot2_f32_f16 v22, v63, v79, v22
	;;#ASMEND
	;;#ASMSTART
	v_dot2_f32_f16 v53, v64, v56, v53
	;;#ASMEND
	s_nop 0
	;;#ASMSTART
	v_dot2_f32_f16 v53, v65, v57, v53
	;;#ASMEND
	s_nop 0
	;;#ASMSTART
	v_dot2_f32_f16 v53, v66, v58, v53
	;;#ASMEND
	s_nop 0
	;;#ASMSTART
	v_dot2_f32_f16 v53, v67, v59, v53
	;;#ASMEND
	;; [unrolled: 15-line block ×7, first 2 shown]
	ds_read_b128 v[56:59], v26 offset:80
	ds_read_b128 v[60:63], v29 offset:80
	;; [unrolled: 1-line block ×6, first 2 shown]
	s_waitcnt lgkmcnt(4)
	;;#ASMSTART
	v_dot2_f32_f16 v52, v60, v56, v52
	;;#ASMEND
	s_nop 0
	;;#ASMSTART
	v_dot2_f32_f16 v52, v61, v57, v52
	;;#ASMEND
	s_nop 0
	;; [unrolled: 4-line block ×3, first 2 shown]
	;;#ASMSTART
	v_dot2_f32_f16 v52, v63, v59, v52
	;;#ASMEND
	s_waitcnt lgkmcnt(0)
	;;#ASMSTART
	v_dot2_f32_f16 v22, v60, v76, v22
	;;#ASMEND
	s_nop 0
	;;#ASMSTART
	v_dot2_f32_f16 v22, v61, v77, v22
	;;#ASMEND
	s_nop 0
	;;#ASMSTART
	v_dot2_f32_f16 v22, v62, v78, v22
	;;#ASMEND
	s_nop 0
	;;#ASMSTART
	v_dot2_f32_f16 v22, v63, v79, v22
	;;#ASMEND
	;;#ASMSTART
	v_dot2_f32_f16 v53, v64, v56, v53
	;;#ASMEND
	s_nop 0
	;;#ASMSTART
	v_dot2_f32_f16 v53, v65, v57, v53
	;;#ASMEND
	s_nop 0
	;;#ASMSTART
	v_dot2_f32_f16 v53, v66, v58, v53
	;;#ASMEND
	s_nop 0
	;;#ASMSTART
	v_dot2_f32_f16 v53, v67, v59, v53
	;;#ASMEND
	;; [unrolled: 15-line block ×7, first 2 shown]
	ds_read_b128 v[56:59], v26 offset:96
	ds_read_b128 v[60:63], v29 offset:96
	;; [unrolled: 1-line block ×6, first 2 shown]
	s_waitcnt lgkmcnt(4)
	;;#ASMSTART
	v_dot2_f32_f16 v52, v60, v56, v52
	;;#ASMEND
	s_nop 0
	;;#ASMSTART
	v_dot2_f32_f16 v52, v61, v57, v52
	;;#ASMEND
	s_nop 0
	;; [unrolled: 4-line block ×3, first 2 shown]
	;;#ASMSTART
	v_dot2_f32_f16 v52, v63, v59, v52
	;;#ASMEND
	s_waitcnt lgkmcnt(0)
	;;#ASMSTART
	v_dot2_f32_f16 v22, v60, v76, v22
	;;#ASMEND
	s_nop 0
	;;#ASMSTART
	v_dot2_f32_f16 v22, v61, v77, v22
	;;#ASMEND
	s_nop 0
	;;#ASMSTART
	v_dot2_f32_f16 v22, v62, v78, v22
	;;#ASMEND
	s_nop 0
	;;#ASMSTART
	v_dot2_f32_f16 v22, v63, v79, v22
	;;#ASMEND
	;;#ASMSTART
	v_dot2_f32_f16 v53, v64, v56, v53
	;;#ASMEND
	s_nop 0
	;;#ASMSTART
	v_dot2_f32_f16 v53, v65, v57, v53
	;;#ASMEND
	s_nop 0
	;;#ASMSTART
	v_dot2_f32_f16 v53, v66, v58, v53
	;;#ASMEND
	s_nop 0
	;;#ASMSTART
	v_dot2_f32_f16 v53, v67, v59, v53
	;;#ASMEND
	;; [unrolled: 15-line block ×7, first 2 shown]
	ds_read_b128 v[56:59], v26 offset:112
	ds_read_b128 v[60:63], v29 offset:112
	;; [unrolled: 1-line block ×6, first 2 shown]
	s_waitcnt lgkmcnt(4)
	;;#ASMSTART
	v_dot2_f32_f16 v52, v60, v56, v52
	;;#ASMEND
	s_nop 0
	;;#ASMSTART
	v_dot2_f32_f16 v52, v61, v57, v52
	;;#ASMEND
	s_nop 0
	;; [unrolled: 4-line block ×3, first 2 shown]
	;;#ASMSTART
	v_dot2_f32_f16 v52, v63, v59, v52
	;;#ASMEND
	s_waitcnt lgkmcnt(0)
	;;#ASMSTART
	v_dot2_f32_f16 v22, v60, v76, v22
	;;#ASMEND
	s_nop 0
	;;#ASMSTART
	v_dot2_f32_f16 v22, v61, v77, v22
	;;#ASMEND
	s_nop 0
	;;#ASMSTART
	v_dot2_f32_f16 v22, v62, v78, v22
	;;#ASMEND
	s_nop 0
	;;#ASMSTART
	v_dot2_f32_f16 v22, v63, v79, v22
	;;#ASMEND
	;;#ASMSTART
	v_dot2_f32_f16 v53, v64, v56, v53
	;;#ASMEND
	s_nop 0
	;;#ASMSTART
	v_dot2_f32_f16 v53, v65, v57, v53
	;;#ASMEND
	s_nop 0
	;;#ASMSTART
	v_dot2_f32_f16 v53, v66, v58, v53
	;;#ASMEND
	s_nop 0
	;;#ASMSTART
	v_dot2_f32_f16 v53, v67, v59, v53
	;;#ASMEND
	;; [unrolled: 15-line block ×7, first 2 shown]
	s_barrier
	global_load_dwordx4 v[56:59], v[0:1], off offset:128
	global_load_dwordx4 v[60:63], v[2:3], off offset:128
	s_waitcnt vmcnt(1)
	ds_write_b128 v27, v[56:59]
	s_waitcnt vmcnt(0)
	ds_write_b128 v28, v[60:63]
	s_waitcnt lgkmcnt(0)
	s_barrier
	ds_read_b128 v[56:59], v26 offset:128
	ds_read_b128 v[60:63], v29
	ds_read_b128 v[64:67], v29 offset:4608
	ds_read_b128 v[68:71], v29 offset:9216
	;; [unrolled: 1-line block ×4, first 2 shown]
	s_waitcnt lgkmcnt(4)
	;;#ASMSTART
	v_dot2_f32_f16 v52, v60, v56, v52
	;;#ASMEND
	s_nop 0
	;;#ASMSTART
	v_dot2_f32_f16 v52, v61, v57, v52
	;;#ASMEND
	s_nop 0
	;; [unrolled: 4-line block ×3, first 2 shown]
	;;#ASMSTART
	v_dot2_f32_f16 v52, v63, v59, v52
	;;#ASMEND
	s_waitcnt lgkmcnt(0)
	;;#ASMSTART
	v_dot2_f32_f16 v22, v60, v76, v22
	;;#ASMEND
	s_nop 0
	;;#ASMSTART
	v_dot2_f32_f16 v22, v61, v77, v22
	;;#ASMEND
	s_nop 0
	;;#ASMSTART
	v_dot2_f32_f16 v22, v62, v78, v22
	;;#ASMEND
	s_nop 0
	;;#ASMSTART
	v_dot2_f32_f16 v22, v63, v79, v22
	;;#ASMEND
	;;#ASMSTART
	v_dot2_f32_f16 v53, v64, v56, v53
	;;#ASMEND
	s_nop 0
	;;#ASMSTART
	v_dot2_f32_f16 v53, v65, v57, v53
	;;#ASMEND
	s_nop 0
	;;#ASMSTART
	v_dot2_f32_f16 v53, v66, v58, v53
	;;#ASMEND
	s_nop 0
	;;#ASMSTART
	v_dot2_f32_f16 v53, v67, v59, v53
	;;#ASMEND
	;; [unrolled: 15-line block ×7, first 2 shown]
	ds_read_b128 v[56:59], v26 offset:144
	ds_read_b128 v[60:63], v29 offset:16
	;; [unrolled: 1-line block ×6, first 2 shown]
	s_waitcnt lgkmcnt(4)
	;;#ASMSTART
	v_dot2_f32_f16 v52, v60, v56, v52
	;;#ASMEND
	s_nop 0
	;;#ASMSTART
	v_dot2_f32_f16 v52, v61, v57, v52
	;;#ASMEND
	s_nop 0
	;; [unrolled: 4-line block ×3, first 2 shown]
	;;#ASMSTART
	v_dot2_f32_f16 v52, v63, v59, v52
	;;#ASMEND
	s_waitcnt lgkmcnt(0)
	;;#ASMSTART
	v_dot2_f32_f16 v22, v60, v76, v22
	;;#ASMEND
	s_nop 0
	;;#ASMSTART
	v_dot2_f32_f16 v22, v61, v77, v22
	;;#ASMEND
	s_nop 0
	;;#ASMSTART
	v_dot2_f32_f16 v22, v62, v78, v22
	;;#ASMEND
	s_nop 0
	;;#ASMSTART
	v_dot2_f32_f16 v22, v63, v79, v22
	;;#ASMEND
	;;#ASMSTART
	v_dot2_f32_f16 v53, v64, v56, v53
	;;#ASMEND
	s_nop 0
	;;#ASMSTART
	v_dot2_f32_f16 v53, v65, v57, v53
	;;#ASMEND
	s_nop 0
	;;#ASMSTART
	v_dot2_f32_f16 v53, v66, v58, v53
	;;#ASMEND
	s_nop 0
	;;#ASMSTART
	v_dot2_f32_f16 v53, v67, v59, v53
	;;#ASMEND
	;; [unrolled: 15-line block ×7, first 2 shown]
	ds_read_b128 v[56:59], v26 offset:160
	ds_read_b128 v[60:63], v29 offset:32
	;; [unrolled: 1-line block ×6, first 2 shown]
	s_waitcnt lgkmcnt(4)
	;;#ASMSTART
	v_dot2_f32_f16 v52, v60, v56, v52
	;;#ASMEND
	s_nop 0
	;;#ASMSTART
	v_dot2_f32_f16 v52, v61, v57, v52
	;;#ASMEND
	s_nop 0
	;; [unrolled: 4-line block ×3, first 2 shown]
	;;#ASMSTART
	v_dot2_f32_f16 v52, v63, v59, v52
	;;#ASMEND
	s_waitcnt lgkmcnt(0)
	;;#ASMSTART
	v_dot2_f32_f16 v22, v60, v76, v22
	;;#ASMEND
	s_nop 0
	;;#ASMSTART
	v_dot2_f32_f16 v22, v61, v77, v22
	;;#ASMEND
	s_nop 0
	;;#ASMSTART
	v_dot2_f32_f16 v22, v62, v78, v22
	;;#ASMEND
	s_nop 0
	;;#ASMSTART
	v_dot2_f32_f16 v22, v63, v79, v22
	;;#ASMEND
	;;#ASMSTART
	v_dot2_f32_f16 v53, v64, v56, v53
	;;#ASMEND
	s_nop 0
	;;#ASMSTART
	v_dot2_f32_f16 v53, v65, v57, v53
	;;#ASMEND
	s_nop 0
	;;#ASMSTART
	v_dot2_f32_f16 v53, v66, v58, v53
	;;#ASMEND
	s_nop 0
	;;#ASMSTART
	v_dot2_f32_f16 v53, v67, v59, v53
	;;#ASMEND
	;; [unrolled: 15-line block ×7, first 2 shown]
	ds_read_b128 v[56:59], v26 offset:176
	ds_read_b128 v[60:63], v29 offset:48
	;; [unrolled: 1-line block ×6, first 2 shown]
	s_waitcnt lgkmcnt(4)
	;;#ASMSTART
	v_dot2_f32_f16 v52, v60, v56, v52
	;;#ASMEND
	s_nop 0
	;;#ASMSTART
	v_dot2_f32_f16 v52, v61, v57, v52
	;;#ASMEND
	s_nop 0
	;; [unrolled: 4-line block ×3, first 2 shown]
	;;#ASMSTART
	v_dot2_f32_f16 v52, v63, v59, v52
	;;#ASMEND
	s_waitcnt lgkmcnt(0)
	;;#ASMSTART
	v_dot2_f32_f16 v22, v60, v76, v22
	;;#ASMEND
	s_nop 0
	;;#ASMSTART
	v_dot2_f32_f16 v22, v61, v77, v22
	;;#ASMEND
	s_nop 0
	;;#ASMSTART
	v_dot2_f32_f16 v22, v62, v78, v22
	;;#ASMEND
	s_nop 0
	;;#ASMSTART
	v_dot2_f32_f16 v22, v63, v79, v22
	;;#ASMEND
	;;#ASMSTART
	v_dot2_f32_f16 v53, v64, v56, v53
	;;#ASMEND
	s_nop 0
	;;#ASMSTART
	v_dot2_f32_f16 v53, v65, v57, v53
	;;#ASMEND
	s_nop 0
	;;#ASMSTART
	v_dot2_f32_f16 v53, v66, v58, v53
	;;#ASMEND
	s_nop 0
	;;#ASMSTART
	v_dot2_f32_f16 v53, v67, v59, v53
	;;#ASMEND
	;; [unrolled: 15-line block ×7, first 2 shown]
	ds_read_b128 v[56:59], v26 offset:192
	ds_read_b128 v[60:63], v29 offset:64
	ds_read_b128 v[64:67], v29 offset:4672
	ds_read_b128 v[68:71], v29 offset:9280
	ds_read_b128 v[72:75], v29 offset:13888
	ds_read_b128 v[76:79], v26 offset:1216
	s_waitcnt lgkmcnt(4)
	;;#ASMSTART
	v_dot2_f32_f16 v52, v60, v56, v52
	;;#ASMEND
	s_nop 0
	;;#ASMSTART
	v_dot2_f32_f16 v52, v61, v57, v52
	;;#ASMEND
	s_nop 0
	;; [unrolled: 4-line block ×3, first 2 shown]
	;;#ASMSTART
	v_dot2_f32_f16 v52, v63, v59, v52
	;;#ASMEND
	s_waitcnt lgkmcnt(0)
	;;#ASMSTART
	v_dot2_f32_f16 v22, v60, v76, v22
	;;#ASMEND
	s_nop 0
	;;#ASMSTART
	v_dot2_f32_f16 v22, v61, v77, v22
	;;#ASMEND
	s_nop 0
	;;#ASMSTART
	v_dot2_f32_f16 v22, v62, v78, v22
	;;#ASMEND
	s_nop 0
	;;#ASMSTART
	v_dot2_f32_f16 v22, v63, v79, v22
	;;#ASMEND
	;;#ASMSTART
	v_dot2_f32_f16 v53, v64, v56, v53
	;;#ASMEND
	s_nop 0
	;;#ASMSTART
	v_dot2_f32_f16 v53, v65, v57, v53
	;;#ASMEND
	s_nop 0
	;;#ASMSTART
	v_dot2_f32_f16 v53, v66, v58, v53
	;;#ASMEND
	s_nop 0
	;;#ASMSTART
	v_dot2_f32_f16 v53, v67, v59, v53
	;;#ASMEND
	;; [unrolled: 15-line block ×7, first 2 shown]
	ds_read_b128 v[56:59], v26 offset:208
	ds_read_b128 v[60:63], v29 offset:80
	;; [unrolled: 1-line block ×6, first 2 shown]
	s_waitcnt lgkmcnt(4)
	;;#ASMSTART
	v_dot2_f32_f16 v52, v60, v56, v52
	;;#ASMEND
	s_nop 0
	;;#ASMSTART
	v_dot2_f32_f16 v52, v61, v57, v52
	;;#ASMEND
	s_nop 0
	;; [unrolled: 4-line block ×3, first 2 shown]
	;;#ASMSTART
	v_dot2_f32_f16 v52, v63, v59, v52
	;;#ASMEND
	s_waitcnt lgkmcnt(0)
	;;#ASMSTART
	v_dot2_f32_f16 v22, v60, v76, v22
	;;#ASMEND
	s_nop 0
	;;#ASMSTART
	v_dot2_f32_f16 v22, v61, v77, v22
	;;#ASMEND
	s_nop 0
	;;#ASMSTART
	v_dot2_f32_f16 v22, v62, v78, v22
	;;#ASMEND
	s_nop 0
	;;#ASMSTART
	v_dot2_f32_f16 v22, v63, v79, v22
	;;#ASMEND
	;;#ASMSTART
	v_dot2_f32_f16 v53, v64, v56, v53
	;;#ASMEND
	s_nop 0
	;;#ASMSTART
	v_dot2_f32_f16 v53, v65, v57, v53
	;;#ASMEND
	s_nop 0
	;;#ASMSTART
	v_dot2_f32_f16 v53, v66, v58, v53
	;;#ASMEND
	s_nop 0
	;;#ASMSTART
	v_dot2_f32_f16 v53, v67, v59, v53
	;;#ASMEND
	;; [unrolled: 15-line block ×7, first 2 shown]
	ds_read_b128 v[56:59], v26 offset:224
	ds_read_b128 v[60:63], v29 offset:96
	;; [unrolled: 1-line block ×6, first 2 shown]
	s_waitcnt lgkmcnt(4)
	;;#ASMSTART
	v_dot2_f32_f16 v52, v60, v56, v52
	;;#ASMEND
	s_nop 0
	;;#ASMSTART
	v_dot2_f32_f16 v52, v61, v57, v52
	;;#ASMEND
	s_nop 0
	;; [unrolled: 4-line block ×3, first 2 shown]
	;;#ASMSTART
	v_dot2_f32_f16 v52, v63, v59, v52
	;;#ASMEND
	s_waitcnt lgkmcnt(0)
	;;#ASMSTART
	v_dot2_f32_f16 v22, v60, v76, v22
	;;#ASMEND
	s_nop 0
	;;#ASMSTART
	v_dot2_f32_f16 v22, v61, v77, v22
	;;#ASMEND
	s_nop 0
	;;#ASMSTART
	v_dot2_f32_f16 v22, v62, v78, v22
	;;#ASMEND
	s_nop 0
	;;#ASMSTART
	v_dot2_f32_f16 v22, v63, v79, v22
	;;#ASMEND
	;;#ASMSTART
	v_dot2_f32_f16 v53, v64, v56, v53
	;;#ASMEND
	s_nop 0
	;;#ASMSTART
	v_dot2_f32_f16 v53, v65, v57, v53
	;;#ASMEND
	s_nop 0
	;;#ASMSTART
	v_dot2_f32_f16 v53, v66, v58, v53
	;;#ASMEND
	s_nop 0
	;;#ASMSTART
	v_dot2_f32_f16 v53, v67, v59, v53
	;;#ASMEND
	;; [unrolled: 15-line block ×7, first 2 shown]
	ds_read_b128 v[56:59], v26 offset:240
	ds_read_b128 v[60:63], v29 offset:112
	;; [unrolled: 1-line block ×6, first 2 shown]
	s_waitcnt lgkmcnt(4)
	;;#ASMSTART
	v_dot2_f32_f16 v52, v60, v56, v52
	;;#ASMEND
	s_nop 0
	;;#ASMSTART
	v_dot2_f32_f16 v52, v61, v57, v52
	;;#ASMEND
	s_nop 0
	;;#ASMSTART
	v_dot2_f32_f16 v52, v62, v58, v52
	;;#ASMEND
	s_nop 0
	;;#ASMSTART
	v_dot2_f32_f16 v52, v63, v59, v52
	;;#ASMEND
	s_waitcnt lgkmcnt(0)
	;;#ASMSTART
	v_dot2_f32_f16 v22, v60, v76, v22
	;;#ASMEND
	s_nop 0
	;;#ASMSTART
	v_dot2_f32_f16 v22, v61, v77, v22
	;;#ASMEND
	s_nop 0
	;;#ASMSTART
	v_dot2_f32_f16 v22, v62, v78, v22
	;;#ASMEND
	s_nop 0
	;;#ASMSTART
	v_dot2_f32_f16 v22, v63, v79, v22
	;;#ASMEND
	;;#ASMSTART
	v_dot2_f32_f16 v53, v64, v56, v53
	;;#ASMEND
	s_nop 0
	;;#ASMSTART
	v_dot2_f32_f16 v53, v65, v57, v53
	;;#ASMEND
	s_nop 0
	;;#ASMSTART
	v_dot2_f32_f16 v53, v66, v58, v53
	;;#ASMEND
	s_nop 0
	;;#ASMSTART
	v_dot2_f32_f16 v53, v67, v59, v53
	;;#ASMEND
	;; [unrolled: 15-line block ×7, first 2 shown]
	s_barrier
	global_load_dwordx4 v[56:59], v[0:1], off offset:256
	global_load_dwordx4 v[60:63], v[2:3], off offset:256
	s_waitcnt vmcnt(1)
	ds_write_b128 v27, v[56:59]
	s_waitcnt vmcnt(0)
	ds_write_b128 v28, v[60:63]
	s_waitcnt lgkmcnt(0)
	s_barrier
	ds_read_b128 v[56:59], v26 offset:256
	ds_read_b128 v[60:63], v29
	ds_read_b128 v[64:67], v29 offset:4608
	ds_read_b128 v[68:71], v29 offset:9216
	;; [unrolled: 1-line block ×4, first 2 shown]
	s_waitcnt lgkmcnt(4)
	;;#ASMSTART
	v_dot2_f32_f16 v52, v60, v56, v52
	;;#ASMEND
	s_nop 0
	;;#ASMSTART
	v_dot2_f32_f16 v52, v61, v57, v52
	;;#ASMEND
	s_nop 0
	;; [unrolled: 4-line block ×3, first 2 shown]
	;;#ASMSTART
	v_dot2_f32_f16 v52, v63, v59, v52
	;;#ASMEND
	s_waitcnt lgkmcnt(0)
	;;#ASMSTART
	v_dot2_f32_f16 v22, v60, v76, v22
	;;#ASMEND
	s_nop 0
	;;#ASMSTART
	v_dot2_f32_f16 v22, v61, v77, v22
	;;#ASMEND
	s_nop 0
	;;#ASMSTART
	v_dot2_f32_f16 v22, v62, v78, v22
	;;#ASMEND
	s_nop 0
	;;#ASMSTART
	v_dot2_f32_f16 v22, v63, v79, v22
	;;#ASMEND
	;;#ASMSTART
	v_dot2_f32_f16 v53, v64, v56, v53
	;;#ASMEND
	s_nop 0
	;;#ASMSTART
	v_dot2_f32_f16 v53, v65, v57, v53
	;;#ASMEND
	s_nop 0
	;;#ASMSTART
	v_dot2_f32_f16 v53, v66, v58, v53
	;;#ASMEND
	s_nop 0
	;;#ASMSTART
	v_dot2_f32_f16 v53, v67, v59, v53
	;;#ASMEND
	;; [unrolled: 15-line block ×7, first 2 shown]
	ds_read_b128 v[56:59], v26 offset:272
	ds_read_b128 v[60:63], v29 offset:16
	;; [unrolled: 1-line block ×6, first 2 shown]
	s_waitcnt lgkmcnt(4)
	;;#ASMSTART
	v_dot2_f32_f16 v52, v60, v56, v52
	;;#ASMEND
	s_nop 0
	;;#ASMSTART
	v_dot2_f32_f16 v52, v61, v57, v52
	;;#ASMEND
	s_nop 0
	;; [unrolled: 4-line block ×3, first 2 shown]
	;;#ASMSTART
	v_dot2_f32_f16 v52, v63, v59, v52
	;;#ASMEND
	s_waitcnt lgkmcnt(0)
	;;#ASMSTART
	v_dot2_f32_f16 v22, v60, v76, v22
	;;#ASMEND
	s_nop 0
	;;#ASMSTART
	v_dot2_f32_f16 v22, v61, v77, v22
	;;#ASMEND
	s_nop 0
	;;#ASMSTART
	v_dot2_f32_f16 v22, v62, v78, v22
	;;#ASMEND
	s_nop 0
	;;#ASMSTART
	v_dot2_f32_f16 v22, v63, v79, v22
	;;#ASMEND
	;;#ASMSTART
	v_dot2_f32_f16 v53, v64, v56, v53
	;;#ASMEND
	s_nop 0
	;;#ASMSTART
	v_dot2_f32_f16 v53, v65, v57, v53
	;;#ASMEND
	s_nop 0
	;;#ASMSTART
	v_dot2_f32_f16 v53, v66, v58, v53
	;;#ASMEND
	s_nop 0
	;;#ASMSTART
	v_dot2_f32_f16 v53, v67, v59, v53
	;;#ASMEND
	;; [unrolled: 15-line block ×7, first 2 shown]
	ds_read_b128 v[56:59], v26 offset:288
	ds_read_b128 v[60:63], v29 offset:32
	;; [unrolled: 1-line block ×6, first 2 shown]
	s_waitcnt lgkmcnt(4)
	;;#ASMSTART
	v_dot2_f32_f16 v52, v60, v56, v52
	;;#ASMEND
	s_nop 0
	;;#ASMSTART
	v_dot2_f32_f16 v52, v61, v57, v52
	;;#ASMEND
	s_nop 0
	;; [unrolled: 4-line block ×3, first 2 shown]
	;;#ASMSTART
	v_dot2_f32_f16 v52, v63, v59, v52
	;;#ASMEND
	s_waitcnt lgkmcnt(0)
	;;#ASMSTART
	v_dot2_f32_f16 v22, v60, v76, v22
	;;#ASMEND
	s_nop 0
	;;#ASMSTART
	v_dot2_f32_f16 v22, v61, v77, v22
	;;#ASMEND
	s_nop 0
	;;#ASMSTART
	v_dot2_f32_f16 v22, v62, v78, v22
	;;#ASMEND
	s_nop 0
	;;#ASMSTART
	v_dot2_f32_f16 v22, v63, v79, v22
	;;#ASMEND
	;;#ASMSTART
	v_dot2_f32_f16 v53, v64, v56, v53
	;;#ASMEND
	s_nop 0
	;;#ASMSTART
	v_dot2_f32_f16 v53, v65, v57, v53
	;;#ASMEND
	s_nop 0
	;;#ASMSTART
	v_dot2_f32_f16 v53, v66, v58, v53
	;;#ASMEND
	s_nop 0
	;;#ASMSTART
	v_dot2_f32_f16 v53, v67, v59, v53
	;;#ASMEND
	;; [unrolled: 15-line block ×7, first 2 shown]
	ds_read_b128 v[56:59], v26 offset:304
	ds_read_b128 v[60:63], v29 offset:48
	ds_read_b128 v[64:67], v29 offset:4656
	ds_read_b128 v[68:71], v29 offset:9264
	ds_read_b128 v[72:75], v29 offset:13872
	ds_read_b128 v[76:79], v26 offset:1328
	s_waitcnt lgkmcnt(4)
	;;#ASMSTART
	v_dot2_f32_f16 v52, v60, v56, v52
	;;#ASMEND
	s_nop 0
	;;#ASMSTART
	v_dot2_f32_f16 v52, v61, v57, v52
	;;#ASMEND
	s_nop 0
	;; [unrolled: 4-line block ×3, first 2 shown]
	;;#ASMSTART
	v_dot2_f32_f16 v52, v63, v59, v52
	;;#ASMEND
	s_waitcnt lgkmcnt(0)
	;;#ASMSTART
	v_dot2_f32_f16 v22, v60, v76, v22
	;;#ASMEND
	s_nop 0
	;;#ASMSTART
	v_dot2_f32_f16 v22, v61, v77, v22
	;;#ASMEND
	s_nop 0
	;;#ASMSTART
	v_dot2_f32_f16 v22, v62, v78, v22
	;;#ASMEND
	s_nop 0
	;;#ASMSTART
	v_dot2_f32_f16 v22, v63, v79, v22
	;;#ASMEND
	;;#ASMSTART
	v_dot2_f32_f16 v53, v64, v56, v53
	;;#ASMEND
	s_nop 0
	;;#ASMSTART
	v_dot2_f32_f16 v53, v65, v57, v53
	;;#ASMEND
	s_nop 0
	;;#ASMSTART
	v_dot2_f32_f16 v53, v66, v58, v53
	;;#ASMEND
	s_nop 0
	;;#ASMSTART
	v_dot2_f32_f16 v53, v67, v59, v53
	;;#ASMEND
	;; [unrolled: 15-line block ×7, first 2 shown]
	ds_read_b128 v[56:59], v26 offset:320
	ds_read_b128 v[60:63], v29 offset:64
	;; [unrolled: 1-line block ×6, first 2 shown]
	s_waitcnt lgkmcnt(4)
	;;#ASMSTART
	v_dot2_f32_f16 v52, v60, v56, v52
	;;#ASMEND
	s_nop 0
	;;#ASMSTART
	v_dot2_f32_f16 v52, v61, v57, v52
	;;#ASMEND
	s_nop 0
	;; [unrolled: 4-line block ×3, first 2 shown]
	;;#ASMSTART
	v_dot2_f32_f16 v52, v63, v59, v52
	;;#ASMEND
	s_waitcnt lgkmcnt(0)
	;;#ASMSTART
	v_dot2_f32_f16 v22, v60, v76, v22
	;;#ASMEND
	s_nop 0
	;;#ASMSTART
	v_dot2_f32_f16 v22, v61, v77, v22
	;;#ASMEND
	s_nop 0
	;;#ASMSTART
	v_dot2_f32_f16 v22, v62, v78, v22
	;;#ASMEND
	s_nop 0
	;;#ASMSTART
	v_dot2_f32_f16 v22, v63, v79, v22
	;;#ASMEND
	;;#ASMSTART
	v_dot2_f32_f16 v53, v64, v56, v53
	;;#ASMEND
	s_nop 0
	;;#ASMSTART
	v_dot2_f32_f16 v53, v65, v57, v53
	;;#ASMEND
	s_nop 0
	;;#ASMSTART
	v_dot2_f32_f16 v53, v66, v58, v53
	;;#ASMEND
	s_nop 0
	;;#ASMSTART
	v_dot2_f32_f16 v53, v67, v59, v53
	;;#ASMEND
	;;#ASMSTART
	v_dot2_f32_f16 v23, v64, v76, v23
	;;#ASMEND
	s_nop 0
	;;#ASMSTART
	v_dot2_f32_f16 v23, v65, v77, v23
	;;#ASMEND
	s_nop 0
	;;#ASMSTART
	v_dot2_f32_f16 v23, v66, v78, v23
	;;#ASMEND
	s_nop 0
	;;#ASMSTART
	v_dot2_f32_f16 v23, v67, v79, v23
	;;#ASMEND
	;;#ASMSTART
	v_dot2_f32_f16 v54, v68, v56, v54
	;;#ASMEND
	s_nop 0
	;;#ASMSTART
	v_dot2_f32_f16 v54, v69, v57, v54
	;;#ASMEND
	s_nop 0
	;;#ASMSTART
	v_dot2_f32_f16 v54, v70, v58, v54
	;;#ASMEND
	s_nop 0
	;;#ASMSTART
	v_dot2_f32_f16 v54, v71, v59, v54
	;;#ASMEND
	;;#ASMSTART
	v_dot2_f32_f16 v50, v68, v76, v50
	;;#ASMEND
	s_nop 0
	;;#ASMSTART
	v_dot2_f32_f16 v50, v69, v77, v50
	;;#ASMEND
	s_nop 0
	;;#ASMSTART
	v_dot2_f32_f16 v50, v70, v78, v50
	;;#ASMEND
	s_nop 0
	;;#ASMSTART
	v_dot2_f32_f16 v50, v71, v79, v50
	;;#ASMEND
	;;#ASMSTART
	v_dot2_f32_f16 v55, v72, v56, v55
	;;#ASMEND
	s_nop 0
	;;#ASMSTART
	v_dot2_f32_f16 v55, v73, v57, v55
	;;#ASMEND
	s_nop 0
	;;#ASMSTART
	v_dot2_f32_f16 v55, v74, v58, v55
	;;#ASMEND
	s_nop 0
	;;#ASMSTART
	v_dot2_f32_f16 v55, v75, v59, v55
	;;#ASMEND
	;;#ASMSTART
	v_dot2_f32_f16 v51, v72, v76, v51
	;;#ASMEND
	s_nop 0
	;;#ASMSTART
	v_dot2_f32_f16 v51, v73, v77, v51
	;;#ASMEND
	s_nop 0
	;;#ASMSTART
	v_dot2_f32_f16 v51, v74, v78, v51
	;;#ASMEND
	s_nop 0
	;;#ASMSTART
	v_dot2_f32_f16 v51, v75, v79, v51
	;;#ASMEND
	ds_read_b128 v[56:59], v26 offset:336
	ds_read_b128 v[60:63], v29 offset:80
	;; [unrolled: 1-line block ×6, first 2 shown]
	s_waitcnt lgkmcnt(4)
	;;#ASMSTART
	v_dot2_f32_f16 v52, v60, v56, v52
	;;#ASMEND
	s_nop 0
	;;#ASMSTART
	v_dot2_f32_f16 v52, v61, v57, v52
	;;#ASMEND
	s_nop 0
	;; [unrolled: 4-line block ×3, first 2 shown]
	;;#ASMSTART
	v_dot2_f32_f16 v52, v63, v59, v52
	;;#ASMEND
	s_waitcnt lgkmcnt(0)
	;;#ASMSTART
	v_dot2_f32_f16 v22, v60, v76, v22
	;;#ASMEND
	s_nop 0
	;;#ASMSTART
	v_dot2_f32_f16 v22, v61, v77, v22
	;;#ASMEND
	s_nop 0
	;;#ASMSTART
	v_dot2_f32_f16 v22, v62, v78, v22
	;;#ASMEND
	s_nop 0
	;;#ASMSTART
	v_dot2_f32_f16 v22, v63, v79, v22
	;;#ASMEND
	;;#ASMSTART
	v_dot2_f32_f16 v53, v64, v56, v53
	;;#ASMEND
	s_nop 0
	;;#ASMSTART
	v_dot2_f32_f16 v53, v65, v57, v53
	;;#ASMEND
	s_nop 0
	;;#ASMSTART
	v_dot2_f32_f16 v53, v66, v58, v53
	;;#ASMEND
	s_nop 0
	;;#ASMSTART
	v_dot2_f32_f16 v53, v67, v59, v53
	;;#ASMEND
	;; [unrolled: 15-line block ×7, first 2 shown]
	ds_read_b128 v[56:59], v26 offset:352
	ds_read_b128 v[60:63], v29 offset:96
	;; [unrolled: 1-line block ×6, first 2 shown]
	s_waitcnt lgkmcnt(4)
	;;#ASMSTART
	v_dot2_f32_f16 v52, v60, v56, v52
	;;#ASMEND
	s_nop 0
	;;#ASMSTART
	v_dot2_f32_f16 v52, v61, v57, v52
	;;#ASMEND
	s_nop 0
	;; [unrolled: 4-line block ×3, first 2 shown]
	;;#ASMSTART
	v_dot2_f32_f16 v52, v63, v59, v52
	;;#ASMEND
	s_waitcnt lgkmcnt(0)
	;;#ASMSTART
	v_dot2_f32_f16 v22, v60, v76, v22
	;;#ASMEND
	s_nop 0
	;;#ASMSTART
	v_dot2_f32_f16 v22, v61, v77, v22
	;;#ASMEND
	s_nop 0
	;;#ASMSTART
	v_dot2_f32_f16 v22, v62, v78, v22
	;;#ASMEND
	s_nop 0
	;;#ASMSTART
	v_dot2_f32_f16 v22, v63, v79, v22
	;;#ASMEND
	;;#ASMSTART
	v_dot2_f32_f16 v53, v64, v56, v53
	;;#ASMEND
	s_nop 0
	;;#ASMSTART
	v_dot2_f32_f16 v53, v65, v57, v53
	;;#ASMEND
	s_nop 0
	;;#ASMSTART
	v_dot2_f32_f16 v53, v66, v58, v53
	;;#ASMEND
	s_nop 0
	;;#ASMSTART
	v_dot2_f32_f16 v53, v67, v59, v53
	;;#ASMEND
	;; [unrolled: 15-line block ×7, first 2 shown]
	ds_read_b128 v[56:59], v26 offset:368
	ds_read_b128 v[60:63], v29 offset:112
	;; [unrolled: 1-line block ×6, first 2 shown]
	s_waitcnt lgkmcnt(4)
	;;#ASMSTART
	v_dot2_f32_f16 v52, v60, v56, v52
	;;#ASMEND
	s_nop 0
	;;#ASMSTART
	v_dot2_f32_f16 v52, v61, v57, v52
	;;#ASMEND
	s_nop 0
	;; [unrolled: 4-line block ×3, first 2 shown]
	;;#ASMSTART
	v_dot2_f32_f16 v52, v63, v59, v52
	;;#ASMEND
	s_waitcnt lgkmcnt(0)
	;;#ASMSTART
	v_dot2_f32_f16 v22, v60, v76, v22
	;;#ASMEND
	s_nop 0
	;;#ASMSTART
	v_dot2_f32_f16 v22, v61, v77, v22
	;;#ASMEND
	s_nop 0
	;;#ASMSTART
	v_dot2_f32_f16 v22, v62, v78, v22
	;;#ASMEND
	s_nop 0
	;;#ASMSTART
	v_dot2_f32_f16 v22, v63, v79, v22
	;;#ASMEND
	;;#ASMSTART
	v_dot2_f32_f16 v53, v64, v56, v53
	;;#ASMEND
	s_nop 0
	;;#ASMSTART
	v_dot2_f32_f16 v53, v65, v57, v53
	;;#ASMEND
	s_nop 0
	;;#ASMSTART
	v_dot2_f32_f16 v53, v66, v58, v53
	;;#ASMEND
	s_nop 0
	;;#ASMSTART
	v_dot2_f32_f16 v53, v67, v59, v53
	;;#ASMEND
	;; [unrolled: 15-line block ×7, first 2 shown]
	s_barrier
	global_load_dwordx4 v[56:59], v[0:1], off offset:384
	global_load_dwordx4 v[60:63], v[2:3], off offset:384
	s_waitcnt vmcnt(1)
	ds_write_b128 v27, v[56:59]
	s_waitcnt vmcnt(0)
	ds_write_b128 v28, v[60:63]
	s_waitcnt lgkmcnt(0)
	s_barrier
	ds_read_b128 v[56:59], v26 offset:384
	ds_read_b128 v[60:63], v29
	ds_read_b128 v[64:67], v29 offset:4608
	ds_read_b128 v[68:71], v29 offset:9216
	;; [unrolled: 1-line block ×4, first 2 shown]
	s_waitcnt lgkmcnt(4)
	;;#ASMSTART
	v_dot2_f32_f16 v52, v60, v56, v52
	;;#ASMEND
	s_nop 0
	;;#ASMSTART
	v_dot2_f32_f16 v52, v61, v57, v52
	;;#ASMEND
	s_nop 0
	;; [unrolled: 4-line block ×3, first 2 shown]
	;;#ASMSTART
	v_dot2_f32_f16 v52, v63, v59, v52
	;;#ASMEND
	s_waitcnt lgkmcnt(0)
	;;#ASMSTART
	v_dot2_f32_f16 v22, v60, v76, v22
	;;#ASMEND
	s_nop 0
	;;#ASMSTART
	v_dot2_f32_f16 v22, v61, v77, v22
	;;#ASMEND
	s_nop 0
	;;#ASMSTART
	v_dot2_f32_f16 v22, v62, v78, v22
	;;#ASMEND
	s_nop 0
	;;#ASMSTART
	v_dot2_f32_f16 v22, v63, v79, v22
	;;#ASMEND
	;;#ASMSTART
	v_dot2_f32_f16 v53, v64, v56, v53
	;;#ASMEND
	s_nop 0
	;;#ASMSTART
	v_dot2_f32_f16 v53, v65, v57, v53
	;;#ASMEND
	s_nop 0
	;;#ASMSTART
	v_dot2_f32_f16 v53, v66, v58, v53
	;;#ASMEND
	s_nop 0
	;;#ASMSTART
	v_dot2_f32_f16 v53, v67, v59, v53
	;;#ASMEND
	;; [unrolled: 15-line block ×7, first 2 shown]
	ds_read_b128 v[56:59], v26 offset:400
	ds_read_b128 v[60:63], v29 offset:16
	;; [unrolled: 1-line block ×6, first 2 shown]
	s_waitcnt lgkmcnt(4)
	;;#ASMSTART
	v_dot2_f32_f16 v52, v60, v56, v52
	;;#ASMEND
	s_nop 0
	;;#ASMSTART
	v_dot2_f32_f16 v52, v61, v57, v52
	;;#ASMEND
	s_nop 0
	;;#ASMSTART
	v_dot2_f32_f16 v52, v62, v58, v52
	;;#ASMEND
	s_nop 0
	;;#ASMSTART
	v_dot2_f32_f16 v52, v63, v59, v52
	;;#ASMEND
	s_waitcnt lgkmcnt(0)
	;;#ASMSTART
	v_dot2_f32_f16 v22, v60, v76, v22
	;;#ASMEND
	s_nop 0
	;;#ASMSTART
	v_dot2_f32_f16 v22, v61, v77, v22
	;;#ASMEND
	s_nop 0
	;;#ASMSTART
	v_dot2_f32_f16 v22, v62, v78, v22
	;;#ASMEND
	s_nop 0
	;;#ASMSTART
	v_dot2_f32_f16 v22, v63, v79, v22
	;;#ASMEND
	;;#ASMSTART
	v_dot2_f32_f16 v53, v64, v56, v53
	;;#ASMEND
	s_nop 0
	;;#ASMSTART
	v_dot2_f32_f16 v53, v65, v57, v53
	;;#ASMEND
	s_nop 0
	;;#ASMSTART
	v_dot2_f32_f16 v53, v66, v58, v53
	;;#ASMEND
	s_nop 0
	;;#ASMSTART
	v_dot2_f32_f16 v53, v67, v59, v53
	;;#ASMEND
	;;#ASMSTART
	v_dot2_f32_f16 v23, v64, v76, v23
	;;#ASMEND
	s_nop 0
	;;#ASMSTART
	v_dot2_f32_f16 v23, v65, v77, v23
	;;#ASMEND
	s_nop 0
	;;#ASMSTART
	v_dot2_f32_f16 v23, v66, v78, v23
	;;#ASMEND
	s_nop 0
	;;#ASMSTART
	v_dot2_f32_f16 v23, v67, v79, v23
	;;#ASMEND
	;;#ASMSTART
	v_dot2_f32_f16 v54, v68, v56, v54
	;;#ASMEND
	s_nop 0
	;;#ASMSTART
	v_dot2_f32_f16 v54, v69, v57, v54
	;;#ASMEND
	s_nop 0
	;;#ASMSTART
	v_dot2_f32_f16 v54, v70, v58, v54
	;;#ASMEND
	s_nop 0
	;;#ASMSTART
	v_dot2_f32_f16 v54, v71, v59, v54
	;;#ASMEND
	;;#ASMSTART
	v_dot2_f32_f16 v50, v68, v76, v50
	;;#ASMEND
	s_nop 0
	;;#ASMSTART
	v_dot2_f32_f16 v50, v69, v77, v50
	;;#ASMEND
	s_nop 0
	;;#ASMSTART
	v_dot2_f32_f16 v50, v70, v78, v50
	;;#ASMEND
	s_nop 0
	;;#ASMSTART
	v_dot2_f32_f16 v50, v71, v79, v50
	;;#ASMEND
	;;#ASMSTART
	v_dot2_f32_f16 v55, v72, v56, v55
	;;#ASMEND
	s_nop 0
	;;#ASMSTART
	v_dot2_f32_f16 v55, v73, v57, v55
	;;#ASMEND
	s_nop 0
	;;#ASMSTART
	v_dot2_f32_f16 v55, v74, v58, v55
	;;#ASMEND
	s_nop 0
	;;#ASMSTART
	v_dot2_f32_f16 v55, v75, v59, v55
	;;#ASMEND
	;;#ASMSTART
	v_dot2_f32_f16 v51, v72, v76, v51
	;;#ASMEND
	s_nop 0
	;;#ASMSTART
	v_dot2_f32_f16 v51, v73, v77, v51
	;;#ASMEND
	s_nop 0
	;;#ASMSTART
	v_dot2_f32_f16 v51, v74, v78, v51
	;;#ASMEND
	s_nop 0
	;;#ASMSTART
	v_dot2_f32_f16 v51, v75, v79, v51
	;;#ASMEND
	ds_read_b128 v[56:59], v26 offset:416
	ds_read_b128 v[60:63], v29 offset:32
	ds_read_b128 v[64:67], v29 offset:4640
	ds_read_b128 v[68:71], v29 offset:9248
	ds_read_b128 v[72:75], v29 offset:13856
	ds_read_b128 v[76:79], v26 offset:1440
	s_waitcnt lgkmcnt(4)
	;;#ASMSTART
	v_dot2_f32_f16 v52, v60, v56, v52
	;;#ASMEND
	s_nop 0
	;;#ASMSTART
	v_dot2_f32_f16 v52, v61, v57, v52
	;;#ASMEND
	s_nop 0
	;; [unrolled: 4-line block ×3, first 2 shown]
	;;#ASMSTART
	v_dot2_f32_f16 v52, v63, v59, v52
	;;#ASMEND
	s_waitcnt lgkmcnt(0)
	;;#ASMSTART
	v_dot2_f32_f16 v22, v60, v76, v22
	;;#ASMEND
	s_nop 0
	;;#ASMSTART
	v_dot2_f32_f16 v22, v61, v77, v22
	;;#ASMEND
	s_nop 0
	;;#ASMSTART
	v_dot2_f32_f16 v22, v62, v78, v22
	;;#ASMEND
	s_nop 0
	;;#ASMSTART
	v_dot2_f32_f16 v22, v63, v79, v22
	;;#ASMEND
	;;#ASMSTART
	v_dot2_f32_f16 v53, v64, v56, v53
	;;#ASMEND
	s_nop 0
	;;#ASMSTART
	v_dot2_f32_f16 v53, v65, v57, v53
	;;#ASMEND
	s_nop 0
	;;#ASMSTART
	v_dot2_f32_f16 v53, v66, v58, v53
	;;#ASMEND
	s_nop 0
	;;#ASMSTART
	v_dot2_f32_f16 v53, v67, v59, v53
	;;#ASMEND
	;; [unrolled: 15-line block ×7, first 2 shown]
	ds_read_b128 v[56:59], v26 offset:432
	ds_read_b128 v[60:63], v29 offset:48
	;; [unrolled: 1-line block ×6, first 2 shown]
	s_waitcnt lgkmcnt(4)
	;;#ASMSTART
	v_dot2_f32_f16 v52, v60, v56, v52
	;;#ASMEND
	s_nop 0
	;;#ASMSTART
	v_dot2_f32_f16 v52, v61, v57, v52
	;;#ASMEND
	s_nop 0
	;; [unrolled: 4-line block ×3, first 2 shown]
	;;#ASMSTART
	v_dot2_f32_f16 v52, v63, v59, v52
	;;#ASMEND
	s_waitcnt lgkmcnt(0)
	;;#ASMSTART
	v_dot2_f32_f16 v22, v60, v76, v22
	;;#ASMEND
	s_nop 0
	;;#ASMSTART
	v_dot2_f32_f16 v22, v61, v77, v22
	;;#ASMEND
	s_nop 0
	;;#ASMSTART
	v_dot2_f32_f16 v22, v62, v78, v22
	;;#ASMEND
	s_nop 0
	;;#ASMSTART
	v_dot2_f32_f16 v22, v63, v79, v22
	;;#ASMEND
	;;#ASMSTART
	v_dot2_f32_f16 v53, v64, v56, v53
	;;#ASMEND
	s_nop 0
	;;#ASMSTART
	v_dot2_f32_f16 v53, v65, v57, v53
	;;#ASMEND
	s_nop 0
	;;#ASMSTART
	v_dot2_f32_f16 v53, v66, v58, v53
	;;#ASMEND
	s_nop 0
	;;#ASMSTART
	v_dot2_f32_f16 v53, v67, v59, v53
	;;#ASMEND
	;; [unrolled: 15-line block ×7, first 2 shown]
	ds_read_b128 v[56:59], v26 offset:448
	ds_read_b128 v[60:63], v29 offset:64
	;; [unrolled: 1-line block ×6, first 2 shown]
	s_waitcnt lgkmcnt(4)
	;;#ASMSTART
	v_dot2_f32_f16 v52, v60, v56, v52
	;;#ASMEND
	s_nop 0
	;;#ASMSTART
	v_dot2_f32_f16 v52, v61, v57, v52
	;;#ASMEND
	s_nop 0
	;; [unrolled: 4-line block ×3, first 2 shown]
	;;#ASMSTART
	v_dot2_f32_f16 v52, v63, v59, v52
	;;#ASMEND
	s_waitcnt lgkmcnt(0)
	;;#ASMSTART
	v_dot2_f32_f16 v22, v60, v76, v22
	;;#ASMEND
	s_nop 0
	;;#ASMSTART
	v_dot2_f32_f16 v22, v61, v77, v22
	;;#ASMEND
	s_nop 0
	;;#ASMSTART
	v_dot2_f32_f16 v22, v62, v78, v22
	;;#ASMEND
	s_nop 0
	;;#ASMSTART
	v_dot2_f32_f16 v22, v63, v79, v22
	;;#ASMEND
	;;#ASMSTART
	v_dot2_f32_f16 v53, v64, v56, v53
	;;#ASMEND
	s_nop 0
	;;#ASMSTART
	v_dot2_f32_f16 v53, v65, v57, v53
	;;#ASMEND
	s_nop 0
	;;#ASMSTART
	v_dot2_f32_f16 v53, v66, v58, v53
	;;#ASMEND
	s_nop 0
	;;#ASMSTART
	v_dot2_f32_f16 v53, v67, v59, v53
	;;#ASMEND
	;; [unrolled: 15-line block ×7, first 2 shown]
	ds_read_b128 v[56:59], v26 offset:464
	ds_read_b128 v[60:63], v29 offset:80
	;; [unrolled: 1-line block ×6, first 2 shown]
	s_waitcnt lgkmcnt(4)
	;;#ASMSTART
	v_dot2_f32_f16 v52, v60, v56, v52
	;;#ASMEND
	s_nop 0
	;;#ASMSTART
	v_dot2_f32_f16 v52, v61, v57, v52
	;;#ASMEND
	s_nop 0
	;; [unrolled: 4-line block ×3, first 2 shown]
	;;#ASMSTART
	v_dot2_f32_f16 v52, v63, v59, v52
	;;#ASMEND
	s_waitcnt lgkmcnt(0)
	;;#ASMSTART
	v_dot2_f32_f16 v22, v60, v76, v22
	;;#ASMEND
	s_nop 0
	;;#ASMSTART
	v_dot2_f32_f16 v22, v61, v77, v22
	;;#ASMEND
	s_nop 0
	;;#ASMSTART
	v_dot2_f32_f16 v22, v62, v78, v22
	;;#ASMEND
	s_nop 0
	;;#ASMSTART
	v_dot2_f32_f16 v22, v63, v79, v22
	;;#ASMEND
	;;#ASMSTART
	v_dot2_f32_f16 v53, v64, v56, v53
	;;#ASMEND
	s_nop 0
	;;#ASMSTART
	v_dot2_f32_f16 v53, v65, v57, v53
	;;#ASMEND
	s_nop 0
	;;#ASMSTART
	v_dot2_f32_f16 v53, v66, v58, v53
	;;#ASMEND
	s_nop 0
	;;#ASMSTART
	v_dot2_f32_f16 v53, v67, v59, v53
	;;#ASMEND
	;; [unrolled: 15-line block ×7, first 2 shown]
	ds_read_b128 v[56:59], v26 offset:480
	ds_read_b128 v[60:63], v29 offset:96
	;; [unrolled: 1-line block ×6, first 2 shown]
	s_waitcnt lgkmcnt(4)
	;;#ASMSTART
	v_dot2_f32_f16 v52, v60, v56, v52
	;;#ASMEND
	s_nop 0
	;;#ASMSTART
	v_dot2_f32_f16 v52, v61, v57, v52
	;;#ASMEND
	s_nop 0
	;; [unrolled: 4-line block ×3, first 2 shown]
	;;#ASMSTART
	v_dot2_f32_f16 v52, v63, v59, v52
	;;#ASMEND
	s_waitcnt lgkmcnt(0)
	;;#ASMSTART
	v_dot2_f32_f16 v22, v60, v76, v22
	;;#ASMEND
	s_nop 0
	;;#ASMSTART
	v_dot2_f32_f16 v22, v61, v77, v22
	;;#ASMEND
	s_nop 0
	;;#ASMSTART
	v_dot2_f32_f16 v22, v62, v78, v22
	;;#ASMEND
	s_nop 0
	;;#ASMSTART
	v_dot2_f32_f16 v22, v63, v79, v22
	;;#ASMEND
	;;#ASMSTART
	v_dot2_f32_f16 v53, v64, v56, v53
	;;#ASMEND
	s_nop 0
	;;#ASMSTART
	v_dot2_f32_f16 v53, v65, v57, v53
	;;#ASMEND
	s_nop 0
	;;#ASMSTART
	v_dot2_f32_f16 v53, v66, v58, v53
	;;#ASMEND
	s_nop 0
	;;#ASMSTART
	v_dot2_f32_f16 v53, v67, v59, v53
	;;#ASMEND
	;; [unrolled: 15-line block ×7, first 2 shown]
	ds_read_b128 v[56:59], v26 offset:496
	ds_read_b128 v[60:63], v29 offset:112
	;; [unrolled: 1-line block ×6, first 2 shown]
	s_waitcnt lgkmcnt(4)
	;;#ASMSTART
	v_dot2_f32_f16 v52, v60, v56, v52
	;;#ASMEND
	s_nop 0
	;;#ASMSTART
	v_dot2_f32_f16 v52, v61, v57, v52
	;;#ASMEND
	s_nop 0
	;; [unrolled: 4-line block ×3, first 2 shown]
	;;#ASMSTART
	v_dot2_f32_f16 v52, v63, v59, v52
	;;#ASMEND
	s_waitcnt lgkmcnt(0)
	;;#ASMSTART
	v_dot2_f32_f16 v22, v60, v76, v22
	;;#ASMEND
	s_nop 0
	;;#ASMSTART
	v_dot2_f32_f16 v22, v61, v77, v22
	;;#ASMEND
	s_nop 0
	;;#ASMSTART
	v_dot2_f32_f16 v22, v62, v78, v22
	;;#ASMEND
	s_nop 0
	;;#ASMSTART
	v_dot2_f32_f16 v22, v63, v79, v22
	;;#ASMEND
	;;#ASMSTART
	v_dot2_f32_f16 v53, v64, v56, v53
	;;#ASMEND
	s_nop 0
	;;#ASMSTART
	v_dot2_f32_f16 v53, v65, v57, v53
	;;#ASMEND
	s_nop 0
	;;#ASMSTART
	v_dot2_f32_f16 v53, v66, v58, v53
	;;#ASMEND
	s_nop 0
	;;#ASMSTART
	v_dot2_f32_f16 v53, v67, v59, v53
	;;#ASMEND
	;; [unrolled: 15-line block ×7, first 2 shown]
	s_barrier
	global_load_dwordx4 v[56:59], v[0:1], off offset:512
	global_load_dwordx4 v[60:63], v[2:3], off offset:512
	s_waitcnt vmcnt(1)
	ds_write_b128 v27, v[56:59]
	s_waitcnt vmcnt(0)
	ds_write_b128 v28, v[60:63]
	s_waitcnt lgkmcnt(0)
	s_barrier
	ds_read_b128 v[56:59], v26 offset:512
	ds_read_b128 v[60:63], v29
	ds_read_b128 v[64:67], v29 offset:4608
	ds_read_b128 v[68:71], v29 offset:9216
	;; [unrolled: 1-line block ×4, first 2 shown]
	s_waitcnt lgkmcnt(4)
	;;#ASMSTART
	v_dot2_f32_f16 v52, v60, v56, v52
	;;#ASMEND
	s_nop 0
	;;#ASMSTART
	v_dot2_f32_f16 v52, v61, v57, v52
	;;#ASMEND
	s_nop 0
	;; [unrolled: 4-line block ×3, first 2 shown]
	;;#ASMSTART
	v_dot2_f32_f16 v52, v63, v59, v52
	;;#ASMEND
	s_waitcnt lgkmcnt(0)
	;;#ASMSTART
	v_dot2_f32_f16 v22, v60, v76, v22
	;;#ASMEND
	s_nop 0
	;;#ASMSTART
	v_dot2_f32_f16 v22, v61, v77, v22
	;;#ASMEND
	s_nop 0
	;;#ASMSTART
	v_dot2_f32_f16 v22, v62, v78, v22
	;;#ASMEND
	s_nop 0
	;;#ASMSTART
	v_dot2_f32_f16 v22, v63, v79, v22
	;;#ASMEND
	;;#ASMSTART
	v_dot2_f32_f16 v53, v64, v56, v53
	;;#ASMEND
	s_nop 0
	;;#ASMSTART
	v_dot2_f32_f16 v53, v65, v57, v53
	;;#ASMEND
	s_nop 0
	;;#ASMSTART
	v_dot2_f32_f16 v53, v66, v58, v53
	;;#ASMEND
	s_nop 0
	;;#ASMSTART
	v_dot2_f32_f16 v53, v67, v59, v53
	;;#ASMEND
	;; [unrolled: 15-line block ×7, first 2 shown]
	ds_read_b128 v[56:59], v26 offset:528
	ds_read_b128 v[60:63], v29 offset:16
	;; [unrolled: 1-line block ×6, first 2 shown]
	s_waitcnt lgkmcnt(4)
	;;#ASMSTART
	v_dot2_f32_f16 v52, v60, v56, v52
	;;#ASMEND
	s_nop 0
	;;#ASMSTART
	v_dot2_f32_f16 v52, v61, v57, v52
	;;#ASMEND
	s_nop 0
	;; [unrolled: 4-line block ×3, first 2 shown]
	;;#ASMSTART
	v_dot2_f32_f16 v52, v63, v59, v52
	;;#ASMEND
	s_waitcnt lgkmcnt(0)
	;;#ASMSTART
	v_dot2_f32_f16 v22, v60, v76, v22
	;;#ASMEND
	s_nop 0
	;;#ASMSTART
	v_dot2_f32_f16 v22, v61, v77, v22
	;;#ASMEND
	s_nop 0
	;;#ASMSTART
	v_dot2_f32_f16 v22, v62, v78, v22
	;;#ASMEND
	s_nop 0
	;;#ASMSTART
	v_dot2_f32_f16 v22, v63, v79, v22
	;;#ASMEND
	;;#ASMSTART
	v_dot2_f32_f16 v53, v64, v56, v53
	;;#ASMEND
	s_nop 0
	;;#ASMSTART
	v_dot2_f32_f16 v53, v65, v57, v53
	;;#ASMEND
	s_nop 0
	;;#ASMSTART
	v_dot2_f32_f16 v53, v66, v58, v53
	;;#ASMEND
	s_nop 0
	;;#ASMSTART
	v_dot2_f32_f16 v53, v67, v59, v53
	;;#ASMEND
	;; [unrolled: 15-line block ×7, first 2 shown]
	ds_read_b128 v[56:59], v26 offset:544
	ds_read_b128 v[60:63], v29 offset:32
	;; [unrolled: 1-line block ×6, first 2 shown]
	s_waitcnt lgkmcnt(4)
	;;#ASMSTART
	v_dot2_f32_f16 v52, v60, v56, v52
	;;#ASMEND
	s_nop 0
	;;#ASMSTART
	v_dot2_f32_f16 v52, v61, v57, v52
	;;#ASMEND
	s_nop 0
	;; [unrolled: 4-line block ×3, first 2 shown]
	;;#ASMSTART
	v_dot2_f32_f16 v52, v63, v59, v52
	;;#ASMEND
	s_waitcnt lgkmcnt(0)
	;;#ASMSTART
	v_dot2_f32_f16 v22, v60, v76, v22
	;;#ASMEND
	s_nop 0
	;;#ASMSTART
	v_dot2_f32_f16 v22, v61, v77, v22
	;;#ASMEND
	s_nop 0
	;;#ASMSTART
	v_dot2_f32_f16 v22, v62, v78, v22
	;;#ASMEND
	s_nop 0
	;;#ASMSTART
	v_dot2_f32_f16 v22, v63, v79, v22
	;;#ASMEND
	;;#ASMSTART
	v_dot2_f32_f16 v53, v64, v56, v53
	;;#ASMEND
	s_nop 0
	;;#ASMSTART
	v_dot2_f32_f16 v53, v65, v57, v53
	;;#ASMEND
	s_nop 0
	;;#ASMSTART
	v_dot2_f32_f16 v53, v66, v58, v53
	;;#ASMEND
	s_nop 0
	;;#ASMSTART
	v_dot2_f32_f16 v53, v67, v59, v53
	;;#ASMEND
	;; [unrolled: 15-line block ×7, first 2 shown]
	ds_read_b128 v[56:59], v26 offset:560
	ds_read_b128 v[60:63], v29 offset:48
	;; [unrolled: 1-line block ×6, first 2 shown]
	s_waitcnt lgkmcnt(4)
	;;#ASMSTART
	v_dot2_f32_f16 v52, v60, v56, v52
	;;#ASMEND
	s_nop 0
	;;#ASMSTART
	v_dot2_f32_f16 v52, v61, v57, v52
	;;#ASMEND
	s_nop 0
	;; [unrolled: 4-line block ×3, first 2 shown]
	;;#ASMSTART
	v_dot2_f32_f16 v52, v63, v59, v52
	;;#ASMEND
	s_waitcnt lgkmcnt(0)
	;;#ASMSTART
	v_dot2_f32_f16 v22, v60, v76, v22
	;;#ASMEND
	s_nop 0
	;;#ASMSTART
	v_dot2_f32_f16 v22, v61, v77, v22
	;;#ASMEND
	s_nop 0
	;;#ASMSTART
	v_dot2_f32_f16 v22, v62, v78, v22
	;;#ASMEND
	s_nop 0
	;;#ASMSTART
	v_dot2_f32_f16 v22, v63, v79, v22
	;;#ASMEND
	;;#ASMSTART
	v_dot2_f32_f16 v53, v64, v56, v53
	;;#ASMEND
	s_nop 0
	;;#ASMSTART
	v_dot2_f32_f16 v53, v65, v57, v53
	;;#ASMEND
	s_nop 0
	;;#ASMSTART
	v_dot2_f32_f16 v53, v66, v58, v53
	;;#ASMEND
	s_nop 0
	;;#ASMSTART
	v_dot2_f32_f16 v53, v67, v59, v53
	;;#ASMEND
	;; [unrolled: 15-line block ×7, first 2 shown]
	ds_read_b128 v[56:59], v26 offset:576
	ds_read_b128 v[60:63], v29 offset:64
	;; [unrolled: 1-line block ×6, first 2 shown]
	s_waitcnt lgkmcnt(4)
	;;#ASMSTART
	v_dot2_f32_f16 v52, v60, v56, v52
	;;#ASMEND
	s_nop 0
	;;#ASMSTART
	v_dot2_f32_f16 v52, v61, v57, v52
	;;#ASMEND
	s_nop 0
	;; [unrolled: 4-line block ×3, first 2 shown]
	;;#ASMSTART
	v_dot2_f32_f16 v52, v63, v59, v52
	;;#ASMEND
	s_waitcnt lgkmcnt(0)
	;;#ASMSTART
	v_dot2_f32_f16 v22, v60, v76, v22
	;;#ASMEND
	s_nop 0
	;;#ASMSTART
	v_dot2_f32_f16 v22, v61, v77, v22
	;;#ASMEND
	s_nop 0
	;;#ASMSTART
	v_dot2_f32_f16 v22, v62, v78, v22
	;;#ASMEND
	s_nop 0
	;;#ASMSTART
	v_dot2_f32_f16 v22, v63, v79, v22
	;;#ASMEND
	;;#ASMSTART
	v_dot2_f32_f16 v53, v64, v56, v53
	;;#ASMEND
	s_nop 0
	;;#ASMSTART
	v_dot2_f32_f16 v53, v65, v57, v53
	;;#ASMEND
	s_nop 0
	;;#ASMSTART
	v_dot2_f32_f16 v53, v66, v58, v53
	;;#ASMEND
	s_nop 0
	;;#ASMSTART
	v_dot2_f32_f16 v53, v67, v59, v53
	;;#ASMEND
	;; [unrolled: 15-line block ×7, first 2 shown]
	ds_read_b128 v[56:59], v26 offset:592
	ds_read_b128 v[60:63], v29 offset:80
	;; [unrolled: 1-line block ×6, first 2 shown]
	s_waitcnt lgkmcnt(4)
	;;#ASMSTART
	v_dot2_f32_f16 v52, v60, v56, v52
	;;#ASMEND
	s_nop 0
	;;#ASMSTART
	v_dot2_f32_f16 v52, v61, v57, v52
	;;#ASMEND
	s_nop 0
	;;#ASMSTART
	v_dot2_f32_f16 v52, v62, v58, v52
	;;#ASMEND
	s_nop 0
	;;#ASMSTART
	v_dot2_f32_f16 v52, v63, v59, v52
	;;#ASMEND
	s_waitcnt lgkmcnt(0)
	;;#ASMSTART
	v_dot2_f32_f16 v22, v60, v76, v22
	;;#ASMEND
	s_nop 0
	;;#ASMSTART
	v_dot2_f32_f16 v22, v61, v77, v22
	;;#ASMEND
	s_nop 0
	;;#ASMSTART
	v_dot2_f32_f16 v22, v62, v78, v22
	;;#ASMEND
	s_nop 0
	;;#ASMSTART
	v_dot2_f32_f16 v22, v63, v79, v22
	;;#ASMEND
	;;#ASMSTART
	v_dot2_f32_f16 v53, v64, v56, v53
	;;#ASMEND
	s_nop 0
	;;#ASMSTART
	v_dot2_f32_f16 v53, v65, v57, v53
	;;#ASMEND
	s_nop 0
	;;#ASMSTART
	v_dot2_f32_f16 v53, v66, v58, v53
	;;#ASMEND
	s_nop 0
	;;#ASMSTART
	v_dot2_f32_f16 v53, v67, v59, v53
	;;#ASMEND
	;; [unrolled: 15-line block ×7, first 2 shown]
	ds_read_b128 v[56:59], v26 offset:608
	ds_read_b128 v[60:63], v29 offset:96
	;; [unrolled: 1-line block ×6, first 2 shown]
	s_waitcnt lgkmcnt(4)
	;;#ASMSTART
	v_dot2_f32_f16 v52, v60, v56, v52
	;;#ASMEND
	s_nop 0
	;;#ASMSTART
	v_dot2_f32_f16 v52, v61, v57, v52
	;;#ASMEND
	s_nop 0
	;; [unrolled: 4-line block ×3, first 2 shown]
	;;#ASMSTART
	v_dot2_f32_f16 v52, v63, v59, v52
	;;#ASMEND
	s_waitcnt lgkmcnt(0)
	;;#ASMSTART
	v_dot2_f32_f16 v22, v60, v76, v22
	;;#ASMEND
	s_nop 0
	;;#ASMSTART
	v_dot2_f32_f16 v22, v61, v77, v22
	;;#ASMEND
	s_nop 0
	;;#ASMSTART
	v_dot2_f32_f16 v22, v62, v78, v22
	;;#ASMEND
	s_nop 0
	;;#ASMSTART
	v_dot2_f32_f16 v22, v63, v79, v22
	;;#ASMEND
	;;#ASMSTART
	v_dot2_f32_f16 v53, v64, v56, v53
	;;#ASMEND
	s_nop 0
	;;#ASMSTART
	v_dot2_f32_f16 v53, v65, v57, v53
	;;#ASMEND
	s_nop 0
	;;#ASMSTART
	v_dot2_f32_f16 v53, v66, v58, v53
	;;#ASMEND
	s_nop 0
	;;#ASMSTART
	v_dot2_f32_f16 v53, v67, v59, v53
	;;#ASMEND
	;; [unrolled: 15-line block ×7, first 2 shown]
	ds_read_b128 v[56:59], v26 offset:624
	ds_read_b128 v[60:63], v29 offset:112
	;; [unrolled: 1-line block ×6, first 2 shown]
	s_waitcnt lgkmcnt(4)
	;;#ASMSTART
	v_dot2_f32_f16 v52, v60, v56, v52
	;;#ASMEND
	s_nop 0
	;;#ASMSTART
	v_dot2_f32_f16 v52, v61, v57, v52
	;;#ASMEND
	s_nop 0
	;; [unrolled: 4-line block ×3, first 2 shown]
	;;#ASMSTART
	v_dot2_f32_f16 v52, v63, v59, v52
	;;#ASMEND
	s_waitcnt lgkmcnt(0)
	;;#ASMSTART
	v_dot2_f32_f16 v22, v60, v76, v22
	;;#ASMEND
	s_nop 0
	;;#ASMSTART
	v_dot2_f32_f16 v22, v61, v77, v22
	;;#ASMEND
	s_nop 0
	;;#ASMSTART
	v_dot2_f32_f16 v22, v62, v78, v22
	;;#ASMEND
	s_nop 0
	;;#ASMSTART
	v_dot2_f32_f16 v22, v63, v79, v22
	;;#ASMEND
	;;#ASMSTART
	v_dot2_f32_f16 v53, v64, v56, v53
	;;#ASMEND
	s_nop 0
	;;#ASMSTART
	v_dot2_f32_f16 v53, v65, v57, v53
	;;#ASMEND
	s_nop 0
	;;#ASMSTART
	v_dot2_f32_f16 v53, v66, v58, v53
	;;#ASMEND
	s_nop 0
	;;#ASMSTART
	v_dot2_f32_f16 v53, v67, v59, v53
	;;#ASMEND
	;; [unrolled: 15-line block ×7, first 2 shown]
	s_barrier
	global_load_dwordx4 v[56:59], v[0:1], off offset:640
	global_load_dwordx4 v[60:63], v[2:3], off offset:640
	s_waitcnt vmcnt(1)
	ds_write_b128 v27, v[56:59]
	s_waitcnt vmcnt(0)
	ds_write_b128 v28, v[60:63]
	s_waitcnt lgkmcnt(0)
	s_barrier
	ds_read_b128 v[56:59], v26 offset:640
	ds_read_b128 v[60:63], v29
	ds_read_b128 v[64:67], v29 offset:4608
	ds_read_b128 v[68:71], v29 offset:9216
	;; [unrolled: 1-line block ×4, first 2 shown]
	s_waitcnt lgkmcnt(4)
	;;#ASMSTART
	v_dot2_f32_f16 v52, v60, v56, v52
	;;#ASMEND
	s_nop 0
	;;#ASMSTART
	v_dot2_f32_f16 v52, v61, v57, v52
	;;#ASMEND
	s_nop 0
	;; [unrolled: 4-line block ×3, first 2 shown]
	;;#ASMSTART
	v_dot2_f32_f16 v52, v63, v59, v52
	;;#ASMEND
	s_waitcnt lgkmcnt(0)
	;;#ASMSTART
	v_dot2_f32_f16 v22, v60, v76, v22
	;;#ASMEND
	s_nop 0
	;;#ASMSTART
	v_dot2_f32_f16 v22, v61, v77, v22
	;;#ASMEND
	s_nop 0
	;;#ASMSTART
	v_dot2_f32_f16 v22, v62, v78, v22
	;;#ASMEND
	s_nop 0
	;;#ASMSTART
	v_dot2_f32_f16 v22, v63, v79, v22
	;;#ASMEND
	;;#ASMSTART
	v_dot2_f32_f16 v53, v64, v56, v53
	;;#ASMEND
	s_nop 0
	;;#ASMSTART
	v_dot2_f32_f16 v53, v65, v57, v53
	;;#ASMEND
	s_nop 0
	;;#ASMSTART
	v_dot2_f32_f16 v53, v66, v58, v53
	;;#ASMEND
	s_nop 0
	;;#ASMSTART
	v_dot2_f32_f16 v53, v67, v59, v53
	;;#ASMEND
	;;#ASMSTART
	v_dot2_f32_f16 v23, v64, v76, v23
	;;#ASMEND
	s_nop 0
	;;#ASMSTART
	v_dot2_f32_f16 v23, v65, v77, v23
	;;#ASMEND
	s_nop 0
	;;#ASMSTART
	v_dot2_f32_f16 v23, v66, v78, v23
	;;#ASMEND
	s_nop 0
	;;#ASMSTART
	v_dot2_f32_f16 v23, v67, v79, v23
	;;#ASMEND
	;;#ASMSTART
	v_dot2_f32_f16 v54, v68, v56, v54
	;;#ASMEND
	s_nop 0
	;;#ASMSTART
	v_dot2_f32_f16 v54, v69, v57, v54
	;;#ASMEND
	s_nop 0
	;;#ASMSTART
	v_dot2_f32_f16 v54, v70, v58, v54
	;;#ASMEND
	s_nop 0
	;;#ASMSTART
	v_dot2_f32_f16 v54, v71, v59, v54
	;;#ASMEND
	;;#ASMSTART
	v_dot2_f32_f16 v50, v68, v76, v50
	;;#ASMEND
	s_nop 0
	;;#ASMSTART
	v_dot2_f32_f16 v50, v69, v77, v50
	;;#ASMEND
	s_nop 0
	;;#ASMSTART
	v_dot2_f32_f16 v50, v70, v78, v50
	;;#ASMEND
	s_nop 0
	;;#ASMSTART
	v_dot2_f32_f16 v50, v71, v79, v50
	;;#ASMEND
	;;#ASMSTART
	v_dot2_f32_f16 v55, v72, v56, v55
	;;#ASMEND
	s_nop 0
	;;#ASMSTART
	v_dot2_f32_f16 v55, v73, v57, v55
	;;#ASMEND
	s_nop 0
	;;#ASMSTART
	v_dot2_f32_f16 v55, v74, v58, v55
	;;#ASMEND
	s_nop 0
	;;#ASMSTART
	v_dot2_f32_f16 v55, v75, v59, v55
	;;#ASMEND
	;;#ASMSTART
	v_dot2_f32_f16 v51, v72, v76, v51
	;;#ASMEND
	s_nop 0
	;;#ASMSTART
	v_dot2_f32_f16 v51, v73, v77, v51
	;;#ASMEND
	s_nop 0
	;;#ASMSTART
	v_dot2_f32_f16 v51, v74, v78, v51
	;;#ASMEND
	s_nop 0
	;;#ASMSTART
	v_dot2_f32_f16 v51, v75, v79, v51
	;;#ASMEND
	ds_read_b128 v[56:59], v26 offset:656
	ds_read_b128 v[60:63], v29 offset:16
	;; [unrolled: 1-line block ×6, first 2 shown]
	s_waitcnt lgkmcnt(4)
	;;#ASMSTART
	v_dot2_f32_f16 v52, v60, v56, v52
	;;#ASMEND
	s_nop 0
	;;#ASMSTART
	v_dot2_f32_f16 v52, v61, v57, v52
	;;#ASMEND
	s_nop 0
	;; [unrolled: 4-line block ×3, first 2 shown]
	;;#ASMSTART
	v_dot2_f32_f16 v52, v63, v59, v52
	;;#ASMEND
	s_waitcnt lgkmcnt(0)
	;;#ASMSTART
	v_dot2_f32_f16 v22, v60, v76, v22
	;;#ASMEND
	s_nop 0
	;;#ASMSTART
	v_dot2_f32_f16 v22, v61, v77, v22
	;;#ASMEND
	s_nop 0
	;;#ASMSTART
	v_dot2_f32_f16 v22, v62, v78, v22
	;;#ASMEND
	s_nop 0
	;;#ASMSTART
	v_dot2_f32_f16 v22, v63, v79, v22
	;;#ASMEND
	;;#ASMSTART
	v_dot2_f32_f16 v53, v64, v56, v53
	;;#ASMEND
	s_nop 0
	;;#ASMSTART
	v_dot2_f32_f16 v53, v65, v57, v53
	;;#ASMEND
	s_nop 0
	;;#ASMSTART
	v_dot2_f32_f16 v53, v66, v58, v53
	;;#ASMEND
	s_nop 0
	;;#ASMSTART
	v_dot2_f32_f16 v53, v67, v59, v53
	;;#ASMEND
	;; [unrolled: 15-line block ×7, first 2 shown]
	ds_read_b128 v[56:59], v26 offset:672
	ds_read_b128 v[60:63], v29 offset:32
	;; [unrolled: 1-line block ×6, first 2 shown]
	s_waitcnt lgkmcnt(4)
	;;#ASMSTART
	v_dot2_f32_f16 v52, v60, v56, v52
	;;#ASMEND
	s_nop 0
	;;#ASMSTART
	v_dot2_f32_f16 v52, v61, v57, v52
	;;#ASMEND
	s_nop 0
	;; [unrolled: 4-line block ×3, first 2 shown]
	;;#ASMSTART
	v_dot2_f32_f16 v52, v63, v59, v52
	;;#ASMEND
	s_waitcnt lgkmcnt(0)
	;;#ASMSTART
	v_dot2_f32_f16 v22, v60, v76, v22
	;;#ASMEND
	s_nop 0
	;;#ASMSTART
	v_dot2_f32_f16 v22, v61, v77, v22
	;;#ASMEND
	s_nop 0
	;;#ASMSTART
	v_dot2_f32_f16 v22, v62, v78, v22
	;;#ASMEND
	s_nop 0
	;;#ASMSTART
	v_dot2_f32_f16 v22, v63, v79, v22
	;;#ASMEND
	;;#ASMSTART
	v_dot2_f32_f16 v53, v64, v56, v53
	;;#ASMEND
	s_nop 0
	;;#ASMSTART
	v_dot2_f32_f16 v53, v65, v57, v53
	;;#ASMEND
	s_nop 0
	;;#ASMSTART
	v_dot2_f32_f16 v53, v66, v58, v53
	;;#ASMEND
	s_nop 0
	;;#ASMSTART
	v_dot2_f32_f16 v53, v67, v59, v53
	;;#ASMEND
	;; [unrolled: 15-line block ×7, first 2 shown]
	ds_read_b128 v[56:59], v26 offset:688
	ds_read_b128 v[60:63], v29 offset:48
	;; [unrolled: 1-line block ×6, first 2 shown]
	s_waitcnt lgkmcnt(4)
	;;#ASMSTART
	v_dot2_f32_f16 v52, v60, v56, v52
	;;#ASMEND
	s_nop 0
	;;#ASMSTART
	v_dot2_f32_f16 v52, v61, v57, v52
	;;#ASMEND
	s_nop 0
	;; [unrolled: 4-line block ×3, first 2 shown]
	;;#ASMSTART
	v_dot2_f32_f16 v52, v63, v59, v52
	;;#ASMEND
	s_waitcnt lgkmcnt(0)
	;;#ASMSTART
	v_dot2_f32_f16 v22, v60, v76, v22
	;;#ASMEND
	s_nop 0
	;;#ASMSTART
	v_dot2_f32_f16 v22, v61, v77, v22
	;;#ASMEND
	s_nop 0
	;;#ASMSTART
	v_dot2_f32_f16 v22, v62, v78, v22
	;;#ASMEND
	s_nop 0
	;;#ASMSTART
	v_dot2_f32_f16 v22, v63, v79, v22
	;;#ASMEND
	;;#ASMSTART
	v_dot2_f32_f16 v53, v64, v56, v53
	;;#ASMEND
	s_nop 0
	;;#ASMSTART
	v_dot2_f32_f16 v53, v65, v57, v53
	;;#ASMEND
	s_nop 0
	;;#ASMSTART
	v_dot2_f32_f16 v53, v66, v58, v53
	;;#ASMEND
	s_nop 0
	;;#ASMSTART
	v_dot2_f32_f16 v53, v67, v59, v53
	;;#ASMEND
	;; [unrolled: 15-line block ×7, first 2 shown]
	ds_read_b128 v[56:59], v26 offset:704
	ds_read_b128 v[60:63], v29 offset:64
	ds_read_b128 v[64:67], v29 offset:4672
	ds_read_b128 v[68:71], v29 offset:9280
	ds_read_b128 v[72:75], v29 offset:13888
	ds_read_b128 v[76:79], v26 offset:1728
	s_waitcnt lgkmcnt(4)
	;;#ASMSTART
	v_dot2_f32_f16 v52, v60, v56, v52
	;;#ASMEND
	s_nop 0
	;;#ASMSTART
	v_dot2_f32_f16 v52, v61, v57, v52
	;;#ASMEND
	s_nop 0
	;; [unrolled: 4-line block ×3, first 2 shown]
	;;#ASMSTART
	v_dot2_f32_f16 v52, v63, v59, v52
	;;#ASMEND
	s_waitcnt lgkmcnt(0)
	;;#ASMSTART
	v_dot2_f32_f16 v22, v60, v76, v22
	;;#ASMEND
	s_nop 0
	;;#ASMSTART
	v_dot2_f32_f16 v22, v61, v77, v22
	;;#ASMEND
	s_nop 0
	;;#ASMSTART
	v_dot2_f32_f16 v22, v62, v78, v22
	;;#ASMEND
	s_nop 0
	;;#ASMSTART
	v_dot2_f32_f16 v22, v63, v79, v22
	;;#ASMEND
	;;#ASMSTART
	v_dot2_f32_f16 v53, v64, v56, v53
	;;#ASMEND
	s_nop 0
	;;#ASMSTART
	v_dot2_f32_f16 v53, v65, v57, v53
	;;#ASMEND
	s_nop 0
	;;#ASMSTART
	v_dot2_f32_f16 v53, v66, v58, v53
	;;#ASMEND
	s_nop 0
	;;#ASMSTART
	v_dot2_f32_f16 v53, v67, v59, v53
	;;#ASMEND
	;;#ASMSTART
	v_dot2_f32_f16 v23, v64, v76, v23
	;;#ASMEND
	s_nop 0
	;;#ASMSTART
	v_dot2_f32_f16 v23, v65, v77, v23
	;;#ASMEND
	s_nop 0
	;;#ASMSTART
	v_dot2_f32_f16 v23, v66, v78, v23
	;;#ASMEND
	s_nop 0
	;;#ASMSTART
	v_dot2_f32_f16 v23, v67, v79, v23
	;;#ASMEND
	;;#ASMSTART
	v_dot2_f32_f16 v54, v68, v56, v54
	;;#ASMEND
	s_nop 0
	;;#ASMSTART
	v_dot2_f32_f16 v54, v69, v57, v54
	;;#ASMEND
	s_nop 0
	;;#ASMSTART
	v_dot2_f32_f16 v54, v70, v58, v54
	;;#ASMEND
	s_nop 0
	;;#ASMSTART
	v_dot2_f32_f16 v54, v71, v59, v54
	;;#ASMEND
	;;#ASMSTART
	v_dot2_f32_f16 v50, v68, v76, v50
	;;#ASMEND
	s_nop 0
	;;#ASMSTART
	v_dot2_f32_f16 v50, v69, v77, v50
	;;#ASMEND
	s_nop 0
	;;#ASMSTART
	v_dot2_f32_f16 v50, v70, v78, v50
	;;#ASMEND
	s_nop 0
	;;#ASMSTART
	v_dot2_f32_f16 v50, v71, v79, v50
	;;#ASMEND
	;;#ASMSTART
	v_dot2_f32_f16 v55, v72, v56, v55
	;;#ASMEND
	s_nop 0
	;;#ASMSTART
	v_dot2_f32_f16 v55, v73, v57, v55
	;;#ASMEND
	s_nop 0
	;;#ASMSTART
	v_dot2_f32_f16 v55, v74, v58, v55
	;;#ASMEND
	s_nop 0
	;;#ASMSTART
	v_dot2_f32_f16 v55, v75, v59, v55
	;;#ASMEND
	;;#ASMSTART
	v_dot2_f32_f16 v51, v72, v76, v51
	;;#ASMEND
	s_nop 0
	;;#ASMSTART
	v_dot2_f32_f16 v51, v73, v77, v51
	;;#ASMEND
	s_nop 0
	;;#ASMSTART
	v_dot2_f32_f16 v51, v74, v78, v51
	;;#ASMEND
	s_nop 0
	;;#ASMSTART
	v_dot2_f32_f16 v51, v75, v79, v51
	;;#ASMEND
	ds_read_b128 v[56:59], v26 offset:720
	ds_read_b128 v[60:63], v29 offset:80
	;; [unrolled: 1-line block ×6, first 2 shown]
	s_waitcnt lgkmcnt(4)
	;;#ASMSTART
	v_dot2_f32_f16 v52, v60, v56, v52
	;;#ASMEND
	s_nop 0
	;;#ASMSTART
	v_dot2_f32_f16 v52, v61, v57, v52
	;;#ASMEND
	s_nop 0
	;; [unrolled: 4-line block ×3, first 2 shown]
	;;#ASMSTART
	v_dot2_f32_f16 v52, v63, v59, v52
	;;#ASMEND
	s_waitcnt lgkmcnt(0)
	;;#ASMSTART
	v_dot2_f32_f16 v22, v60, v76, v22
	;;#ASMEND
	s_nop 0
	;;#ASMSTART
	v_dot2_f32_f16 v22, v61, v77, v22
	;;#ASMEND
	s_nop 0
	;;#ASMSTART
	v_dot2_f32_f16 v22, v62, v78, v22
	;;#ASMEND
	s_nop 0
	;;#ASMSTART
	v_dot2_f32_f16 v22, v63, v79, v22
	;;#ASMEND
	;;#ASMSTART
	v_dot2_f32_f16 v53, v64, v56, v53
	;;#ASMEND
	s_nop 0
	;;#ASMSTART
	v_dot2_f32_f16 v53, v65, v57, v53
	;;#ASMEND
	s_nop 0
	;;#ASMSTART
	v_dot2_f32_f16 v53, v66, v58, v53
	;;#ASMEND
	s_nop 0
	;;#ASMSTART
	v_dot2_f32_f16 v53, v67, v59, v53
	;;#ASMEND
	;; [unrolled: 15-line block ×7, first 2 shown]
	ds_read_b128 v[56:59], v26 offset:736
	ds_read_b128 v[60:63], v29 offset:96
	;; [unrolled: 1-line block ×6, first 2 shown]
	s_waitcnt lgkmcnt(4)
	;;#ASMSTART
	v_dot2_f32_f16 v52, v60, v56, v52
	;;#ASMEND
	s_nop 0
	;;#ASMSTART
	v_dot2_f32_f16 v52, v61, v57, v52
	;;#ASMEND
	s_nop 0
	;; [unrolled: 4-line block ×3, first 2 shown]
	;;#ASMSTART
	v_dot2_f32_f16 v52, v63, v59, v52
	;;#ASMEND
	s_waitcnt lgkmcnt(0)
	;;#ASMSTART
	v_dot2_f32_f16 v22, v60, v76, v22
	;;#ASMEND
	s_nop 0
	;;#ASMSTART
	v_dot2_f32_f16 v22, v61, v77, v22
	;;#ASMEND
	s_nop 0
	;;#ASMSTART
	v_dot2_f32_f16 v22, v62, v78, v22
	;;#ASMEND
	s_nop 0
	;;#ASMSTART
	v_dot2_f32_f16 v22, v63, v79, v22
	;;#ASMEND
	;;#ASMSTART
	v_dot2_f32_f16 v53, v64, v56, v53
	;;#ASMEND
	s_nop 0
	;;#ASMSTART
	v_dot2_f32_f16 v53, v65, v57, v53
	;;#ASMEND
	s_nop 0
	;;#ASMSTART
	v_dot2_f32_f16 v53, v66, v58, v53
	;;#ASMEND
	s_nop 0
	;;#ASMSTART
	v_dot2_f32_f16 v53, v67, v59, v53
	;;#ASMEND
	;; [unrolled: 15-line block ×7, first 2 shown]
	ds_read_b128 v[56:59], v26 offset:752
	ds_read_b128 v[60:63], v29 offset:112
	;; [unrolled: 1-line block ×6, first 2 shown]
	s_waitcnt lgkmcnt(4)
	;;#ASMSTART
	v_dot2_f32_f16 v52, v60, v56, v52
	;;#ASMEND
	s_nop 0
	;;#ASMSTART
	v_dot2_f32_f16 v52, v61, v57, v52
	;;#ASMEND
	s_nop 0
	;; [unrolled: 4-line block ×3, first 2 shown]
	;;#ASMSTART
	v_dot2_f32_f16 v52, v63, v59, v52
	;;#ASMEND
	s_waitcnt lgkmcnt(0)
	;;#ASMSTART
	v_dot2_f32_f16 v22, v60, v76, v22
	;;#ASMEND
	s_nop 0
	;;#ASMSTART
	v_dot2_f32_f16 v22, v61, v77, v22
	;;#ASMEND
	s_nop 0
	;;#ASMSTART
	v_dot2_f32_f16 v22, v62, v78, v22
	;;#ASMEND
	s_nop 0
	;;#ASMSTART
	v_dot2_f32_f16 v22, v63, v79, v22
	;;#ASMEND
	;;#ASMSTART
	v_dot2_f32_f16 v53, v64, v56, v53
	;;#ASMEND
	s_nop 0
	;;#ASMSTART
	v_dot2_f32_f16 v53, v65, v57, v53
	;;#ASMEND
	s_nop 0
	;;#ASMSTART
	v_dot2_f32_f16 v53, v66, v58, v53
	;;#ASMEND
	s_nop 0
	;;#ASMSTART
	v_dot2_f32_f16 v53, v67, v59, v53
	;;#ASMEND
	;; [unrolled: 15-line block ×7, first 2 shown]
	s_barrier
	global_load_dwordx4 v[56:59], v[0:1], off offset:768
	global_load_dwordx4 v[60:63], v[2:3], off offset:768
	s_waitcnt vmcnt(1)
	ds_write_b128 v27, v[56:59]
	s_waitcnt vmcnt(0)
	ds_write_b128 v28, v[60:63]
	s_waitcnt lgkmcnt(0)
	s_barrier
	ds_read_b128 v[56:59], v26 offset:768
	ds_read_b128 v[60:63], v29
	ds_read_b128 v[64:67], v29 offset:4608
	ds_read_b128 v[68:71], v29 offset:9216
	;; [unrolled: 1-line block ×4, first 2 shown]
	s_waitcnt lgkmcnt(4)
	;;#ASMSTART
	v_dot2_f32_f16 v52, v60, v56, v52
	;;#ASMEND
	s_nop 0
	;;#ASMSTART
	v_dot2_f32_f16 v52, v61, v57, v52
	;;#ASMEND
	s_nop 0
	;; [unrolled: 4-line block ×3, first 2 shown]
	;;#ASMSTART
	v_dot2_f32_f16 v52, v63, v59, v52
	;;#ASMEND
	s_waitcnt lgkmcnt(0)
	;;#ASMSTART
	v_dot2_f32_f16 v22, v60, v76, v22
	;;#ASMEND
	s_nop 0
	;;#ASMSTART
	v_dot2_f32_f16 v22, v61, v77, v22
	;;#ASMEND
	s_nop 0
	;;#ASMSTART
	v_dot2_f32_f16 v22, v62, v78, v22
	;;#ASMEND
	s_nop 0
	;;#ASMSTART
	v_dot2_f32_f16 v22, v63, v79, v22
	;;#ASMEND
	;;#ASMSTART
	v_dot2_f32_f16 v53, v64, v56, v53
	;;#ASMEND
	s_nop 0
	;;#ASMSTART
	v_dot2_f32_f16 v53, v65, v57, v53
	;;#ASMEND
	s_nop 0
	;;#ASMSTART
	v_dot2_f32_f16 v53, v66, v58, v53
	;;#ASMEND
	s_nop 0
	;;#ASMSTART
	v_dot2_f32_f16 v53, v67, v59, v53
	;;#ASMEND
	;; [unrolled: 15-line block ×7, first 2 shown]
	ds_read_b128 v[56:59], v26 offset:784
	ds_read_b128 v[60:63], v29 offset:16
	;; [unrolled: 1-line block ×6, first 2 shown]
	s_waitcnt lgkmcnt(4)
	;;#ASMSTART
	v_dot2_f32_f16 v52, v60, v56, v52
	;;#ASMEND
	s_nop 0
	;;#ASMSTART
	v_dot2_f32_f16 v52, v61, v57, v52
	;;#ASMEND
	s_nop 0
	;; [unrolled: 4-line block ×3, first 2 shown]
	;;#ASMSTART
	v_dot2_f32_f16 v52, v63, v59, v52
	;;#ASMEND
	s_waitcnt lgkmcnt(0)
	;;#ASMSTART
	v_dot2_f32_f16 v22, v60, v76, v22
	;;#ASMEND
	s_nop 0
	;;#ASMSTART
	v_dot2_f32_f16 v22, v61, v77, v22
	;;#ASMEND
	s_nop 0
	;;#ASMSTART
	v_dot2_f32_f16 v22, v62, v78, v22
	;;#ASMEND
	s_nop 0
	;;#ASMSTART
	v_dot2_f32_f16 v22, v63, v79, v22
	;;#ASMEND
	;;#ASMSTART
	v_dot2_f32_f16 v53, v64, v56, v53
	;;#ASMEND
	s_nop 0
	;;#ASMSTART
	v_dot2_f32_f16 v53, v65, v57, v53
	;;#ASMEND
	s_nop 0
	;;#ASMSTART
	v_dot2_f32_f16 v53, v66, v58, v53
	;;#ASMEND
	s_nop 0
	;;#ASMSTART
	v_dot2_f32_f16 v53, v67, v59, v53
	;;#ASMEND
	;; [unrolled: 15-line block ×7, first 2 shown]
	ds_read_b128 v[56:59], v26 offset:800
	ds_read_b128 v[60:63], v29 offset:32
	;; [unrolled: 1-line block ×6, first 2 shown]
	s_waitcnt lgkmcnt(4)
	;;#ASMSTART
	v_dot2_f32_f16 v52, v60, v56, v52
	;;#ASMEND
	s_nop 0
	;;#ASMSTART
	v_dot2_f32_f16 v52, v61, v57, v52
	;;#ASMEND
	s_nop 0
	;; [unrolled: 4-line block ×3, first 2 shown]
	;;#ASMSTART
	v_dot2_f32_f16 v52, v63, v59, v52
	;;#ASMEND
	s_waitcnt lgkmcnt(0)
	;;#ASMSTART
	v_dot2_f32_f16 v22, v60, v76, v22
	;;#ASMEND
	s_nop 0
	;;#ASMSTART
	v_dot2_f32_f16 v22, v61, v77, v22
	;;#ASMEND
	s_nop 0
	;;#ASMSTART
	v_dot2_f32_f16 v22, v62, v78, v22
	;;#ASMEND
	s_nop 0
	;;#ASMSTART
	v_dot2_f32_f16 v22, v63, v79, v22
	;;#ASMEND
	;;#ASMSTART
	v_dot2_f32_f16 v53, v64, v56, v53
	;;#ASMEND
	s_nop 0
	;;#ASMSTART
	v_dot2_f32_f16 v53, v65, v57, v53
	;;#ASMEND
	s_nop 0
	;;#ASMSTART
	v_dot2_f32_f16 v53, v66, v58, v53
	;;#ASMEND
	s_nop 0
	;;#ASMSTART
	v_dot2_f32_f16 v53, v67, v59, v53
	;;#ASMEND
	;; [unrolled: 15-line block ×7, first 2 shown]
	ds_read_b128 v[56:59], v26 offset:816
	ds_read_b128 v[60:63], v29 offset:48
	;; [unrolled: 1-line block ×6, first 2 shown]
	s_waitcnt lgkmcnt(4)
	;;#ASMSTART
	v_dot2_f32_f16 v52, v60, v56, v52
	;;#ASMEND
	s_nop 0
	;;#ASMSTART
	v_dot2_f32_f16 v52, v61, v57, v52
	;;#ASMEND
	s_nop 0
	;; [unrolled: 4-line block ×3, first 2 shown]
	;;#ASMSTART
	v_dot2_f32_f16 v52, v63, v59, v52
	;;#ASMEND
	s_waitcnt lgkmcnt(0)
	;;#ASMSTART
	v_dot2_f32_f16 v22, v60, v76, v22
	;;#ASMEND
	s_nop 0
	;;#ASMSTART
	v_dot2_f32_f16 v22, v61, v77, v22
	;;#ASMEND
	s_nop 0
	;;#ASMSTART
	v_dot2_f32_f16 v22, v62, v78, v22
	;;#ASMEND
	s_nop 0
	;;#ASMSTART
	v_dot2_f32_f16 v22, v63, v79, v22
	;;#ASMEND
	;;#ASMSTART
	v_dot2_f32_f16 v53, v64, v56, v53
	;;#ASMEND
	s_nop 0
	;;#ASMSTART
	v_dot2_f32_f16 v53, v65, v57, v53
	;;#ASMEND
	s_nop 0
	;;#ASMSTART
	v_dot2_f32_f16 v53, v66, v58, v53
	;;#ASMEND
	s_nop 0
	;;#ASMSTART
	v_dot2_f32_f16 v53, v67, v59, v53
	;;#ASMEND
	;; [unrolled: 15-line block ×7, first 2 shown]
	ds_read_b128 v[56:59], v26 offset:832
	ds_read_b128 v[60:63], v29 offset:64
	;; [unrolled: 1-line block ×6, first 2 shown]
	s_waitcnt lgkmcnt(4)
	;;#ASMSTART
	v_dot2_f32_f16 v52, v60, v56, v52
	;;#ASMEND
	s_nop 0
	;;#ASMSTART
	v_dot2_f32_f16 v52, v61, v57, v52
	;;#ASMEND
	s_nop 0
	;; [unrolled: 4-line block ×3, first 2 shown]
	;;#ASMSTART
	v_dot2_f32_f16 v52, v63, v59, v52
	;;#ASMEND
	s_waitcnt lgkmcnt(0)
	;;#ASMSTART
	v_dot2_f32_f16 v22, v60, v76, v22
	;;#ASMEND
	s_nop 0
	;;#ASMSTART
	v_dot2_f32_f16 v22, v61, v77, v22
	;;#ASMEND
	s_nop 0
	;;#ASMSTART
	v_dot2_f32_f16 v22, v62, v78, v22
	;;#ASMEND
	s_nop 0
	;;#ASMSTART
	v_dot2_f32_f16 v22, v63, v79, v22
	;;#ASMEND
	;;#ASMSTART
	v_dot2_f32_f16 v53, v64, v56, v53
	;;#ASMEND
	s_nop 0
	;;#ASMSTART
	v_dot2_f32_f16 v53, v65, v57, v53
	;;#ASMEND
	s_nop 0
	;;#ASMSTART
	v_dot2_f32_f16 v53, v66, v58, v53
	;;#ASMEND
	s_nop 0
	;;#ASMSTART
	v_dot2_f32_f16 v53, v67, v59, v53
	;;#ASMEND
	;;#ASMSTART
	v_dot2_f32_f16 v23, v64, v76, v23
	;;#ASMEND
	s_nop 0
	;;#ASMSTART
	v_dot2_f32_f16 v23, v65, v77, v23
	;;#ASMEND
	s_nop 0
	;;#ASMSTART
	v_dot2_f32_f16 v23, v66, v78, v23
	;;#ASMEND
	s_nop 0
	;;#ASMSTART
	v_dot2_f32_f16 v23, v67, v79, v23
	;;#ASMEND
	;;#ASMSTART
	v_dot2_f32_f16 v54, v68, v56, v54
	;;#ASMEND
	s_nop 0
	;;#ASMSTART
	v_dot2_f32_f16 v54, v69, v57, v54
	;;#ASMEND
	s_nop 0
	;;#ASMSTART
	v_dot2_f32_f16 v54, v70, v58, v54
	;;#ASMEND
	s_nop 0
	;;#ASMSTART
	v_dot2_f32_f16 v54, v71, v59, v54
	;;#ASMEND
	;;#ASMSTART
	v_dot2_f32_f16 v50, v68, v76, v50
	;;#ASMEND
	s_nop 0
	;;#ASMSTART
	v_dot2_f32_f16 v50, v69, v77, v50
	;;#ASMEND
	s_nop 0
	;;#ASMSTART
	v_dot2_f32_f16 v50, v70, v78, v50
	;;#ASMEND
	s_nop 0
	;;#ASMSTART
	v_dot2_f32_f16 v50, v71, v79, v50
	;;#ASMEND
	;;#ASMSTART
	v_dot2_f32_f16 v55, v72, v56, v55
	;;#ASMEND
	s_nop 0
	;;#ASMSTART
	v_dot2_f32_f16 v55, v73, v57, v55
	;;#ASMEND
	s_nop 0
	;;#ASMSTART
	v_dot2_f32_f16 v55, v74, v58, v55
	;;#ASMEND
	s_nop 0
	;;#ASMSTART
	v_dot2_f32_f16 v55, v75, v59, v55
	;;#ASMEND
	;;#ASMSTART
	v_dot2_f32_f16 v51, v72, v76, v51
	;;#ASMEND
	s_nop 0
	;;#ASMSTART
	v_dot2_f32_f16 v51, v73, v77, v51
	;;#ASMEND
	s_nop 0
	;;#ASMSTART
	v_dot2_f32_f16 v51, v74, v78, v51
	;;#ASMEND
	s_nop 0
	;;#ASMSTART
	v_dot2_f32_f16 v51, v75, v79, v51
	;;#ASMEND
	ds_read_b128 v[56:59], v26 offset:848
	ds_read_b128 v[60:63], v29 offset:80
	;; [unrolled: 1-line block ×6, first 2 shown]
	s_waitcnt lgkmcnt(4)
	;;#ASMSTART
	v_dot2_f32_f16 v52, v60, v56, v52
	;;#ASMEND
	s_nop 0
	;;#ASMSTART
	v_dot2_f32_f16 v52, v61, v57, v52
	;;#ASMEND
	s_nop 0
	;; [unrolled: 4-line block ×3, first 2 shown]
	;;#ASMSTART
	v_dot2_f32_f16 v52, v63, v59, v52
	;;#ASMEND
	s_waitcnt lgkmcnt(0)
	;;#ASMSTART
	v_dot2_f32_f16 v22, v60, v76, v22
	;;#ASMEND
	s_nop 0
	;;#ASMSTART
	v_dot2_f32_f16 v22, v61, v77, v22
	;;#ASMEND
	s_nop 0
	;;#ASMSTART
	v_dot2_f32_f16 v22, v62, v78, v22
	;;#ASMEND
	s_nop 0
	;;#ASMSTART
	v_dot2_f32_f16 v22, v63, v79, v22
	;;#ASMEND
	;;#ASMSTART
	v_dot2_f32_f16 v53, v64, v56, v53
	;;#ASMEND
	s_nop 0
	;;#ASMSTART
	v_dot2_f32_f16 v53, v65, v57, v53
	;;#ASMEND
	s_nop 0
	;;#ASMSTART
	v_dot2_f32_f16 v53, v66, v58, v53
	;;#ASMEND
	s_nop 0
	;;#ASMSTART
	v_dot2_f32_f16 v53, v67, v59, v53
	;;#ASMEND
	;; [unrolled: 15-line block ×7, first 2 shown]
	ds_read_b128 v[56:59], v26 offset:864
	ds_read_b128 v[60:63], v29 offset:96
	;; [unrolled: 1-line block ×6, first 2 shown]
	s_waitcnt lgkmcnt(4)
	;;#ASMSTART
	v_dot2_f32_f16 v52, v60, v56, v52
	;;#ASMEND
	s_nop 0
	;;#ASMSTART
	v_dot2_f32_f16 v52, v61, v57, v52
	;;#ASMEND
	s_nop 0
	;; [unrolled: 4-line block ×3, first 2 shown]
	;;#ASMSTART
	v_dot2_f32_f16 v52, v63, v59, v52
	;;#ASMEND
	s_waitcnt lgkmcnt(0)
	;;#ASMSTART
	v_dot2_f32_f16 v22, v60, v76, v22
	;;#ASMEND
	s_nop 0
	;;#ASMSTART
	v_dot2_f32_f16 v22, v61, v77, v22
	;;#ASMEND
	s_nop 0
	;;#ASMSTART
	v_dot2_f32_f16 v22, v62, v78, v22
	;;#ASMEND
	s_nop 0
	;;#ASMSTART
	v_dot2_f32_f16 v22, v63, v79, v22
	;;#ASMEND
	;;#ASMSTART
	v_dot2_f32_f16 v53, v64, v56, v53
	;;#ASMEND
	s_nop 0
	;;#ASMSTART
	v_dot2_f32_f16 v53, v65, v57, v53
	;;#ASMEND
	s_nop 0
	;;#ASMSTART
	v_dot2_f32_f16 v53, v66, v58, v53
	;;#ASMEND
	s_nop 0
	;;#ASMSTART
	v_dot2_f32_f16 v53, v67, v59, v53
	;;#ASMEND
	;; [unrolled: 15-line block ×7, first 2 shown]
	ds_read_b128 v[56:59], v26 offset:880
	ds_read_b128 v[60:63], v29 offset:112
	;; [unrolled: 1-line block ×6, first 2 shown]
	s_waitcnt lgkmcnt(4)
	;;#ASMSTART
	v_dot2_f32_f16 v52, v60, v56, v52
	;;#ASMEND
	s_nop 0
	;;#ASMSTART
	v_dot2_f32_f16 v52, v61, v57, v52
	;;#ASMEND
	s_nop 0
	;; [unrolled: 4-line block ×3, first 2 shown]
	;;#ASMSTART
	v_dot2_f32_f16 v52, v63, v59, v52
	;;#ASMEND
	s_waitcnt lgkmcnt(0)
	;;#ASMSTART
	v_dot2_f32_f16 v22, v60, v76, v22
	;;#ASMEND
	s_nop 0
	;;#ASMSTART
	v_dot2_f32_f16 v22, v61, v77, v22
	;;#ASMEND
	s_nop 0
	;;#ASMSTART
	v_dot2_f32_f16 v22, v62, v78, v22
	;;#ASMEND
	s_nop 0
	;;#ASMSTART
	v_dot2_f32_f16 v22, v63, v79, v22
	;;#ASMEND
	;;#ASMSTART
	v_dot2_f32_f16 v53, v64, v56, v53
	;;#ASMEND
	s_nop 0
	;;#ASMSTART
	v_dot2_f32_f16 v53, v65, v57, v53
	;;#ASMEND
	s_nop 0
	;;#ASMSTART
	v_dot2_f32_f16 v53, v66, v58, v53
	;;#ASMEND
	s_nop 0
	;;#ASMSTART
	v_dot2_f32_f16 v53, v67, v59, v53
	;;#ASMEND
	;; [unrolled: 15-line block ×7, first 2 shown]
	s_barrier
	global_load_dwordx4 v[56:59], v[0:1], off offset:896
	global_load_dwordx4 v[60:63], v[2:3], off offset:896
	s_waitcnt vmcnt(1)
	ds_write_b128 v27, v[56:59]
	s_waitcnt vmcnt(0)
	ds_write_b128 v28, v[60:63]
	s_waitcnt lgkmcnt(0)
	s_barrier
	ds_read_b128 v[0:3], v26 offset:896
	ds_read_b128 v[56:59], v29
	ds_read_b128 v[60:63], v29 offset:4608
	ds_read_b128 v[64:67], v29 offset:9216
	ds_read_b128 v[68:71], v29 offset:13824
	ds_read_b128 v[72:75], v26 offset:1920
	s_waitcnt lgkmcnt(4)
	;;#ASMSTART
	v_dot2_f32_f16 v52, v56, v0, v52
	;;#ASMEND
	s_nop 0
	;;#ASMSTART
	v_dot2_f32_f16 v52, v57, v1, v52
	;;#ASMEND
	s_nop 0
	;; [unrolled: 4-line block ×3, first 2 shown]
	;;#ASMSTART
	v_dot2_f32_f16 v52, v59, v3, v52
	;;#ASMEND
	s_waitcnt lgkmcnt(0)
	;;#ASMSTART
	v_dot2_f32_f16 v22, v56, v72, v22
	;;#ASMEND
	s_nop 0
	;;#ASMSTART
	v_dot2_f32_f16 v22, v57, v73, v22
	;;#ASMEND
	s_nop 0
	;;#ASMSTART
	v_dot2_f32_f16 v22, v58, v74, v22
	;;#ASMEND
	s_nop 0
	;;#ASMSTART
	v_dot2_f32_f16 v22, v59, v75, v22
	;;#ASMEND
	;;#ASMSTART
	v_dot2_f32_f16 v53, v60, v0, v53
	;;#ASMEND
	s_nop 0
	;;#ASMSTART
	v_dot2_f32_f16 v53, v61, v1, v53
	;;#ASMEND
	s_nop 0
	;;#ASMSTART
	v_dot2_f32_f16 v53, v62, v2, v53
	;;#ASMEND
	s_nop 0
	;;#ASMSTART
	v_dot2_f32_f16 v53, v63, v3, v53
	;;#ASMEND
	;; [unrolled: 15-line block ×7, first 2 shown]
	ds_read_b128 v[0:3], v26 offset:912
	ds_read_b128 v[56:59], v29 offset:16
	;; [unrolled: 1-line block ×6, first 2 shown]
	s_waitcnt lgkmcnt(4)
	;;#ASMSTART
	v_dot2_f32_f16 v52, v56, v0, v52
	;;#ASMEND
	s_nop 0
	;;#ASMSTART
	v_dot2_f32_f16 v52, v57, v1, v52
	;;#ASMEND
	s_nop 0
	;; [unrolled: 4-line block ×3, first 2 shown]
	;;#ASMSTART
	v_dot2_f32_f16 v52, v59, v3, v52
	;;#ASMEND
	s_waitcnt lgkmcnt(0)
	;;#ASMSTART
	v_dot2_f32_f16 v22, v56, v72, v22
	;;#ASMEND
	s_nop 0
	;;#ASMSTART
	v_dot2_f32_f16 v22, v57, v73, v22
	;;#ASMEND
	s_nop 0
	;;#ASMSTART
	v_dot2_f32_f16 v22, v58, v74, v22
	;;#ASMEND
	s_nop 0
	;;#ASMSTART
	v_dot2_f32_f16 v22, v59, v75, v22
	;;#ASMEND
	;;#ASMSTART
	v_dot2_f32_f16 v53, v60, v0, v53
	;;#ASMEND
	s_nop 0
	;;#ASMSTART
	v_dot2_f32_f16 v53, v61, v1, v53
	;;#ASMEND
	s_nop 0
	;;#ASMSTART
	v_dot2_f32_f16 v53, v62, v2, v53
	;;#ASMEND
	s_nop 0
	;;#ASMSTART
	v_dot2_f32_f16 v53, v63, v3, v53
	;;#ASMEND
	;; [unrolled: 15-line block ×7, first 2 shown]
	ds_read_b128 v[0:3], v26 offset:928
	ds_read_b128 v[56:59], v29 offset:32
	;; [unrolled: 1-line block ×6, first 2 shown]
	s_waitcnt lgkmcnt(4)
	;;#ASMSTART
	v_dot2_f32_f16 v52, v56, v0, v52
	;;#ASMEND
	s_nop 0
	;;#ASMSTART
	v_dot2_f32_f16 v52, v57, v1, v52
	;;#ASMEND
	s_nop 0
	;; [unrolled: 4-line block ×3, first 2 shown]
	;;#ASMSTART
	v_dot2_f32_f16 v52, v59, v3, v52
	;;#ASMEND
	s_waitcnt lgkmcnt(0)
	;;#ASMSTART
	v_dot2_f32_f16 v22, v56, v72, v22
	;;#ASMEND
	s_nop 0
	;;#ASMSTART
	v_dot2_f32_f16 v22, v57, v73, v22
	;;#ASMEND
	s_nop 0
	;;#ASMSTART
	v_dot2_f32_f16 v22, v58, v74, v22
	;;#ASMEND
	s_nop 0
	;;#ASMSTART
	v_dot2_f32_f16 v22, v59, v75, v22
	;;#ASMEND
	;;#ASMSTART
	v_dot2_f32_f16 v53, v60, v0, v53
	;;#ASMEND
	s_nop 0
	;;#ASMSTART
	v_dot2_f32_f16 v53, v61, v1, v53
	;;#ASMEND
	s_nop 0
	;;#ASMSTART
	v_dot2_f32_f16 v53, v62, v2, v53
	;;#ASMEND
	s_nop 0
	;;#ASMSTART
	v_dot2_f32_f16 v53, v63, v3, v53
	;;#ASMEND
	;; [unrolled: 15-line block ×7, first 2 shown]
	ds_read_b128 v[0:3], v26 offset:944
	ds_read_b128 v[56:59], v29 offset:48
	;; [unrolled: 1-line block ×6, first 2 shown]
	s_waitcnt lgkmcnt(4)
	;;#ASMSTART
	v_dot2_f32_f16 v52, v56, v0, v52
	;;#ASMEND
	s_nop 0
	;;#ASMSTART
	v_dot2_f32_f16 v52, v57, v1, v52
	;;#ASMEND
	s_nop 0
	;; [unrolled: 4-line block ×3, first 2 shown]
	;;#ASMSTART
	v_dot2_f32_f16 v52, v59, v3, v52
	;;#ASMEND
	s_waitcnt lgkmcnt(0)
	;;#ASMSTART
	v_dot2_f32_f16 v22, v56, v72, v22
	;;#ASMEND
	s_nop 0
	;;#ASMSTART
	v_dot2_f32_f16 v22, v57, v73, v22
	;;#ASMEND
	s_nop 0
	;;#ASMSTART
	v_dot2_f32_f16 v22, v58, v74, v22
	;;#ASMEND
	s_nop 0
	;;#ASMSTART
	v_dot2_f32_f16 v22, v59, v75, v22
	;;#ASMEND
	;;#ASMSTART
	v_dot2_f32_f16 v53, v60, v0, v53
	;;#ASMEND
	s_nop 0
	;;#ASMSTART
	v_dot2_f32_f16 v53, v61, v1, v53
	;;#ASMEND
	s_nop 0
	;;#ASMSTART
	v_dot2_f32_f16 v53, v62, v2, v53
	;;#ASMEND
	s_nop 0
	;;#ASMSTART
	v_dot2_f32_f16 v53, v63, v3, v53
	;;#ASMEND
	;; [unrolled: 15-line block ×7, first 2 shown]
	ds_read_b128 v[0:3], v26 offset:960
	ds_read_b128 v[56:59], v29 offset:64
	;; [unrolled: 1-line block ×6, first 2 shown]
	s_waitcnt lgkmcnt(4)
	;;#ASMSTART
	v_dot2_f32_f16 v52, v56, v0, v52
	;;#ASMEND
	s_nop 0
	;;#ASMSTART
	v_dot2_f32_f16 v52, v57, v1, v52
	;;#ASMEND
	s_nop 0
	;; [unrolled: 4-line block ×3, first 2 shown]
	;;#ASMSTART
	v_dot2_f32_f16 v52, v59, v3, v52
	;;#ASMEND
	s_waitcnt lgkmcnt(0)
	;;#ASMSTART
	v_dot2_f32_f16 v22, v56, v72, v22
	;;#ASMEND
	s_nop 0
	;;#ASMSTART
	v_dot2_f32_f16 v22, v57, v73, v22
	;;#ASMEND
	s_nop 0
	;;#ASMSTART
	v_dot2_f32_f16 v22, v58, v74, v22
	;;#ASMEND
	s_nop 0
	;;#ASMSTART
	v_dot2_f32_f16 v22, v59, v75, v22
	;;#ASMEND
	;;#ASMSTART
	v_dot2_f32_f16 v53, v60, v0, v53
	;;#ASMEND
	s_nop 0
	;;#ASMSTART
	v_dot2_f32_f16 v53, v61, v1, v53
	;;#ASMEND
	s_nop 0
	;;#ASMSTART
	v_dot2_f32_f16 v53, v62, v2, v53
	;;#ASMEND
	s_nop 0
	;;#ASMSTART
	v_dot2_f32_f16 v53, v63, v3, v53
	;;#ASMEND
	;; [unrolled: 15-line block ×7, first 2 shown]
	ds_read_b128 v[0:3], v26 offset:976
	ds_read_b128 v[56:59], v29 offset:80
	;; [unrolled: 1-line block ×6, first 2 shown]
	s_waitcnt lgkmcnt(4)
	;;#ASMSTART
	v_dot2_f32_f16 v52, v56, v0, v52
	;;#ASMEND
	s_nop 0
	;;#ASMSTART
	v_dot2_f32_f16 v52, v57, v1, v52
	;;#ASMEND
	s_nop 0
	;;#ASMSTART
	v_dot2_f32_f16 v52, v58, v2, v52
	;;#ASMEND
	s_nop 0
	;;#ASMSTART
	v_dot2_f32_f16 v52, v59, v3, v52
	;;#ASMEND
	s_waitcnt lgkmcnt(0)
	;;#ASMSTART
	v_dot2_f32_f16 v22, v56, v72, v22
	;;#ASMEND
	s_nop 0
	;;#ASMSTART
	v_dot2_f32_f16 v22, v57, v73, v22
	;;#ASMEND
	s_nop 0
	;;#ASMSTART
	v_dot2_f32_f16 v22, v58, v74, v22
	;;#ASMEND
	s_nop 0
	;;#ASMSTART
	v_dot2_f32_f16 v22, v59, v75, v22
	;;#ASMEND
	;;#ASMSTART
	v_dot2_f32_f16 v53, v60, v0, v53
	;;#ASMEND
	s_nop 0
	;;#ASMSTART
	v_dot2_f32_f16 v53, v61, v1, v53
	;;#ASMEND
	s_nop 0
	;;#ASMSTART
	v_dot2_f32_f16 v53, v62, v2, v53
	;;#ASMEND
	s_nop 0
	;;#ASMSTART
	v_dot2_f32_f16 v53, v63, v3, v53
	;;#ASMEND
	;; [unrolled: 15-line block ×7, first 2 shown]
	ds_read_b128 v[0:3], v26 offset:992
	ds_read_b128 v[56:59], v29 offset:96
	;; [unrolled: 1-line block ×6, first 2 shown]
	s_waitcnt lgkmcnt(4)
	;;#ASMSTART
	v_dot2_f32_f16 v52, v56, v0, v52
	;;#ASMEND
	s_nop 0
	;;#ASMSTART
	v_dot2_f32_f16 v52, v57, v1, v52
	;;#ASMEND
	s_nop 0
	;; [unrolled: 4-line block ×3, first 2 shown]
	;;#ASMSTART
	v_dot2_f32_f16 v52, v59, v3, v52
	;;#ASMEND
	s_waitcnt lgkmcnt(0)
	;;#ASMSTART
	v_dot2_f32_f16 v22, v56, v72, v22
	;;#ASMEND
	s_nop 0
	;;#ASMSTART
	v_dot2_f32_f16 v22, v57, v73, v22
	;;#ASMEND
	s_nop 0
	;;#ASMSTART
	v_dot2_f32_f16 v22, v58, v74, v22
	;;#ASMEND
	s_nop 0
	;;#ASMSTART
	v_dot2_f32_f16 v22, v59, v75, v22
	;;#ASMEND
	;;#ASMSTART
	v_dot2_f32_f16 v53, v60, v0, v53
	;;#ASMEND
	s_nop 0
	;;#ASMSTART
	v_dot2_f32_f16 v53, v61, v1, v53
	;;#ASMEND
	s_nop 0
	;;#ASMSTART
	v_dot2_f32_f16 v53, v62, v2, v53
	;;#ASMEND
	s_nop 0
	;;#ASMSTART
	v_dot2_f32_f16 v53, v63, v3, v53
	;;#ASMEND
	;; [unrolled: 15-line block ×7, first 2 shown]
	ds_read_b128 v[0:3], v26 offset:1008
	ds_read_b128 v[56:59], v29 offset:112
	ds_read_b128 v[60:63], v29 offset:4720
	ds_read_b128 v[64:67], v29 offset:9328
	ds_read_b128 v[68:71], v29 offset:13936
	ds_read_b128 v[72:75], v26 offset:2032
	s_waitcnt lgkmcnt(4)
	;;#ASMSTART
	v_dot2_f32_f16 v52, v56, v0, v52
	;;#ASMEND
	s_nop 0
	;;#ASMSTART
	v_dot2_f32_f16 v52, v57, v1, v52
	;;#ASMEND
	s_nop 0
	;; [unrolled: 4-line block ×3, first 2 shown]
	;;#ASMSTART
	v_dot2_f32_f16 v52, v59, v3, v52
	;;#ASMEND
	s_waitcnt lgkmcnt(0)
	;;#ASMSTART
	v_dot2_f32_f16 v22, v56, v72, v22
	;;#ASMEND
                                        ; implicit-def: $vgpr56
	s_nop 0
	;;#ASMSTART
	v_dot2_f32_f16 v22, v57, v73, v22
	;;#ASMEND
	v_cmp_nlt_f32_e64 s[6:7], |v52|, s8
	;;#ASMSTART
	v_dot2_f32_f16 v22, v58, v74, v22
	;;#ASMEND
	s_nop 0
	;;#ASMSTART
	v_dot2_f32_f16 v22, v59, v75, v22
	;;#ASMEND
	;;#ASMSTART
	v_dot2_f32_f16 v53, v60, v0, v53
	;;#ASMEND
	s_nop 0
	;;#ASMSTART
	v_dot2_f32_f16 v53, v61, v1, v53
	;;#ASMEND
	s_nop 0
	;;#ASMSTART
	v_dot2_f32_f16 v53, v62, v2, v53
	;;#ASMEND
	s_nop 0
	;;#ASMSTART
	v_dot2_f32_f16 v53, v63, v3, v53
	;;#ASMEND
	;;#ASMSTART
	v_dot2_f32_f16 v23, v60, v72, v23
	;;#ASMEND
	s_nop 0
	;;#ASMSTART
	v_dot2_f32_f16 v23, v61, v73, v23
	;;#ASMEND
	s_nop 0
	;; [unrolled: 15-line block ×6, first 2 shown]
	;;#ASMSTART
	v_dot2_f32_f16 v51, v70, v74, v51
	;;#ASMEND
	s_nop 0
	;;#ASMSTART
	v_dot2_f32_f16 v51, v71, v75, v51
	;;#ASMEND
	s_and_saveexec_b64 s[34:35], s[6:7]
	s_xor_b64 s[6:7], exec, s[34:35]
	s_cbranch_execz .LBB29_23
; %bb.22:                               ;   in Loop: Header=BB29_21 Depth=1
	v_add_f32_e64 v0, |v52|, |v52|
	v_mul_f32_e32 v1, 0x3fb8aa3b, v0
	v_rndne_f32_e32 v2, v1
	v_sub_f32_e32 v3, v1, v2
	v_fma_f32 v1, v0, s9, -v1
	v_fmac_f32_e32 v1, 0x32a5705f, v0
	v_add_f32_e32 v1, v3, v1
	v_cvt_i32_f32_e32 v2, v2
	v_exp_f32_e32 v1, v1
	v_cmp_ngt_f32_e32 vcc, s21, v0
	v_ldexp_f32 v1, v1, v2
	s_nop 0
	v_cndmask_b32_e32 v1, 0, v1, vcc
	v_cmp_nlt_f32_e32 vcc, s28, v0
	s_nop 1
	v_cndmask_b32_e32 v0, v35, v1, vcc
	v_add_f32_e32 v0, 1.0, v0
	v_rcp_f32_e32 v0, v0
	s_nop 0
	v_fma_f32 v56, v0, -2.0, 1.0
.LBB29_23:                              ;   in Loop: Header=BB29_21 Depth=1
	s_andn2_saveexec_b64 s[6:7], s[6:7]
; %bb.24:                               ;   in Loop: Header=BB29_21 Depth=1
	v_mul_f32_e32 v0, v52, v52
	v_fmamk_f32 v1, v0, 0xbbbac73d, v34
	v_fmaak_f32 v1, v0, v1, 0xbd5c1c4e
	v_fmaak_f32 v1, v0, v1, 0x3e088382
	;; [unrolled: 1-line block ×3, first 2 shown]
	v_mul_f32_e64 v1, |v52|, v1
	v_fma_f32 v56, v0, v1, |v52|
; %bb.25:                               ;   in Loop: Header=BB29_21 Depth=1
	s_or_b64 exec, exec, s[6:7]
	v_add_u32_e32 v0, s2, v18
	v_ashrrev_i32_e32 v1, 31, v0
	v_lshl_add_u64 v[0:1], v[0:1], 1, s[26:27]
	global_load_ushort v2, v[0:1], off
	v_cmp_nlt_f32_e64 s[6:7], |v53|, s8
                                        ; implicit-def: $vgpr57
	s_and_saveexec_b64 s[34:35], s[6:7]
	s_xor_b64 s[6:7], exec, s[34:35]
	s_cbranch_execz .LBB29_27
; %bb.26:                               ;   in Loop: Header=BB29_21 Depth=1
	v_add_f32_e64 v3, |v53|, |v53|
	v_mul_f32_e32 v57, 0x3fb8aa3b, v3
	v_rndne_f32_e32 v58, v57
	v_sub_f32_e32 v59, v57, v58
	v_fma_f32 v57, v3, s9, -v57
	v_fmac_f32_e32 v57, 0x32a5705f, v3
	v_add_f32_e32 v57, v59, v57
	v_cvt_i32_f32_e32 v58, v58
	v_exp_f32_e32 v57, v57
	v_cmp_ngt_f32_e32 vcc, s21, v3
	v_ldexp_f32 v57, v57, v58
	s_nop 0
	v_cndmask_b32_e32 v57, 0, v57, vcc
	v_cmp_nlt_f32_e32 vcc, s28, v3
	s_nop 1
	v_cndmask_b32_e32 v3, v35, v57, vcc
	v_add_f32_e32 v3, 1.0, v3
	v_rcp_f32_e32 v3, v3
	s_nop 0
	v_fma_f32 v57, v3, -2.0, 1.0
.LBB29_27:                              ;   in Loop: Header=BB29_21 Depth=1
	s_andn2_saveexec_b64 s[6:7], s[6:7]
; %bb.28:                               ;   in Loop: Header=BB29_21 Depth=1
	v_mul_f32_e32 v3, v53, v53
	v_fmamk_f32 v57, v3, 0xbbbac73d, v34
	v_fmaak_f32 v57, v3, v57, 0xbd5c1c4e
	v_fmaak_f32 v57, v3, v57, 0x3e088382
	;; [unrolled: 1-line block ×3, first 2 shown]
	v_mul_f32_e64 v57, |v53|, v57
	v_fma_f32 v57, v3, v57, |v53|
; %bb.29:                               ;   in Loop: Header=BB29_21 Depth=1
	s_or_b64 exec, exec, s[6:7]
	global_load_ushort v3, v[0:1], off offset:64
	v_cmp_nlt_f32_e64 s[6:7], |v54|, s8
                                        ; implicit-def: $vgpr59
	s_and_saveexec_b64 s[34:35], s[6:7]
	s_xor_b64 s[6:7], exec, s[34:35]
	s_cbranch_execz .LBB29_31
; %bb.30:                               ;   in Loop: Header=BB29_21 Depth=1
	v_add_f32_e64 v58, |v54|, |v54|
	v_mul_f32_e32 v59, 0x3fb8aa3b, v58
	v_rndne_f32_e32 v60, v59
	v_sub_f32_e32 v61, v59, v60
	v_fma_f32 v59, v58, s9, -v59
	v_fmac_f32_e32 v59, 0x32a5705f, v58
	v_add_f32_e32 v59, v61, v59
	v_cvt_i32_f32_e32 v60, v60
	v_exp_f32_e32 v59, v59
	v_cmp_ngt_f32_e32 vcc, s21, v58
	v_ldexp_f32 v59, v59, v60
	s_nop 0
	v_cndmask_b32_e32 v59, 0, v59, vcc
	v_cmp_nlt_f32_e32 vcc, s28, v58
	s_nop 1
	v_cndmask_b32_e32 v58, v35, v59, vcc
	v_add_f32_e32 v58, 1.0, v58
	v_rcp_f32_e32 v58, v58
	s_nop 0
	v_fma_f32 v59, v58, -2.0, 1.0
.LBB29_31:                              ;   in Loop: Header=BB29_21 Depth=1
	s_andn2_saveexec_b64 s[6:7], s[6:7]
; %bb.32:                               ;   in Loop: Header=BB29_21 Depth=1
	v_mul_f32_e32 v58, v54, v54
	v_fmamk_f32 v59, v58, 0xbbbac73d, v34
	v_fmaak_f32 v59, v58, v59, 0xbd5c1c4e
	v_fmaak_f32 v59, v58, v59, 0x3e088382
	;; [unrolled: 1-line block ×3, first 2 shown]
	v_mul_f32_e64 v59, |v54|, v59
	v_fma_f32 v59, v58, v59, |v54|
; %bb.33:                               ;   in Loop: Header=BB29_21 Depth=1
	s_or_b64 exec, exec, s[6:7]
	global_load_ushort v58, v[0:1], off offset:128
	v_cmp_nlt_f32_e64 s[6:7], |v55|, s8
                                        ; implicit-def: $vgpr62
	s_and_saveexec_b64 s[34:35], s[6:7]
	s_xor_b64 s[6:7], exec, s[34:35]
	s_cbranch_execz .LBB29_35
; %bb.34:                               ;   in Loop: Header=BB29_21 Depth=1
	v_add_f32_e64 v60, |v55|, |v55|
	v_mul_f32_e32 v61, 0x3fb8aa3b, v60
	v_rndne_f32_e32 v62, v61
	v_sub_f32_e32 v63, v61, v62
	v_fma_f32 v61, v60, s9, -v61
	v_fmac_f32_e32 v61, 0x32a5705f, v60
	v_add_f32_e32 v61, v63, v61
	v_cvt_i32_f32_e32 v62, v62
	v_exp_f32_e32 v61, v61
	v_cmp_ngt_f32_e32 vcc, s21, v60
	v_ldexp_f32 v61, v61, v62
	s_nop 0
	v_cndmask_b32_e32 v61, 0, v61, vcc
	v_cmp_nlt_f32_e32 vcc, s28, v60
	s_nop 1
	v_cndmask_b32_e32 v60, v35, v61, vcc
	v_add_f32_e32 v60, 1.0, v60
	v_rcp_f32_e32 v60, v60
	s_nop 0
	v_fma_f32 v62, v60, -2.0, 1.0
.LBB29_35:                              ;   in Loop: Header=BB29_21 Depth=1
	s_andn2_saveexec_b64 s[6:7], s[6:7]
; %bb.36:                               ;   in Loop: Header=BB29_21 Depth=1
	v_mul_f32_e32 v60, v55, v55
	v_fmamk_f32 v61, v60, 0xbbbac73d, v34
	v_fmaak_f32 v61, v60, v61, 0xbd5c1c4e
	v_fmaak_f32 v61, v60, v61, 0x3e088382
	;; [unrolled: 1-line block ×3, first 2 shown]
	v_mul_f32_e64 v61, |v55|, v61
	v_fma_f32 v62, v60, v61, |v55|
; %bb.37:                               ;   in Loop: Header=BB29_21 Depth=1
	s_or_b64 exec, exec, s[6:7]
	global_load_ushort v64, v[0:1], off offset:192
	v_bfi_b32 v0, s29, v56, v52
	s_waitcnt vmcnt(3)
	v_fma_mix_f32 v60, s10, v0, v2 op_sel_hi:[0,0,1]
	v_bfi_b32 v0, s29, v57, v53
	s_waitcnt vmcnt(2)
	v_fma_mix_f32 v0, s10, v0, v3 op_sel_hi:[0,0,1]
	v_add_f32_e32 v1, 0x40051340, v60
	v_add_f32_e32 v52, 0x40051340, v0
	v_max3_f32 v53, v49, v1, v52
	v_bfi_b32 v1, s29, v59, v54
	s_waitcnt vmcnt(1)
	v_fma_mix_f32 v59, s10, v1, v58 op_sel_hi:[0,0,1]
	v_and_b32_e32 v1, 0x60, v19
	v_add_u32_e32 v52, 32, v1
	v_xor_b32_e32 v57, 16, v19
	v_cmp_lt_i32_e32 vcc, v57, v52
	v_add_f32_e32 v54, 0x40051340, v59
	v_cmp_nlt_f32_e64 s[6:7], |v22|, s8
	v_cndmask_b32_e32 v1, v19, v57, vcc
	v_lshlrev_b32_e32 v61, 2, v1
	v_bfi_b32 v1, s29, v62, v55
                                        ; implicit-def: $vgpr69
	s_waitcnt vmcnt(0)
	v_fma_mix_f32 v1, s10, v1, v64 op_sel_hi:[0,0,1]
	v_add_f32_e32 v55, 0x40051340, v1
	v_max3_f32 v54, v53, v54, v55
	ds_bpermute_b32 v55, v61, v54
	v_xor_b32_e32 v53, 8, v19
	v_cmp_lt_i32_e32 vcc, v53, v52
	s_waitcnt lgkmcnt(0)
	v_max_f32_e32 v55, v55, v55
	v_cndmask_b32_e32 v56, v19, v53, vcc
	v_lshlrev_b32_e32 v63, 2, v56
	v_max_f32_e32 v55, v54, v55
	ds_bpermute_b32 v56, v63, v55
	v_xor_b32_e32 v54, 4, v19
	v_cmp_lt_i32_e32 vcc, v54, v52
	s_waitcnt lgkmcnt(0)
	v_max_f32_e32 v56, v56, v56
	v_cndmask_b32_e32 v62, v19, v54, vcc
	v_lshlrev_b32_e32 v65, 2, v62
	v_max_f32_e32 v56, v55, v56
	;; [unrolled: 8-line block ×4, first 2 shown]
	ds_bpermute_b32 v68, v62, v67
	s_and_saveexec_b64 s[34:35], s[6:7]
	s_xor_b64 s[6:7], exec, s[34:35]
	s_cbranch_execz .LBB29_39
; %bb.38:                               ;   in Loop: Header=BB29_21 Depth=1
	v_add_f32_e64 v69, |v22|, |v22|
	v_mul_f32_e32 v70, 0x3fb8aa3b, v69
	v_rndne_f32_e32 v71, v70
	v_sub_f32_e32 v72, v70, v71
	v_fma_f32 v70, v69, s9, -v70
	v_fmac_f32_e32 v70, 0x32a5705f, v69
	v_add_f32_e32 v70, v72, v70
	v_cvt_i32_f32_e32 v71, v71
	v_exp_f32_e32 v70, v70
	v_cmp_ngt_f32_e32 vcc, s21, v69
	v_ldexp_f32 v70, v70, v71
	s_nop 0
	v_cndmask_b32_e32 v70, 0, v70, vcc
	v_cmp_nlt_f32_e32 vcc, s28, v69
	s_nop 1
	v_cndmask_b32_e32 v69, v35, v70, vcc
	v_add_f32_e32 v69, 1.0, v69
	v_rcp_f32_e32 v69, v69
	s_nop 0
	v_fma_f32 v69, v69, -2.0, 1.0
.LBB29_39:                              ;   in Loop: Header=BB29_21 Depth=1
	s_andn2_saveexec_b64 s[6:7], s[6:7]
; %bb.40:                               ;   in Loop: Header=BB29_21 Depth=1
	v_mul_f32_e32 v69, v22, v22
	v_fmamk_f32 v70, v69, 0xbbbac73d, v34
	v_fmaak_f32 v70, v69, v70, 0xbd5c1c4e
	v_fmaak_f32 v70, v69, v70, 0x3e088382
	;; [unrolled: 1-line block ×3, first 2 shown]
	v_mul_f32_e64 v70, |v22|, v70
	v_fma_f32 v69, v69, v70, |v22|
; %bb.41:                               ;   in Loop: Header=BB29_21 Depth=1
	s_or_b64 exec, exec, s[6:7]
	v_cmp_nlt_f32_e64 s[6:7], |v23|, s8
                                        ; implicit-def: $vgpr70
	s_and_saveexec_b64 s[34:35], s[6:7]
	s_xor_b64 s[6:7], exec, s[34:35]
	s_cbranch_execz .LBB29_43
; %bb.42:                               ;   in Loop: Header=BB29_21 Depth=1
	v_add_f32_e64 v70, |v23|, |v23|
	v_mul_f32_e32 v71, 0x3fb8aa3b, v70
	v_rndne_f32_e32 v72, v71
	v_sub_f32_e32 v73, v71, v72
	v_fma_f32 v71, v70, s9, -v71
	v_fmac_f32_e32 v71, 0x32a5705f, v70
	v_add_f32_e32 v71, v73, v71
	v_cvt_i32_f32_e32 v72, v72
	v_exp_f32_e32 v71, v71
	v_cmp_ngt_f32_e32 vcc, s21, v70
	v_ldexp_f32 v71, v71, v72
	s_nop 0
	v_cndmask_b32_e32 v71, 0, v71, vcc
	v_cmp_nlt_f32_e32 vcc, s28, v70
	s_nop 1
	v_cndmask_b32_e32 v70, v35, v71, vcc
	v_add_f32_e32 v70, 1.0, v70
	v_rcp_f32_e32 v70, v70
	s_nop 0
	v_fma_f32 v70, v70, -2.0, 1.0
.LBB29_43:                              ;   in Loop: Header=BB29_21 Depth=1
	s_andn2_saveexec_b64 s[6:7], s[6:7]
; %bb.44:                               ;   in Loop: Header=BB29_21 Depth=1
	v_mul_f32_e32 v70, v23, v23
	v_fmamk_f32 v71, v70, 0xbbbac73d, v34
	v_fmaak_f32 v71, v70, v71, 0xbd5c1c4e
	v_fmaak_f32 v71, v70, v71, 0x3e088382
	;; [unrolled: 1-line block ×3, first 2 shown]
	v_mul_f32_e64 v71, |v23|, v71
	v_fma_f32 v70, v70, v71, |v23|
; %bb.45:                               ;   in Loop: Header=BB29_21 Depth=1
	s_or_b64 exec, exec, s[6:7]
	v_cmp_nlt_f32_e64 s[6:7], |v50|, s8
                                        ; implicit-def: $vgpr71
	s_and_saveexec_b64 s[34:35], s[6:7]
	s_xor_b64 s[6:7], exec, s[34:35]
	s_cbranch_execz .LBB29_47
; %bb.46:                               ;   in Loop: Header=BB29_21 Depth=1
	v_add_f32_e64 v71, |v50|, |v50|
	v_mul_f32_e32 v72, 0x3fb8aa3b, v71
	v_rndne_f32_e32 v73, v72
	v_sub_f32_e32 v74, v72, v73
	v_fma_f32 v72, v71, s9, -v72
	v_fmac_f32_e32 v72, 0x32a5705f, v71
	v_add_f32_e32 v72, v74, v72
	v_cvt_i32_f32_e32 v73, v73
	v_exp_f32_e32 v72, v72
	v_cmp_ngt_f32_e32 vcc, s21, v71
	v_ldexp_f32 v72, v72, v73
	s_nop 0
	v_cndmask_b32_e32 v72, 0, v72, vcc
	v_cmp_nlt_f32_e32 vcc, s28, v71
	s_nop 1
	v_cndmask_b32_e32 v71, v35, v72, vcc
	v_add_f32_e32 v71, 1.0, v71
	v_rcp_f32_e32 v71, v71
	s_nop 0
	v_fma_f32 v71, v71, -2.0, 1.0
.LBB29_47:                              ;   in Loop: Header=BB29_21 Depth=1
	s_andn2_saveexec_b64 s[6:7], s[6:7]
; %bb.48:                               ;   in Loop: Header=BB29_21 Depth=1
	v_mul_f32_e32 v71, v50, v50
	v_fmamk_f32 v72, v71, 0xbbbac73d, v34
	v_fmaak_f32 v72, v71, v72, 0xbd5c1c4e
	v_fmaak_f32 v72, v71, v72, 0x3e088382
	;; [unrolled: 1-line block ×3, first 2 shown]
	v_mul_f32_e64 v72, |v50|, v72
	v_fma_f32 v71, v71, v72, |v50|
; %bb.49:                               ;   in Loop: Header=BB29_21 Depth=1
	s_or_b64 exec, exec, s[6:7]
	v_cmp_nlt_f32_e64 s[6:7], |v51|, s8
                                        ; implicit-def: $vgpr72
	s_and_saveexec_b64 s[34:35], s[6:7]
	s_xor_b64 s[6:7], exec, s[34:35]
	s_cbranch_execz .LBB29_51
; %bb.50:                               ;   in Loop: Header=BB29_21 Depth=1
	v_add_f32_e64 v72, |v51|, |v51|
	v_mul_f32_e32 v73, 0x3fb8aa3b, v72
	v_rndne_f32_e32 v74, v73
	v_sub_f32_e32 v75, v73, v74
	v_fma_f32 v73, v72, s9, -v73
	v_fmac_f32_e32 v73, 0x32a5705f, v72
	v_add_f32_e32 v73, v75, v73
	v_cvt_i32_f32_e32 v74, v74
	v_exp_f32_e32 v73, v73
	v_cmp_ngt_f32_e32 vcc, s21, v72
	v_ldexp_f32 v73, v73, v74
	s_nop 0
	v_cndmask_b32_e32 v73, 0, v73, vcc
	v_cmp_nlt_f32_e32 vcc, s28, v72
	s_nop 1
	v_cndmask_b32_e32 v72, v35, v73, vcc
	v_add_f32_e32 v72, 1.0, v72
	v_rcp_f32_e32 v72, v72
	s_nop 0
	v_fma_f32 v72, v72, -2.0, 1.0
.LBB29_51:                              ;   in Loop: Header=BB29_21 Depth=1
	s_andn2_saveexec_b64 s[6:7], s[6:7]
; %bb.52:                               ;   in Loop: Header=BB29_21 Depth=1
	v_mul_f32_e32 v72, v51, v51
	v_fmamk_f32 v73, v72, 0xbbbac73d, v34
	v_fmaak_f32 v73, v72, v73, 0xbd5c1c4e
	v_fmaak_f32 v73, v72, v73, 0x3e088382
	v_fmaak_f32 v73, v72, v73, 0xbeaaaa99
	v_mul_f32_e64 v73, |v51|, v73
	v_fma_f32 v72, v72, v73, |v51|
; %bb.53:                               ;   in Loop: Header=BB29_21 Depth=1
	s_or_b64 exec, exec, s[6:7]
	v_cvt_f32_f16_e32 v73, v2
	v_cvt_f32_f16_e32 v3, v3
	;; [unrolled: 1-line block ×4, first 2 shown]
	v_bfi_b32 v2, s29, v69, v22
	v_bfi_b32 v22, s29, v70, v23
	v_fmac_f32_e32 v73, s10, v2
	v_fmac_f32_e32 v3, s10, v22
	v_add_f32_e32 v2, 0x40051340, v73
	v_add_f32_e32 v22, 0x40051340, v3
	v_max3_f32 v2, v4, v2, v22
	v_bfi_b32 v22, s29, v71, v50
	v_bfi_b32 v23, s29, v72, v51
	v_fmac_f32_e32 v74, s10, v22
	v_fmac_f32_e32 v64, s10, v23
	v_add_f32_e32 v22, 0x40051340, v74
	v_add_f32_e32 v23, 0x40051340, v64
	v_max3_f32 v2, v2, v22, v23
	ds_bpermute_b32 v22, v61, v2
	s_waitcnt lgkmcnt(1)
	v_max_f32_e32 v23, v68, v68
	v_max_f32_e32 v50, v67, v67
	s_mul_hi_i32 s7, s2, s11
	s_mul_i32 s6, s2, s11
	s_waitcnt lgkmcnt(0)
	v_max_f32_e32 v22, v22, v22
	v_max_f32_e32 v2, v2, v22
	ds_bpermute_b32 v22, v63, v2
	s_waitcnt lgkmcnt(0)
	s_barrier
	v_max_f32_e32 v22, v22, v22
	v_max_f32_e32 v2, v2, v22
	ds_bpermute_b32 v22, v65, v2
	s_waitcnt lgkmcnt(0)
	v_max_f32_e32 v22, v22, v22
	v_max_f32_e32 v2, v2, v22
	ds_bpermute_b32 v51, v66, v2
	v_max_f32_e32 v22, v50, v23
	v_sub_f32_e32 v50, v60, v22
	v_mul_f32_e32 v23, 0x3fb8aa3b, v50
	v_fma_f32 v58, v50, s9, -v23
	s_waitcnt lgkmcnt(0)
	v_max_f32_e32 v51, v51, v51
	v_max_f32_e32 v2, v2, v51
	ds_bpermute_b32 v51, v62, v2
	v_rndne_f32_e32 v60, v23
	v_fmac_f32_e32 v58, 0x32a5705f, v50
	v_sub_f32_e32 v61, v23, v60
	v_cmp_ngt_f32_e32 vcc, s21, v50
	s_waitcnt lgkmcnt(0)
	v_max_f32_e32 v23, v51, v51
	v_max_f32_e32 v23, v2, v23
	v_add_f32_e32 v2, v61, v58
	v_exp_f32_e32 v2, v2
	v_cvt_i32_f32_e32 v51, v60
	v_sub_f32_e32 v1, v1, v22
	v_sub_f32_e32 v49, v49, v22
	;; [unrolled: 1-line block ×3, first 2 shown]
	v_ldexp_f32 v2, v2, v51
	v_sub_f32_e32 v51, v0, v22
	v_mul_f32_e32 v0, 0x3fb8aa3b, v51
	v_fma_f32 v58, v51, s9, -v0
	v_rndne_f32_e32 v60, v0
	v_fmac_f32_e32 v58, 0x32a5705f, v51
	v_sub_f32_e32 v0, v0, v60
	v_add_f32_e32 v0, v0, v58
	v_exp_f32_e32 v58, v0
	v_cvt_i32_f32_e32 v60, v60
	v_cndmask_b32_e32 v0, 0, v2, vcc
	v_cmp_nlt_f32_e32 vcc, s28, v50
	v_sub_f32_e32 v50, v59, v22
	v_ldexp_f32 v2, v58, v60
	v_mul_f32_e32 v58, 0x3fb8aa3b, v50
	v_fma_f32 v59, v50, s9, -v58
	v_rndne_f32_e32 v60, v58
	v_fmac_f32_e32 v59, 0x32a5705f, v50
	v_sub_f32_e32 v58, v58, v60
	v_add_f32_e32 v58, v58, v59
	v_exp_f32_e32 v58, v58
	v_cvt_i32_f32_e32 v59, v60
	v_cndmask_b32_e32 v0, v35, v0, vcc
	v_cmp_ngt_f32_e32 vcc, s21, v51
	v_sub_f32_e32 v4, v4, v23
	s_nop 0
	v_cndmask_b32_e32 v2, 0, v2, vcc
	v_cmp_nlt_f32_e32 vcc, s28, v51
	v_ldexp_f32 v51, v58, v59
	v_mul_f32_e32 v58, 0x3fb8aa3b, v1
	v_fma_f32 v59, v1, s9, -v58
	v_rndne_f32_e32 v60, v58
	v_fmac_f32_e32 v59, 0x32a5705f, v1
	v_sub_f32_e32 v58, v58, v60
	v_add_f32_e32 v58, v58, v59
	v_cvt_i32_f32_e32 v59, v60
	v_mul_f32_e32 v60, 0x3fb8aa3b, v49
	v_fma_f32 v61, v49, s9, -v60
	v_rndne_f32_e32 v62, v60
	v_fmac_f32_e32 v61, 0x32a5705f, v49
	v_sub_f32_e32 v60, v60, v62
	v_add_f32_e32 v60, v60, v61
	v_exp_f32_e32 v58, v58
	v_exp_f32_e32 v60, v60
	v_cvt_i32_f32_e32 v61, v62
	v_cndmask_b32_e32 v2, v35, v2, vcc
	v_cmp_ngt_f32_e32 vcc, s21, v50
	v_lshl_add_u64 v[62:63], s[6:7], 2, v[20:21]
	s_or_b32 s6, s2, 16
	v_cndmask_b32_e32 v51, 0, v51, vcc
	v_cmp_nlt_f32_e32 vcc, s28, v50
	s_mul_hi_i32 s7, s6, s11
	s_mul_i32 s6, s6, s11
	v_cndmask_b32_e32 v50, v35, v51, vcc
	v_ldexp_f32 v51, v58, v59
	v_ldexp_f32 v58, v60, v61
	v_cmp_ngt_f32_e32 vcc, s21, v49
	v_mul_f32_e32 v59, 0x3fb8aa3b, v3
	v_fma_f32 v61, v3, s9, -v59
	v_cndmask_b32_e32 v58, 0, v58, vcc
	v_cmp_nlt_f32_e32 vcc, s28, v49
	v_fmac_f32_e32 v61, 0x32a5705f, v3
	s_nop 0
	v_cndmask_b32_e32 v58, v35, v58, vcc
	v_cvt_f16_f32_e32 v49, v58
	v_cmp_ngt_f32_e32 vcc, s21, v1
	v_mul_u32_u24_e32 v66, 0x10001, v49
	s_nop 0
	v_cndmask_b32_e32 v51, 0, v51, vcc
	v_cmp_nlt_f32_e32 vcc, s28, v1
	v_sub_f32_e32 v1, v73, v23
	v_pk_mul_f16 v71, v44, v66
	v_mul_f32_e32 v44, 0x3fb8aa3b, v1
	v_pk_mul_f16 v69, v46, v66
	v_pk_mul_f16 v70, v45, v66
	v_fma_f32 v45, v1, s9, -v44
	v_rndne_f32_e32 v46, v44
	v_fmac_f32_e32 v45, 0x32a5705f, v1
	v_sub_f32_e32 v44, v44, v46
	v_add_f32_e32 v44, v44, v45
	v_exp_f32_e32 v44, v44
	v_cvt_i32_f32_e32 v45, v46
	v_cndmask_b32_e32 v60, v35, v51, vcc
	v_pk_mul_f16 v67, v48, v66
	v_pk_mul_f16 v68, v47, v66
	;; [unrolled: 1-line block ×4, first 2 shown]
	v_ldexp_f32 v51, v44, v45
	global_load_dwordx4 v[42:45], v[62:63], off
	global_load_dwordx4 v[46:49], v[62:63], off offset:512
	v_rndne_f32_e32 v62, v59
	v_sub_f32_e32 v59, v59, v62
	v_add_f32_e32 v59, v59, v61
	v_exp_f32_e32 v59, v59
	v_cvt_i32_f32_e32 v61, v62
	v_cmp_ngt_f32_e32 vcc, s21, v1
	s_nop 1
	v_cndmask_b32_e32 v51, 0, v51, vcc
	v_cmp_nlt_f32_e32 vcc, s28, v1
	s_nop 1
	v_cndmask_b32_e32 v1, v35, v51, vcc
	v_ldexp_f32 v51, v59, v61
	v_sub_f32_e32 v59, v74, v23
	v_mul_f32_e32 v61, 0x3fb8aa3b, v59
	v_fma_f32 v62, v59, s9, -v61
	v_rndne_f32_e32 v63, v61
	v_fmac_f32_e32 v62, 0x32a5705f, v59
	v_sub_f32_e32 v61, v61, v63
	v_add_f32_e32 v61, v61, v62
	v_exp_f32_e32 v61, v61
	v_cvt_i32_f32_e32 v62, v63
	v_cmp_ngt_f32_e32 vcc, s21, v3
	s_nop 1
	v_cndmask_b32_e32 v51, 0, v51, vcc
	v_cmp_nlt_f32_e32 vcc, s28, v3
	s_nop 1
	v_cndmask_b32_e32 v3, v35, v51, vcc
	v_ldexp_f32 v51, v61, v62
	v_sub_f32_e32 v61, v64, v23
	v_mul_f32_e32 v62, 0x3fb8aa3b, v61
	v_fma_f32 v63, v61, s9, -v62
	v_rndne_f32_e32 v64, v62
	v_fmac_f32_e32 v63, 0x32a5705f, v61
	v_sub_f32_e32 v62, v62, v64
	v_add_f32_e32 v62, v62, v63
	v_exp_f32_e32 v62, v62
	v_cvt_i32_f32_e32 v63, v64
	v_cmp_ngt_f32_e32 vcc, s21, v59
	s_nop 1
	v_cndmask_b32_e32 v51, 0, v51, vcc
	v_cmp_nlt_f32_e32 vcc, s28, v59
	v_ldexp_f32 v59, v62, v63
	v_mul_f32_e32 v62, 0x3fb8aa3b, v4
	v_fma_f32 v63, v4, s9, -v62
	v_rndne_f32_e32 v64, v62
	v_fmac_f32_e32 v63, 0x32a5705f, v4
	v_sub_f32_e32 v62, v62, v64
	v_add_f32_e32 v62, v62, v63
	v_exp_f32_e32 v62, v62
	v_cvt_i32_f32_e32 v63, v64
	v_cndmask_b32_e32 v51, v35, v51, vcc
	v_cmp_ngt_f32_e32 vcc, s21, v61
	s_nop 1
	v_cndmask_b32_e32 v59, 0, v59, vcc
	v_cmp_nlt_f32_e32 vcc, s28, v61
	s_nop 1
	v_cndmask_b32_e32 v61, v35, v59, vcc
	v_ldexp_f32 v59, v62, v63
	v_cmp_ngt_f32_e32 vcc, s21, v4
	v_pk_add_f32 v[62:63], v[0:1], v[2:3]
	v_cvt_pk_f16_f32 v0, v0, v1
	v_cndmask_b32_e32 v59, 0, v59, vcc
	v_cmp_nlt_f32_e32 vcc, s28, v4
	v_pk_add_f32 v[62:63], v[50:51], v[62:63]
	v_cvt_pk_f16_f32 v1, v2, v3
	v_cndmask_b32_e32 v59, v35, v59, vcc
	v_cvt_f16_f32_e32 v4, v59
	v_pk_add_f32 v[62:63], v[60:61], v[62:63]
	v_mul_u32_u24_e32 v74, 0x10001, v4
	v_add_u32_e32 v4, v30, v25
	ds_write2_b32 v4, v0, v1 offset1:32
	v_cvt_pk_f16_f32 v0, v50, v51
	v_cvt_pk_f16_f32 v1, v60, v61
	v_pk_fma_f32 v[10:11], v[10:11], v[58:59], v[62:63]
	v_pk_mul_f16 v75, v7, v74
	v_pk_mul_f16 v76, v6, v74
	;; [unrolled: 1-line block ×3, first 2 shown]
	ds_write2_b32 v4, v0, v1 offset0:64 offset1:96
	s_waitcnt vmcnt(1)
	ds_write_b128 v31, v[42:45]
	s_waitcnt vmcnt(0)
	ds_write_b128 v32, v[46:49]
	s_waitcnt lgkmcnt(0)
	s_barrier
	ds_read2_b64 v[42:45], v33 offset1:32
	ds_read_b128 v[46:49], v30
	ds_read2_b64 v[58:61], v33 offset0:64 offset1:96
	ds_read_b128 v[62:65], v30 offset:16
	ds_read_b128 v[4:7], v30 offset:32
	ds_read_b128 v[0:3], v30 offset:48
	s_waitcnt lgkmcnt(4)
	v_mul_u32_u24_sdwa v50, v46, s31 dst_sel:DWORD dst_unused:UNUSED_PAD src0_sel:WORD_0 src1_sel:DWORD
	v_mul_u32_u24_sdwa v46, v46, s31 dst_sel:DWORD dst_unused:UNUSED_PAD src0_sel:WORD_1 src1_sel:DWORD
	v_pk_mul_f16 v51, v42, v50
	v_pk_mul_f16 v39, v39, v74
	;; [unrolled: 1-line block ×4, first 2 shown]
	v_pk_fma_f16 v51, v41, v66, v51
	v_pk_mul_f16 v41, v42, v46
	v_pk_mul_f16 v40, v40, v74
	v_pk_fma_f16 v66, v37, v74, v41
	v_pk_fma_f16 v68, v44, v50, v68
	;; [unrolled: 1-line block ×5, first 2 shown]
	s_waitcnt lgkmcnt(3)
	v_pk_fma_f16 v71, v59, v50, v71
	v_pk_fma_f16 v59, v59, v46, v36
	ds_read2_b64 v[36:39], v33 offset0:128 offset1:160
	v_pk_fma_f16 v67, v43, v50, v67
	v_pk_fma_f16 v74, v43, v46, v40
	ds_read2_b64 v[40:43], v33 offset0:192 offset1:224
	v_pk_fma_f16 v70, v58, v50, v70
	v_pk_fma_f16 v58, v58, v46, v75
	;; [unrolled: 1-line block ×6, first 2 shown]
	v_mul_u32_u24_sdwa v61, v47, s31 dst_sel:DWORD dst_unused:UNUSED_PAD src0_sel:WORD_0 src1_sel:DWORD
	v_mul_u32_u24_sdwa v47, v47, s31 dst_sel:DWORD dst_unused:UNUSED_PAD src0_sel:WORD_1 src1_sel:DWORD
	s_waitcnt lgkmcnt(1)
	v_pk_fma_f16 v51, v36, v61, v51
	v_pk_fma_f16 v66, v36, v47, v66
	v_add_u32_e32 v36, 0x800, v33
	v_pk_fma_f16 v67, v37, v61, v67
	v_pk_fma_f16 v37, v37, v47, v74
	;; [unrolled: 1-line block ×6, first 2 shown]
	s_waitcnt lgkmcnt(0)
	v_pk_fma_f16 v70, v40, v61, v70
	v_pk_fma_f16 v58, v40, v47, v58
	;; [unrolled: 1-line block ×4, first 2 shown]
	ds_read2_b64 v[38:41], v36 offset1:32
	v_pk_fma_f16 v72, v42, v61, v72
	v_pk_fma_f16 v60, v42, v47, v60
	;; [unrolled: 1-line block ×4, first 2 shown]
	ds_read2_b64 v[42:45], v36 offset0:64 offset1:96
	v_mul_u32_u24_sdwa v47, v48, s31 dst_sel:DWORD dst_unused:UNUSED_PAD src0_sel:WORD_0 src1_sel:DWORD
	v_mul_u32_u24_sdwa v48, v48, s31 dst_sel:DWORD dst_unused:UNUSED_PAD src0_sel:WORD_1 src1_sel:DWORD
	s_waitcnt lgkmcnt(1)
	v_pk_fma_f16 v51, v38, v47, v51
	v_pk_fma_f16 v61, v38, v48, v66
	;; [unrolled: 1-line block ×8, first 2 shown]
	ds_read2_b64 v[38:41], v36 offset0:128 offset1:160
	s_waitcnt lgkmcnt(1)
	v_pk_fma_f16 v70, v42, v47, v70
	v_pk_fma_f16 v58, v42, v48, v58
	;; [unrolled: 1-line block ×8, first 2 shown]
	ds_read2_b64 v[42:45], v36 offset0:192 offset1:224
	v_mul_u32_u24_sdwa v48, v49, s31 dst_sel:DWORD dst_unused:UNUSED_PAD src0_sel:WORD_0 src1_sel:DWORD
	v_mul_u32_u24_sdwa v49, v49, s31 dst_sel:DWORD dst_unused:UNUSED_PAD src0_sel:WORD_1 src1_sel:DWORD
	s_waitcnt lgkmcnt(1)
	v_pk_fma_f16 v50, v38, v48, v51
	v_pk_fma_f16 v51, v38, v49, v61
	;; [unrolled: 1-line block ×4, first 2 shown]
	v_add_u32_e32 v37, 0x1000, v33
	v_pk_fma_f16 v67, v40, v48, v67
	v_pk_fma_f16 v68, v40, v49, v68
	;; [unrolled: 1-line block ×4, first 2 shown]
	ds_read2_b64 v[38:41], v37 offset1:32
	s_waitcnt lgkmcnt(1)
	v_pk_fma_f16 v70, v42, v48, v70
	v_pk_fma_f16 v58, v42, v49, v58
	v_pk_fma_f16 v71, v43, v48, v71
	v_pk_fma_f16 v59, v43, v49, v59
	v_pk_fma_f16 v72, v44, v48, v72
	v_pk_fma_f16 v60, v44, v49, v60
	v_pk_fma_f16 v47, v45, v48, v47
	v_pk_fma_f16 v46, v45, v49, v46
	ds_read2_b64 v[42:45], v37 offset0:64 offset1:96
	v_mul_u32_u24_sdwa v48, v62, s31 dst_sel:DWORD dst_unused:UNUSED_PAD src0_sel:WORD_0 src1_sel:DWORD
	v_mul_u32_u24_sdwa v49, v62, s31 dst_sel:DWORD dst_unused:UNUSED_PAD src0_sel:WORD_1 src1_sel:DWORD
	s_waitcnt lgkmcnt(1)
	v_pk_fma_f16 v50, v38, v48, v50
	v_pk_fma_f16 v51, v38, v49, v51
	v_pk_fma_f16 v61, v39, v48, v61
	v_pk_fma_f16 v62, v39, v49, v66
	v_pk_fma_f16 v66, v40, v48, v67
	v_pk_fma_f16 v67, v40, v49, v68
	v_pk_fma_f16 v68, v41, v48, v69
	v_pk_fma_f16 v69, v41, v49, v73
	ds_read2_b64 v[38:41], v37 offset0:128 offset1:160
	s_waitcnt lgkmcnt(1)
	v_pk_fma_f16 v70, v42, v48, v70
	v_pk_fma_f16 v58, v42, v49, v58
	;; [unrolled: 1-line block ×8, first 2 shown]
	ds_read2_b64 v[42:45], v37 offset0:192 offset1:224
	v_mul_u32_u24_sdwa v48, v63, s31 dst_sel:DWORD dst_unused:UNUSED_PAD src0_sel:WORD_0 src1_sel:DWORD
	v_mul_u32_u24_sdwa v49, v63, s31 dst_sel:DWORD dst_unused:UNUSED_PAD src0_sel:WORD_1 src1_sel:DWORD
	s_waitcnt lgkmcnt(1)
	v_pk_fma_f16 v50, v38, v48, v50
	v_pk_fma_f16 v51, v38, v49, v51
	v_add_u32_e32 v38, 0x1800, v33
	v_pk_fma_f16 v61, v39, v48, v61
	v_pk_fma_f16 v39, v39, v49, v62
	;; [unrolled: 1-line block ×6, first 2 shown]
	s_waitcnt lgkmcnt(0)
	v_pk_fma_f16 v68, v42, v48, v70
	v_pk_fma_f16 v58, v42, v49, v58
	;; [unrolled: 1-line block ×4, first 2 shown]
	ds_read2_b64 v[40:43], v38 offset1:32
	v_pk_fma_f16 v70, v44, v48, v72
	v_pk_fma_f16 v60, v44, v49, v60
	;; [unrolled: 1-line block ×4, first 2 shown]
	ds_read2_b64 v[44:47], v38 offset0:64 offset1:96
	v_mul_u32_u24_sdwa v71, v64, s31 dst_sel:DWORD dst_unused:UNUSED_PAD src0_sel:WORD_0 src1_sel:DWORD
	v_mul_u32_u24_sdwa v64, v64, s31 dst_sel:DWORD dst_unused:UNUSED_PAD src0_sel:WORD_1 src1_sel:DWORD
	s_waitcnt lgkmcnt(1)
	v_pk_fma_f16 v50, v40, v71, v50
	v_pk_fma_f16 v51, v40, v64, v51
	;; [unrolled: 1-line block ×8, first 2 shown]
	ds_read2_b64 v[40:43], v38 offset0:128 offset1:160
	s_waitcnt lgkmcnt(1)
	v_pk_fma_f16 v68, v44, v71, v68
	v_pk_fma_f16 v58, v44, v64, v58
	v_pk_fma_f16 v69, v45, v71, v69
	v_pk_fma_f16 v59, v45, v64, v59
	v_pk_fma_f16 v70, v46, v71, v70
	v_pk_fma_f16 v60, v46, v64, v60
	v_pk_fma_f16 v48, v47, v71, v48
	v_pk_fma_f16 v49, v47, v64, v49
	ds_read2_b64 v[44:47], v38 offset0:192 offset1:224
	v_mul_u32_u24_sdwa v64, v65, s31 dst_sel:DWORD dst_unused:UNUSED_PAD src0_sel:WORD_0 src1_sel:DWORD
	v_mul_u32_u24_sdwa v65, v65, s31 dst_sel:DWORD dst_unused:UNUSED_PAD src0_sel:WORD_1 src1_sel:DWORD
	s_waitcnt lgkmcnt(1)
	v_pk_fma_f16 v71, v41, v65, v39
	v_add_u32_e32 v39, 0x2000, v33
	v_pk_fma_f16 v50, v40, v64, v50
	v_pk_fma_f16 v51, v40, v65, v51
	;; [unrolled: 1-line block ×7, first 2 shown]
	ds_read2_b64 v[40:43], v39 offset1:32
	s_waitcnt lgkmcnt(1)
	v_pk_fma_f16 v68, v44, v64, v68
	v_pk_fma_f16 v58, v44, v65, v58
	;; [unrolled: 1-line block ×8, first 2 shown]
	ds_read2_b64 v[44:47], v39 offset0:64 offset1:96
	v_mul_u32_u24_sdwa v64, v4, s31 dst_sel:DWORD dst_unused:UNUSED_PAD src0_sel:WORD_0 src1_sel:DWORD
	v_mul_u32_u24_sdwa v4, v4, s31 dst_sel:DWORD dst_unused:UNUSED_PAD src0_sel:WORD_1 src1_sel:DWORD
	s_waitcnt lgkmcnt(1)
	v_pk_fma_f16 v50, v40, v64, v50
	v_pk_fma_f16 v51, v40, v4, v51
	;; [unrolled: 1-line block ×8, first 2 shown]
	ds_read2_b64 v[40:43], v39 offset0:128 offset1:160
	s_waitcnt lgkmcnt(1)
	v_pk_fma_f16 v68, v44, v64, v68
	v_pk_fma_f16 v58, v44, v4, v58
	v_pk_fma_f16 v69, v45, v64, v69
	v_pk_fma_f16 v59, v45, v4, v59
	v_pk_fma_f16 v70, v46, v64, v70
	v_pk_fma_f16 v60, v46, v4, v60
	v_pk_fma_f16 v48, v47, v64, v48
	v_pk_fma_f16 v4, v47, v4, v49
	ds_read2_b64 v[44:47], v39 offset0:192 offset1:224
	v_mul_u32_u24_sdwa v49, v5, s31 dst_sel:DWORD dst_unused:UNUSED_PAD src0_sel:WORD_0 src1_sel:DWORD
	v_mul_u32_u24_sdwa v5, v5, s31 dst_sel:DWORD dst_unused:UNUSED_PAD src0_sel:WORD_1 src1_sel:DWORD
	s_waitcnt lgkmcnt(1)
	v_pk_fma_f16 v50, v40, v49, v50
	v_pk_fma_f16 v51, v40, v5, v51
	v_add_u32_e32 v40, 0x2800, v33
	v_pk_fma_f16 v61, v41, v49, v61
	v_pk_fma_f16 v41, v41, v5, v65
	;; [unrolled: 1-line block ×6, first 2 shown]
	s_waitcnt lgkmcnt(0)
	v_pk_fma_f16 v66, v44, v49, v68
	v_pk_fma_f16 v58, v44, v5, v58
	;; [unrolled: 1-line block ×4, first 2 shown]
	ds_read2_b64 v[42:45], v40 offset1:32
	v_pk_fma_f16 v68, v46, v49, v70
	v_pk_fma_f16 v60, v46, v5, v60
	;; [unrolled: 1-line block ×4, first 2 shown]
	ds_read2_b64 v[46:49], v40 offset0:64 offset1:96
	v_mul_u32_u24_sdwa v5, v6, s31 dst_sel:DWORD dst_unused:UNUSED_PAD src0_sel:WORD_0 src1_sel:DWORD
	v_mul_u32_u24_sdwa v6, v6, s31 dst_sel:DWORD dst_unused:UNUSED_PAD src0_sel:WORD_1 src1_sel:DWORD
	s_waitcnt lgkmcnt(1)
	v_pk_fma_f16 v50, v42, v5, v50
	v_pk_fma_f16 v51, v42, v6, v51
	;; [unrolled: 1-line block ×8, first 2 shown]
	ds_read2_b64 v[42:45], v40 offset0:128 offset1:160
	s_waitcnt lgkmcnt(1)
	v_pk_fma_f16 v66, v46, v5, v66
	v_pk_fma_f16 v58, v46, v6, v58
	;; [unrolled: 1-line block ×8, first 2 shown]
	ds_read2_b64 v[46:49], v40 offset0:192 offset1:224
	v_mul_u32_u24_sdwa v100, v7, s31 dst_sel:DWORD dst_unused:UNUSED_PAD src0_sel:WORD_0 src1_sel:DWORD
	v_mul_u32_u24_sdwa v101, v7, s31 dst_sel:DWORD dst_unused:UNUSED_PAD src0_sel:WORD_1 src1_sel:DWORD
	s_waitcnt lgkmcnt(1)
	v_pk_fma_f16 v50, v42, v100, v50
	v_pk_fma_f16 v51, v42, v101, v51
	;; [unrolled: 1-line block ×8, first 2 shown]
	v_add_u32_e32 v42, 0x3000, v33
	v_add_u32_e32 v41, 0x3800, v33
	v_lshl_add_u64 v[44:45], s[6:7], 2, v[20:21]
	s_waitcnt lgkmcnt(0)
	v_pk_fma_f16 v107, v46, v100, v66
	v_pk_fma_f16 v46, v46, v101, v58
	ds_read2_b64 v[4:7], v42 offset1:32
	ds_read2_b64 v[58:61], v42 offset0:64 offset1:96
	ds_read2_b64 v[62:65], v42 offset0:128 offset1:160
	;; [unrolled: 1-line block ×3, first 2 shown]
	ds_read2_b64 v[70:73], v41 offset1:32
	ds_read2_b64 v[74:77], v41 offset0:64 offset1:96
	ds_read2_b64 v[78:81], v41 offset0:128 offset1:160
	;; [unrolled: 1-line block ×3, first 2 shown]
	s_waitcnt lgkmcnt(0)
	s_barrier
	global_load_dwordx4 v[86:89], v[44:45], off
	global_load_dwordx4 v[90:93], v[44:45], off offset:512
	v_pk_fma_f16 v44, v47, v100, v94
	v_pk_fma_f16 v45, v47, v101, v95
	v_pk_fma_f16 v47, v48, v100, v96
	v_pk_fma_f16 v48, v48, v101, v97
	v_pk_fma_f16 v94, v49, v100, v98
	v_pk_fma_f16 v49, v49, v101, v99
	v_mul_u32_u24_sdwa v95, v0, s31 dst_sel:DWORD dst_unused:UNUSED_PAD src0_sel:WORD_0 src1_sel:DWORD
	v_mul_u32_u24_sdwa v0, v0, s31 dst_sel:DWORD dst_unused:UNUSED_PAD src0_sel:WORD_1 src1_sel:DWORD
	v_pk_fma_f16 v50, v4, v95, v50
	v_pk_fma_f16 v4, v4, v0, v51
	v_pk_fma_f16 v51, v5, v95, v102
	v_pk_fma_f16 v5, v5, v0, v43
	v_pk_fma_f16 v43, v6, v95, v103
	v_pk_fma_f16 v6, v6, v0, v104
	v_pk_fma_f16 v96, v7, v95, v105
	v_pk_fma_f16 v7, v7, v0, v106
	v_pk_fma_f16 v97, v58, v95, v107
	v_pk_fma_f16 v46, v58, v0, v46
	v_pk_fma_f16 v44, v59, v95, v44
	v_pk_fma_f16 v45, v59, v0, v45
	v_pk_fma_f16 v47, v60, v95, v47
	v_pk_fma_f16 v48, v60, v0, v48
	v_pk_fma_f16 v58, v61, v95, v94
	v_pk_fma_f16 v0, v61, v0, v49
	v_mul_u32_u24_sdwa v49, v1, s31 dst_sel:DWORD dst_unused:UNUSED_PAD src0_sel:WORD_0 src1_sel:DWORD
	v_mul_u32_u24_sdwa v1, v1, s31 dst_sel:DWORD dst_unused:UNUSED_PAD src0_sel:WORD_1 src1_sel:DWORD
	v_pk_fma_f16 v50, v62, v49, v50
	v_pk_fma_f16 v4, v62, v1, v4
	v_pk_fma_f16 v51, v63, v49, v51
	v_pk_fma_f16 v5, v63, v1, v5
	v_pk_fma_f16 v43, v64, v49, v43
	v_pk_fma_f16 v6, v64, v1, v6
	v_pk_fma_f16 v59, v65, v49, v96
	v_pk_fma_f16 v7, v65, v1, v7
	v_pk_fma_f16 v60, v66, v49, v97
	v_pk_fma_f16 v46, v66, v1, v46
	;; [unrolled: 18-line block ×4, first 2 shown]
	v_pk_fma_f16 v75, v83, v2, v44
	v_pk_fma_f16 v76, v83, v3, v45
	;; [unrolled: 1-line block ×6, first 2 shown]
	s_waitcnt vmcnt(1)
	ds_write_b128 v31, v[86:89]
	s_waitcnt vmcnt(0)
	ds_write_b128 v32, v[90:93]
	s_waitcnt lgkmcnt(0)
	s_barrier
	ds_read2_b64 v[44:47], v33 offset1:32
	ds_read_b128 v[48:51], v30 offset:64
	ds_read2_b64 v[58:61], v33 offset0:64 offset1:96
	ds_read_b128 v[62:65], v30 offset:80
	ds_read_b128 v[4:7], v30 offset:96
	;; [unrolled: 1-line block ×3, first 2 shown]
	s_waitcnt lgkmcnt(4)
	v_mul_u32_u24_sdwa v81, v48, s31 dst_sel:DWORD dst_unused:UNUSED_PAD src0_sel:WORD_0 src1_sel:DWORD
	v_mul_u32_u24_sdwa v48, v48, s31 dst_sel:DWORD dst_unused:UNUSED_PAD src0_sel:WORD_1 src1_sel:DWORD
	v_pk_fma_f16 v66, v44, v81, v66
	v_pk_fma_f16 v67, v44, v48, v67
	v_pk_fma_f16 v68, v45, v81, v68
	v_pk_fma_f16 v69, v45, v48, v69
	v_pk_fma_f16 v43, v46, v81, v43
	v_pk_fma_f16 v70, v46, v48, v70
	v_pk_fma_f16 v71, v47, v81, v71
	v_pk_fma_f16 v72, v47, v48, v72
	s_waitcnt lgkmcnt(3)
	v_pk_fma_f16 v73, v58, v81, v73
	v_pk_fma_f16 v74, v58, v48, v74
	v_pk_fma_f16 v75, v59, v81, v75
	v_pk_fma_f16 v76, v59, v48, v76
	v_pk_fma_f16 v77, v60, v81, v77
	v_pk_fma_f16 v78, v60, v48, v78
	v_pk_fma_f16 v79, v61, v81, v79
	ds_read2_b64 v[44:47], v33 offset0:128 offset1:160
	v_pk_fma_f16 v48, v61, v48, v80
	ds_read2_b64 v[58:61], v33 offset0:192 offset1:224
	v_mul_u32_u24_sdwa v80, v49, s31 dst_sel:DWORD dst_unused:UNUSED_PAD src0_sel:WORD_0 src1_sel:DWORD
	v_mul_u32_u24_sdwa v49, v49, s31 dst_sel:DWORD dst_unused:UNUSED_PAD src0_sel:WORD_1 src1_sel:DWORD
	s_waitcnt lgkmcnt(1)
	v_pk_fma_f16 v66, v44, v80, v66
	v_pk_fma_f16 v67, v44, v49, v67
	v_pk_fma_f16 v68, v45, v80, v68
	v_pk_fma_f16 v69, v45, v49, v69
	v_pk_fma_f16 v43, v46, v80, v43
	v_pk_fma_f16 v70, v46, v49, v70
	v_pk_fma_f16 v71, v47, v80, v71
	v_pk_fma_f16 v72, v47, v49, v72
	s_waitcnt lgkmcnt(0)
	v_pk_fma_f16 v73, v58, v80, v73
	v_pk_fma_f16 v74, v58, v49, v74
	v_pk_fma_f16 v75, v59, v80, v75
	v_pk_fma_f16 v76, v59, v49, v76
	v_pk_fma_f16 v77, v60, v80, v77
	v_pk_fma_f16 v78, v60, v49, v78
	v_pk_fma_f16 v79, v61, v80, v79
	ds_read2_b64 v[44:47], v36 offset1:32
	v_pk_fma_f16 v48, v61, v49, v48
	ds_read2_b64 v[58:61], v36 offset0:64 offset1:96
	v_mul_u32_u24_sdwa v49, v50, s31 dst_sel:DWORD dst_unused:UNUSED_PAD src0_sel:WORD_0 src1_sel:DWORD
	v_mul_u32_u24_sdwa v50, v50, s31 dst_sel:DWORD dst_unused:UNUSED_PAD src0_sel:WORD_1 src1_sel:DWORD
	s_waitcnt lgkmcnt(1)
	v_pk_fma_f16 v66, v44, v49, v66
	v_pk_fma_f16 v67, v44, v50, v67
	v_pk_fma_f16 v68, v45, v49, v68
	v_pk_fma_f16 v69, v45, v50, v69
	v_pk_fma_f16 v43, v46, v49, v43
	v_pk_fma_f16 v70, v46, v50, v70
	v_pk_fma_f16 v71, v47, v49, v71
	v_pk_fma_f16 v72, v47, v50, v72
	s_waitcnt lgkmcnt(0)
	v_pk_fma_f16 v73, v58, v49, v73
	v_pk_fma_f16 v74, v58, v50, v74
	v_pk_fma_f16 v75, v59, v49, v75
	v_pk_fma_f16 v76, v59, v50, v76
	v_pk_fma_f16 v77, v60, v49, v77
	v_pk_fma_f16 v78, v60, v50, v78
	v_pk_fma_f16 v49, v61, v49, v79
	ds_read2_b64 v[44:47], v36 offset0:128 offset1:160
	v_pk_fma_f16 v48, v61, v50, v48
	ds_read2_b64 v[58:61], v36 offset0:192 offset1:224
	v_mul_u32_u24_sdwa v50, v51, s31 dst_sel:DWORD dst_unused:UNUSED_PAD src0_sel:WORD_0 src1_sel:DWORD
	v_mul_u32_u24_sdwa v51, v51, s31 dst_sel:DWORD dst_unused:UNUSED_PAD src0_sel:WORD_1 src1_sel:DWORD
	s_waitcnt lgkmcnt(1)
	v_pk_fma_f16 v66, v44, v50, v66
	v_pk_fma_f16 v67, v44, v51, v67
	v_pk_fma_f16 v68, v45, v50, v68
	v_pk_fma_f16 v69, v45, v51, v69
	v_pk_fma_f16 v43, v46, v50, v43
	v_pk_fma_f16 v70, v46, v51, v70
	v_pk_fma_f16 v71, v47, v50, v71
	v_pk_fma_f16 v72, v47, v51, v72
	s_waitcnt lgkmcnt(0)
	v_pk_fma_f16 v73, v58, v50, v73
	v_pk_fma_f16 v58, v58, v51, v74
	v_pk_fma_f16 v74, v59, v50, v75
	v_pk_fma_f16 v59, v59, v51, v76
	v_pk_fma_f16 v75, v60, v50, v77
	v_pk_fma_f16 v60, v60, v51, v78
	v_pk_fma_f16 v76, v61, v50, v49
	ds_read2_b64 v[44:47], v37 offset1:32
	v_pk_fma_f16 v61, v61, v51, v48
	ds_read2_b64 v[48:51], v37 offset0:64 offset1:96
	v_mul_u32_u24_sdwa v77, v62, s31 dst_sel:DWORD dst_unused:UNUSED_PAD src0_sel:WORD_0 src1_sel:DWORD
	v_mul_u32_u24_sdwa v62, v62, s31 dst_sel:DWORD dst_unused:UNUSED_PAD src0_sel:WORD_1 src1_sel:DWORD
	s_waitcnt lgkmcnt(1)
	;; [unrolled: 44-line block ×5, first 2 shown]
	v_pk_fma_f16 v62, v44, v5, v63
	v_pk_fma_f16 v63, v44, v6, v64
	;; [unrolled: 1-line block ×8, first 2 shown]
	s_waitcnt lgkmcnt(0)
	v_pk_fma_f16 v69, v48, v5, v70
	v_pk_fma_f16 v58, v48, v6, v58
	;; [unrolled: 1-line block ×7, first 2 shown]
	ds_read2_b64 v[44:47], v40 offset0:128 offset1:160
	v_pk_fma_f16 v97, v51, v6, v4
	ds_read2_b64 v[48:51], v40 offset0:192 offset1:224
	s_or_b32 s6, s2, 32
	s_mul_hi_i32 s7, s6, s11
	s_mul_i32 s6, s6, s11
	v_mul_u32_u24_sdwa v98, v7, s31 dst_sel:DWORD dst_unused:UNUSED_PAD src0_sel:WORD_0 src1_sel:DWORD
	v_mul_u32_u24_sdwa v99, v7, s31 dst_sel:DWORD dst_unused:UNUSED_PAD src0_sel:WORD_1 src1_sel:DWORD
	v_lshl_add_u64 v[90:91], s[6:7], 2, v[20:21]
	s_waitcnt lgkmcnt(1)
	v_pk_fma_f16 v100, v44, v98, v62
	v_pk_fma_f16 v101, v44, v99, v63
	;; [unrolled: 1-line block ×8, first 2 shown]
	s_waitcnt lgkmcnt(0)
	v_pk_fma_f16 v107, v48, v98, v69
	v_pk_fma_f16 v48, v48, v99, v58
	ds_read2_b64 v[4:7], v42 offset1:32
	ds_read2_b64 v[44:47], v42 offset0:64 offset1:96
	ds_read2_b64 v[58:61], v42 offset0:128 offset1:160
	;; [unrolled: 1-line block ×3, first 2 shown]
	ds_read2_b64 v[66:69], v41 offset1:32
	ds_read2_b64 v[70:73], v41 offset0:64 offset1:96
	ds_read2_b64 v[74:77], v41 offset0:128 offset1:160
	;; [unrolled: 1-line block ×3, first 2 shown]
	s_waitcnt lgkmcnt(0)
	s_barrier
	global_load_dwordx4 v[82:85], v[90:91], off
	global_load_dwordx4 v[86:89], v[90:91], off offset:512
	v_pk_fma_f16 v90, v49, v98, v92
	v_pk_fma_f16 v49, v49, v99, v93
	v_pk_fma_f16 v91, v50, v98, v94
	v_pk_fma_f16 v50, v50, v99, v95
	v_pk_fma_f16 v92, v51, v98, v96
	v_pk_fma_f16 v51, v51, v99, v97
	v_mul_u32_u24_sdwa v93, v0, s31 dst_sel:DWORD dst_unused:UNUSED_PAD src0_sel:WORD_0 src1_sel:DWORD
	v_mul_u32_u24_sdwa v0, v0, s31 dst_sel:DWORD dst_unused:UNUSED_PAD src0_sel:WORD_1 src1_sel:DWORD
	v_pk_fma_f16 v94, v4, v93, v100
	v_pk_fma_f16 v4, v4, v0, v101
	v_pk_fma_f16 v95, v5, v93, v102
	v_pk_fma_f16 v5, v5, v0, v103
	v_pk_fma_f16 v43, v6, v93, v43
	v_pk_fma_f16 v6, v6, v0, v104
	v_pk_fma_f16 v96, v7, v93, v105
	v_pk_fma_f16 v7, v7, v0, v106
	v_pk_fma_f16 v97, v44, v93, v107
	v_pk_fma_f16 v44, v44, v0, v48
	v_pk_fma_f16 v48, v45, v93, v90
	v_pk_fma_f16 v45, v45, v0, v49
	v_pk_fma_f16 v49, v46, v93, v91
	v_pk_fma_f16 v46, v46, v0, v50
	v_pk_fma_f16 v50, v47, v93, v92
	v_pk_fma_f16 v0, v47, v0, v51
	v_mul_u32_u24_sdwa v47, v1, s31 dst_sel:DWORD dst_unused:UNUSED_PAD src0_sel:WORD_0 src1_sel:DWORD
	v_mul_u32_u24_sdwa v1, v1, s31 dst_sel:DWORD dst_unused:UNUSED_PAD src0_sel:WORD_1 src1_sel:DWORD
	v_pk_fma_f16 v51, v58, v47, v94
	v_pk_fma_f16 v4, v58, v1, v4
	v_pk_fma_f16 v58, v59, v47, v95
	v_pk_fma_f16 v5, v59, v1, v5
	v_pk_fma_f16 v43, v60, v47, v43
	v_pk_fma_f16 v6, v60, v1, v6
	v_pk_fma_f16 v59, v61, v47, v96
	v_pk_fma_f16 v7, v61, v1, v7
	v_pk_fma_f16 v60, v62, v47, v97
	v_pk_fma_f16 v44, v62, v1, v44
	;; [unrolled: 18-line block ×4, first 2 shown]
	v_pk_fma_f16 v75, v79, v2, v48
	v_pk_fma_f16 v76, v79, v3, v45
	;; [unrolled: 1-line block ×6, first 2 shown]
	s_waitcnt vmcnt(1)
	ds_write_b128 v31, v[82:85]
	s_waitcnt vmcnt(0)
	ds_write_b128 v32, v[86:89]
	s_waitcnt lgkmcnt(0)
	s_barrier
	ds_read2_b64 v[44:47], v33 offset1:32
	ds_read_b128 v[48:51], v30 offset:128
	ds_read2_b64 v[58:61], v33 offset0:64 offset1:96
	ds_read_b128 v[62:65], v30 offset:144
	ds_read_b128 v[4:7], v30 offset:160
	;; [unrolled: 1-line block ×3, first 2 shown]
	s_waitcnt lgkmcnt(4)
	v_mul_u32_u24_sdwa v81, v48, s31 dst_sel:DWORD dst_unused:UNUSED_PAD src0_sel:WORD_0 src1_sel:DWORD
	v_mul_u32_u24_sdwa v48, v48, s31 dst_sel:DWORD dst_unused:UNUSED_PAD src0_sel:WORD_1 src1_sel:DWORD
	v_pk_fma_f16 v66, v44, v81, v66
	v_pk_fma_f16 v67, v44, v48, v67
	v_pk_fma_f16 v68, v45, v81, v68
	v_pk_fma_f16 v69, v45, v48, v69
	v_pk_fma_f16 v43, v46, v81, v43
	v_pk_fma_f16 v70, v46, v48, v70
	v_pk_fma_f16 v71, v47, v81, v71
	v_pk_fma_f16 v72, v47, v48, v72
	s_waitcnt lgkmcnt(3)
	v_pk_fma_f16 v73, v58, v81, v73
	v_pk_fma_f16 v74, v58, v48, v74
	v_pk_fma_f16 v75, v59, v81, v75
	v_pk_fma_f16 v76, v59, v48, v76
	v_pk_fma_f16 v77, v60, v81, v77
	v_pk_fma_f16 v78, v60, v48, v78
	v_pk_fma_f16 v79, v61, v81, v79
	ds_read2_b64 v[44:47], v33 offset0:128 offset1:160
	v_pk_fma_f16 v48, v61, v48, v80
	ds_read2_b64 v[58:61], v33 offset0:192 offset1:224
	v_mul_u32_u24_sdwa v80, v49, s31 dst_sel:DWORD dst_unused:UNUSED_PAD src0_sel:WORD_0 src1_sel:DWORD
	v_mul_u32_u24_sdwa v49, v49, s31 dst_sel:DWORD dst_unused:UNUSED_PAD src0_sel:WORD_1 src1_sel:DWORD
	s_waitcnt lgkmcnt(1)
	v_pk_fma_f16 v66, v44, v80, v66
	v_pk_fma_f16 v67, v44, v49, v67
	v_pk_fma_f16 v68, v45, v80, v68
	v_pk_fma_f16 v69, v45, v49, v69
	v_pk_fma_f16 v43, v46, v80, v43
	v_pk_fma_f16 v70, v46, v49, v70
	v_pk_fma_f16 v71, v47, v80, v71
	v_pk_fma_f16 v72, v47, v49, v72
	s_waitcnt lgkmcnt(0)
	v_pk_fma_f16 v73, v58, v80, v73
	v_pk_fma_f16 v74, v58, v49, v74
	v_pk_fma_f16 v75, v59, v80, v75
	v_pk_fma_f16 v76, v59, v49, v76
	v_pk_fma_f16 v77, v60, v80, v77
	v_pk_fma_f16 v78, v60, v49, v78
	v_pk_fma_f16 v79, v61, v80, v79
	ds_read2_b64 v[44:47], v36 offset1:32
	v_pk_fma_f16 v48, v61, v49, v48
	ds_read2_b64 v[58:61], v36 offset0:64 offset1:96
	v_mul_u32_u24_sdwa v49, v50, s31 dst_sel:DWORD dst_unused:UNUSED_PAD src0_sel:WORD_0 src1_sel:DWORD
	v_mul_u32_u24_sdwa v50, v50, s31 dst_sel:DWORD dst_unused:UNUSED_PAD src0_sel:WORD_1 src1_sel:DWORD
	s_waitcnt lgkmcnt(1)
	v_pk_fma_f16 v66, v44, v49, v66
	v_pk_fma_f16 v67, v44, v50, v67
	v_pk_fma_f16 v68, v45, v49, v68
	v_pk_fma_f16 v69, v45, v50, v69
	v_pk_fma_f16 v43, v46, v49, v43
	v_pk_fma_f16 v70, v46, v50, v70
	v_pk_fma_f16 v71, v47, v49, v71
	v_pk_fma_f16 v72, v47, v50, v72
	s_waitcnt lgkmcnt(0)
	v_pk_fma_f16 v73, v58, v49, v73
	v_pk_fma_f16 v74, v58, v50, v74
	v_pk_fma_f16 v75, v59, v49, v75
	v_pk_fma_f16 v76, v59, v50, v76
	v_pk_fma_f16 v77, v60, v49, v77
	v_pk_fma_f16 v78, v60, v50, v78
	v_pk_fma_f16 v49, v61, v49, v79
	ds_read2_b64 v[44:47], v36 offset0:128 offset1:160
	v_pk_fma_f16 v48, v61, v50, v48
	ds_read2_b64 v[58:61], v36 offset0:192 offset1:224
	v_mul_u32_u24_sdwa v50, v51, s31 dst_sel:DWORD dst_unused:UNUSED_PAD src0_sel:WORD_0 src1_sel:DWORD
	v_mul_u32_u24_sdwa v51, v51, s31 dst_sel:DWORD dst_unused:UNUSED_PAD src0_sel:WORD_1 src1_sel:DWORD
	s_waitcnt lgkmcnt(1)
	v_pk_fma_f16 v66, v44, v50, v66
	v_pk_fma_f16 v67, v44, v51, v67
	v_pk_fma_f16 v68, v45, v50, v68
	v_pk_fma_f16 v69, v45, v51, v69
	v_pk_fma_f16 v43, v46, v50, v43
	v_pk_fma_f16 v70, v46, v51, v70
	v_pk_fma_f16 v71, v47, v50, v71
	v_pk_fma_f16 v72, v47, v51, v72
	s_waitcnt lgkmcnt(0)
	v_pk_fma_f16 v73, v58, v50, v73
	v_pk_fma_f16 v58, v58, v51, v74
	v_pk_fma_f16 v74, v59, v50, v75
	v_pk_fma_f16 v59, v59, v51, v76
	v_pk_fma_f16 v75, v60, v50, v77
	v_pk_fma_f16 v60, v60, v51, v78
	v_pk_fma_f16 v76, v61, v50, v49
	ds_read2_b64 v[44:47], v37 offset1:32
	v_pk_fma_f16 v61, v61, v51, v48
	ds_read2_b64 v[48:51], v37 offset0:64 offset1:96
	v_mul_u32_u24_sdwa v77, v62, s31 dst_sel:DWORD dst_unused:UNUSED_PAD src0_sel:WORD_0 src1_sel:DWORD
	v_mul_u32_u24_sdwa v62, v62, s31 dst_sel:DWORD dst_unused:UNUSED_PAD src0_sel:WORD_1 src1_sel:DWORD
	s_waitcnt lgkmcnt(1)
	;; [unrolled: 44-line block ×5, first 2 shown]
	v_pk_fma_f16 v62, v44, v5, v63
	v_pk_fma_f16 v63, v44, v6, v64
	;; [unrolled: 1-line block ×8, first 2 shown]
	s_waitcnt lgkmcnt(0)
	v_pk_fma_f16 v69, v48, v5, v70
	v_pk_fma_f16 v58, v48, v6, v58
	;; [unrolled: 1-line block ×7, first 2 shown]
	ds_read2_b64 v[44:47], v40 offset0:128 offset1:160
	v_pk_fma_f16 v97, v51, v6, v4
	ds_read2_b64 v[48:51], v40 offset0:192 offset1:224
	s_or_b32 s6, s2, 48
	s_mul_hi_i32 s7, s6, s11
	s_mul_i32 s6, s6, s11
	v_mul_u32_u24_sdwa v98, v7, s31 dst_sel:DWORD dst_unused:UNUSED_PAD src0_sel:WORD_0 src1_sel:DWORD
	v_mul_u32_u24_sdwa v99, v7, s31 dst_sel:DWORD dst_unused:UNUSED_PAD src0_sel:WORD_1 src1_sel:DWORD
	v_lshl_add_u64 v[90:91], s[6:7], 2, v[20:21]
	s_waitcnt lgkmcnt(1)
	v_pk_fma_f16 v100, v44, v98, v62
	v_pk_fma_f16 v101, v44, v99, v63
	;; [unrolled: 1-line block ×8, first 2 shown]
	s_waitcnt lgkmcnt(0)
	v_pk_fma_f16 v107, v48, v98, v69
	v_pk_fma_f16 v48, v48, v99, v58
	ds_read2_b64 v[4:7], v42 offset1:32
	ds_read2_b64 v[44:47], v42 offset0:64 offset1:96
	ds_read2_b64 v[58:61], v42 offset0:128 offset1:160
	;; [unrolled: 1-line block ×3, first 2 shown]
	ds_read2_b64 v[66:69], v41 offset1:32
	ds_read2_b64 v[70:73], v41 offset0:64 offset1:96
	ds_read2_b64 v[74:77], v41 offset0:128 offset1:160
	;; [unrolled: 1-line block ×3, first 2 shown]
	s_waitcnt lgkmcnt(0)
	s_barrier
	global_load_dwordx4 v[82:85], v[90:91], off
	global_load_dwordx4 v[86:89], v[90:91], off offset:512
	v_pk_fma_f16 v90, v49, v98, v92
	v_pk_fma_f16 v49, v49, v99, v93
	v_pk_fma_f16 v91, v50, v98, v94
	v_pk_fma_f16 v50, v50, v99, v95
	v_pk_fma_f16 v92, v51, v98, v96
	v_pk_fma_f16 v51, v51, v99, v97
	v_mul_u32_u24_sdwa v93, v0, s31 dst_sel:DWORD dst_unused:UNUSED_PAD src0_sel:WORD_0 src1_sel:DWORD
	v_mul_u32_u24_sdwa v0, v0, s31 dst_sel:DWORD dst_unused:UNUSED_PAD src0_sel:WORD_1 src1_sel:DWORD
	v_pk_fma_f16 v94, v4, v93, v100
	v_pk_fma_f16 v4, v4, v0, v101
	v_pk_fma_f16 v95, v5, v93, v102
	v_pk_fma_f16 v5, v5, v0, v103
	v_pk_fma_f16 v43, v6, v93, v43
	v_pk_fma_f16 v6, v6, v0, v104
	v_pk_fma_f16 v96, v7, v93, v105
	v_pk_fma_f16 v7, v7, v0, v106
	v_pk_fma_f16 v97, v44, v93, v107
	v_pk_fma_f16 v44, v44, v0, v48
	v_pk_fma_f16 v48, v45, v93, v90
	v_pk_fma_f16 v45, v45, v0, v49
	v_pk_fma_f16 v49, v46, v93, v91
	v_pk_fma_f16 v46, v46, v0, v50
	v_pk_fma_f16 v50, v47, v93, v92
	v_pk_fma_f16 v0, v47, v0, v51
	v_mul_u32_u24_sdwa v47, v1, s31 dst_sel:DWORD dst_unused:UNUSED_PAD src0_sel:WORD_0 src1_sel:DWORD
	v_mul_u32_u24_sdwa v1, v1, s31 dst_sel:DWORD dst_unused:UNUSED_PAD src0_sel:WORD_1 src1_sel:DWORD
	v_pk_fma_f16 v51, v58, v47, v94
	v_pk_fma_f16 v4, v58, v1, v4
	v_pk_fma_f16 v58, v59, v47, v95
	v_pk_fma_f16 v5, v59, v1, v5
	v_pk_fma_f16 v43, v60, v47, v43
	v_pk_fma_f16 v6, v60, v1, v6
	v_pk_fma_f16 v59, v61, v47, v96
	v_pk_fma_f16 v7, v61, v1, v7
	v_pk_fma_f16 v60, v62, v47, v97
	v_pk_fma_f16 v44, v62, v1, v44
	;; [unrolled: 18-line block ×4, first 2 shown]
	v_pk_fma_f16 v75, v79, v2, v48
	v_pk_fma_f16 v76, v79, v3, v45
	;; [unrolled: 1-line block ×6, first 2 shown]
	s_waitcnt vmcnt(1)
	ds_write_b128 v31, v[82:85]
	s_waitcnt vmcnt(0)
	ds_write_b128 v32, v[86:89]
	s_waitcnt lgkmcnt(0)
	s_barrier
	ds_read2_b64 v[44:47], v33 offset1:32
	ds_read_b128 v[48:51], v30 offset:192
	ds_read2_b64 v[58:61], v33 offset0:64 offset1:96
	ds_read_b128 v[62:65], v30 offset:208
	ds_read_b128 v[4:7], v30 offset:224
	;; [unrolled: 1-line block ×3, first 2 shown]
	s_waitcnt lgkmcnt(4)
	v_mul_u32_u24_sdwa v81, v48, s31 dst_sel:DWORD dst_unused:UNUSED_PAD src0_sel:WORD_0 src1_sel:DWORD
	v_mul_u32_u24_sdwa v48, v48, s31 dst_sel:DWORD dst_unused:UNUSED_PAD src0_sel:WORD_1 src1_sel:DWORD
	v_pk_fma_f16 v66, v44, v81, v66
	v_pk_fma_f16 v67, v44, v48, v67
	v_pk_fma_f16 v68, v45, v81, v68
	v_pk_fma_f16 v69, v45, v48, v69
	v_pk_fma_f16 v43, v46, v81, v43
	v_pk_fma_f16 v70, v46, v48, v70
	v_pk_fma_f16 v71, v47, v81, v71
	v_pk_fma_f16 v72, v47, v48, v72
	s_waitcnt lgkmcnt(3)
	v_pk_fma_f16 v73, v58, v81, v73
	v_pk_fma_f16 v74, v58, v48, v74
	v_pk_fma_f16 v75, v59, v81, v75
	v_pk_fma_f16 v76, v59, v48, v76
	v_pk_fma_f16 v77, v60, v81, v77
	v_pk_fma_f16 v78, v60, v48, v78
	v_pk_fma_f16 v79, v61, v81, v79
	ds_read2_b64 v[44:47], v33 offset0:128 offset1:160
	v_pk_fma_f16 v48, v61, v48, v80
	ds_read2_b64 v[58:61], v33 offset0:192 offset1:224
	v_mul_u32_u24_sdwa v80, v49, s31 dst_sel:DWORD dst_unused:UNUSED_PAD src0_sel:WORD_0 src1_sel:DWORD
	v_mul_u32_u24_sdwa v49, v49, s31 dst_sel:DWORD dst_unused:UNUSED_PAD src0_sel:WORD_1 src1_sel:DWORD
	s_waitcnt lgkmcnt(1)
	v_pk_fma_f16 v66, v44, v80, v66
	v_pk_fma_f16 v67, v44, v49, v67
	v_pk_fma_f16 v68, v45, v80, v68
	v_pk_fma_f16 v69, v45, v49, v69
	v_pk_fma_f16 v43, v46, v80, v43
	v_pk_fma_f16 v70, v46, v49, v70
	v_pk_fma_f16 v71, v47, v80, v71
	v_pk_fma_f16 v72, v47, v49, v72
	s_waitcnt lgkmcnt(0)
	v_pk_fma_f16 v73, v58, v80, v73
	v_pk_fma_f16 v74, v58, v49, v74
	v_pk_fma_f16 v75, v59, v80, v75
	v_pk_fma_f16 v76, v59, v49, v76
	v_pk_fma_f16 v77, v60, v80, v77
	v_pk_fma_f16 v78, v60, v49, v78
	v_pk_fma_f16 v79, v61, v80, v79
	ds_read2_b64 v[44:47], v36 offset1:32
	v_pk_fma_f16 v48, v61, v49, v48
	ds_read2_b64 v[58:61], v36 offset0:64 offset1:96
	v_mul_u32_u24_sdwa v49, v50, s31 dst_sel:DWORD dst_unused:UNUSED_PAD src0_sel:WORD_0 src1_sel:DWORD
	v_mul_u32_u24_sdwa v50, v50, s31 dst_sel:DWORD dst_unused:UNUSED_PAD src0_sel:WORD_1 src1_sel:DWORD
	s_waitcnt lgkmcnt(1)
	v_pk_fma_f16 v66, v44, v49, v66
	v_pk_fma_f16 v67, v44, v50, v67
	v_pk_fma_f16 v68, v45, v49, v68
	v_pk_fma_f16 v69, v45, v50, v69
	v_pk_fma_f16 v43, v46, v49, v43
	v_pk_fma_f16 v70, v46, v50, v70
	v_pk_fma_f16 v71, v47, v49, v71
	v_pk_fma_f16 v72, v47, v50, v72
	s_waitcnt lgkmcnt(0)
	v_pk_fma_f16 v73, v58, v49, v73
	v_pk_fma_f16 v74, v58, v50, v74
	v_pk_fma_f16 v75, v59, v49, v75
	v_pk_fma_f16 v76, v59, v50, v76
	v_pk_fma_f16 v77, v60, v49, v77
	v_pk_fma_f16 v78, v60, v50, v78
	v_pk_fma_f16 v49, v61, v49, v79
	ds_read2_b64 v[44:47], v36 offset0:128 offset1:160
	v_pk_fma_f16 v48, v61, v50, v48
	ds_read2_b64 v[58:61], v36 offset0:192 offset1:224
	v_mul_u32_u24_sdwa v50, v51, s31 dst_sel:DWORD dst_unused:UNUSED_PAD src0_sel:WORD_0 src1_sel:DWORD
	v_mul_u32_u24_sdwa v51, v51, s31 dst_sel:DWORD dst_unused:UNUSED_PAD src0_sel:WORD_1 src1_sel:DWORD
	s_waitcnt lgkmcnt(1)
	v_pk_fma_f16 v66, v44, v50, v66
	v_pk_fma_f16 v67, v44, v51, v67
	v_pk_fma_f16 v68, v45, v50, v68
	v_pk_fma_f16 v69, v45, v51, v69
	v_pk_fma_f16 v43, v46, v50, v43
	v_pk_fma_f16 v70, v46, v51, v70
	v_pk_fma_f16 v71, v47, v50, v71
	v_pk_fma_f16 v72, v47, v51, v72
	s_waitcnt lgkmcnt(0)
	v_pk_fma_f16 v73, v58, v50, v73
	v_pk_fma_f16 v58, v58, v51, v74
	v_pk_fma_f16 v74, v59, v50, v75
	v_pk_fma_f16 v59, v59, v51, v76
	v_pk_fma_f16 v75, v60, v50, v77
	v_pk_fma_f16 v60, v60, v51, v78
	v_pk_fma_f16 v76, v61, v50, v49
	ds_read2_b64 v[44:47], v37 offset1:32
	v_pk_fma_f16 v61, v61, v51, v48
	ds_read2_b64 v[48:51], v37 offset0:64 offset1:96
	v_mul_u32_u24_sdwa v77, v62, s31 dst_sel:DWORD dst_unused:UNUSED_PAD src0_sel:WORD_0 src1_sel:DWORD
	v_mul_u32_u24_sdwa v62, v62, s31 dst_sel:DWORD dst_unused:UNUSED_PAD src0_sel:WORD_1 src1_sel:DWORD
	s_waitcnt lgkmcnt(1)
	v_pk_fma_f16 v66, v44, v77, v66
	v_pk_fma_f16 v67, v44, v62, v67
	v_pk_fma_f16 v68, v45, v77, v68
	v_pk_fma_f16 v69, v45, v62, v69
	v_pk_fma_f16 v43, v46, v77, v43
	v_pk_fma_f16 v70, v46, v62, v70
	v_pk_fma_f16 v71, v47, v77, v71
	v_pk_fma_f16 v72, v47, v62, v72
	s_waitcnt lgkmcnt(0)
	v_pk_fma_f16 v73, v48, v77, v73
	v_pk_fma_f16 v58, v48, v62, v58
	v_pk_fma_f16 v74, v49, v77, v74
	v_pk_fma_f16 v59, v49, v62, v59
	v_pk_fma_f16 v75, v50, v77, v75
	v_pk_fma_f16 v60, v50, v62, v60
	v_pk_fma_f16 v76, v51, v77, v76
	ds_read2_b64 v[44:47], v37 offset0:128 offset1:160
	v_pk_fma_f16 v61, v51, v62, v61
	ds_read2_b64 v[48:51], v37 offset0:192 offset1:224
	v_mul_u32_u24_sdwa v62, v63, s31 dst_sel:DWORD dst_unused:UNUSED_PAD src0_sel:WORD_0 src1_sel:DWORD
	v_mul_u32_u24_sdwa v63, v63, s31 dst_sel:DWORD dst_unused:UNUSED_PAD src0_sel:WORD_1 src1_sel:DWORD
	s_waitcnt lgkmcnt(1)
	v_pk_fma_f16 v66, v44, v62, v66
	v_pk_fma_f16 v67, v44, v63, v67
	v_pk_fma_f16 v68, v45, v62, v68
	v_pk_fma_f16 v69, v45, v63, v69
	v_pk_fma_f16 v43, v46, v62, v43
	v_pk_fma_f16 v70, v46, v63, v70
	v_pk_fma_f16 v71, v47, v62, v71
	v_pk_fma_f16 v72, v47, v63, v72
	s_waitcnt lgkmcnt(0)
	v_pk_fma_f16 v73, v48, v62, v73
	v_pk_fma_f16 v58, v48, v63, v58
	v_pk_fma_f16 v74, v49, v62, v74
	v_pk_fma_f16 v59, v49, v63, v59
	v_pk_fma_f16 v75, v50, v62, v75
	v_pk_fma_f16 v60, v50, v63, v60
	v_pk_fma_f16 v62, v51, v62, v76
	ds_read2_b64 v[44:47], v38 offset1:32
	v_pk_fma_f16 v61, v51, v63, v61
	ds_read2_b64 v[48:51], v38 offset0:64 offset1:96
	v_mul_u32_u24_sdwa v63, v64, s31 dst_sel:DWORD dst_unused:UNUSED_PAD src0_sel:WORD_0 src1_sel:DWORD
	v_mul_u32_u24_sdwa v64, v64, s31 dst_sel:DWORD dst_unused:UNUSED_PAD src0_sel:WORD_1 src1_sel:DWORD
	s_waitcnt lgkmcnt(1)
	v_pk_fma_f16 v66, v44, v63, v66
	v_pk_fma_f16 v67, v44, v64, v67
	v_pk_fma_f16 v68, v45, v63, v68
	v_pk_fma_f16 v69, v45, v64, v69
	v_pk_fma_f16 v43, v46, v63, v43
	v_pk_fma_f16 v70, v46, v64, v70
	v_pk_fma_f16 v71, v47, v63, v71
	v_pk_fma_f16 v72, v47, v64, v72
	s_waitcnt lgkmcnt(0)
	v_pk_fma_f16 v73, v48, v63, v73
	v_pk_fma_f16 v58, v48, v64, v58
	v_pk_fma_f16 v74, v49, v63, v74
	v_pk_fma_f16 v59, v49, v64, v59
	v_pk_fma_f16 v75, v50, v63, v75
	v_pk_fma_f16 v60, v50, v64, v60
	v_pk_fma_f16 v62, v51, v63, v62
	ds_read2_b64 v[44:47], v38 offset0:128 offset1:160
	v_pk_fma_f16 v61, v51, v64, v61
	ds_read2_b64 v[48:51], v38 offset0:192 offset1:224
	v_mul_u32_u24_sdwa v63, v65, s31 dst_sel:DWORD dst_unused:UNUSED_PAD src0_sel:WORD_0 src1_sel:DWORD
	v_mul_u32_u24_sdwa v64, v65, s31 dst_sel:DWORD dst_unused:UNUSED_PAD src0_sel:WORD_1 src1_sel:DWORD
	s_waitcnt lgkmcnt(1)
	v_pk_fma_f16 v65, v44, v63, v66
	v_pk_fma_f16 v66, v44, v64, v67
	v_pk_fma_f16 v67, v45, v63, v68
	v_pk_fma_f16 v68, v45, v64, v69
	v_pk_fma_f16 v43, v46, v63, v43
	v_pk_fma_f16 v69, v46, v64, v70
	v_pk_fma_f16 v70, v47, v63, v71
	v_pk_fma_f16 v71, v47, v64, v72
	s_waitcnt lgkmcnt(0)
	v_pk_fma_f16 v72, v48, v63, v73
	v_pk_fma_f16 v58, v48, v64, v58
	v_pk_fma_f16 v73, v49, v63, v74
	v_pk_fma_f16 v59, v49, v64, v59
	v_pk_fma_f16 v74, v50, v63, v75
	v_pk_fma_f16 v60, v50, v64, v60
	v_pk_fma_f16 v62, v51, v63, v62
	ds_read2_b64 v[44:47], v39 offset1:32
	v_pk_fma_f16 v61, v51, v64, v61
	ds_read2_b64 v[48:51], v39 offset0:64 offset1:96
	v_mul_u32_u24_sdwa v63, v4, s31 dst_sel:DWORD dst_unused:UNUSED_PAD src0_sel:WORD_0 src1_sel:DWORD
	v_mul_u32_u24_sdwa v4, v4, s31 dst_sel:DWORD dst_unused:UNUSED_PAD src0_sel:WORD_1 src1_sel:DWORD
	s_waitcnt lgkmcnt(1)
	v_pk_fma_f16 v64, v44, v63, v65
	v_pk_fma_f16 v65, v44, v4, v66
	v_pk_fma_f16 v66, v45, v63, v67
	v_pk_fma_f16 v67, v45, v4, v68
	v_pk_fma_f16 v43, v46, v63, v43
	v_pk_fma_f16 v68, v46, v4, v69
	v_pk_fma_f16 v69, v47, v63, v70
	v_pk_fma_f16 v70, v47, v4, v71
	s_waitcnt lgkmcnt(0)
	v_pk_fma_f16 v71, v48, v63, v72
	v_pk_fma_f16 v58, v48, v4, v58
	v_pk_fma_f16 v72, v49, v63, v73
	v_pk_fma_f16 v59, v49, v4, v59
	v_pk_fma_f16 v73, v50, v63, v74
	v_pk_fma_f16 v60, v50, v4, v60
	v_pk_fma_f16 v62, v51, v63, v62
	ds_read2_b64 v[44:47], v39 offset0:128 offset1:160
	v_pk_fma_f16 v4, v51, v4, v61
	ds_read2_b64 v[48:51], v39 offset0:192 offset1:224
	v_mul_u32_u24_sdwa v61, v5, s31 dst_sel:DWORD dst_unused:UNUSED_PAD src0_sel:WORD_0 src1_sel:DWORD
	v_mul_u32_u24_sdwa v5, v5, s31 dst_sel:DWORD dst_unused:UNUSED_PAD src0_sel:WORD_1 src1_sel:DWORD
	s_waitcnt lgkmcnt(1)
	v_pk_fma_f16 v63, v44, v61, v64
	v_pk_fma_f16 v64, v44, v5, v65
	v_pk_fma_f16 v65, v45, v61, v66
	v_pk_fma_f16 v66, v45, v5, v67
	v_pk_fma_f16 v43, v46, v61, v43
	v_pk_fma_f16 v67, v46, v5, v68
	v_pk_fma_f16 v68, v47, v61, v69
	v_pk_fma_f16 v69, v47, v5, v70
	s_waitcnt lgkmcnt(0)
	v_pk_fma_f16 v70, v48, v61, v71
	v_pk_fma_f16 v58, v48, v5, v58
	v_pk_fma_f16 v71, v49, v61, v72
	v_pk_fma_f16 v59, v49, v5, v59
	v_pk_fma_f16 v72, v50, v61, v73
	v_pk_fma_f16 v60, v50, v5, v60
	v_pk_fma_f16 v61, v51, v61, v62
	ds_read2_b64 v[44:47], v40 offset1:32
	v_pk_fma_f16 v4, v51, v5, v4
	ds_read2_b64 v[48:51], v40 offset0:64 offset1:96
	v_mul_u32_u24_sdwa v5, v6, s31 dst_sel:DWORD dst_unused:UNUSED_PAD src0_sel:WORD_0 src1_sel:DWORD
	v_mul_u32_u24_sdwa v6, v6, s31 dst_sel:DWORD dst_unused:UNUSED_PAD src0_sel:WORD_1 src1_sel:DWORD
	s_waitcnt lgkmcnt(1)
	v_pk_fma_f16 v62, v44, v5, v63
	v_pk_fma_f16 v63, v44, v6, v64
	;; [unrolled: 1-line block ×8, first 2 shown]
	s_waitcnt lgkmcnt(0)
	v_pk_fma_f16 v69, v48, v5, v70
	v_pk_fma_f16 v58, v48, v6, v58
	;; [unrolled: 1-line block ×7, first 2 shown]
	ds_read2_b64 v[44:47], v40 offset0:128 offset1:160
	v_pk_fma_f16 v97, v51, v6, v4
	ds_read2_b64 v[48:51], v40 offset0:192 offset1:224
	s_or_b32 s6, s2, 64
	s_mul_hi_i32 s7, s6, s11
	s_mul_i32 s6, s6, s11
	v_mul_u32_u24_sdwa v98, v7, s31 dst_sel:DWORD dst_unused:UNUSED_PAD src0_sel:WORD_0 src1_sel:DWORD
	v_mul_u32_u24_sdwa v99, v7, s31 dst_sel:DWORD dst_unused:UNUSED_PAD src0_sel:WORD_1 src1_sel:DWORD
	v_lshl_add_u64 v[90:91], s[6:7], 2, v[20:21]
	s_waitcnt lgkmcnt(1)
	v_pk_fma_f16 v100, v44, v98, v62
	v_pk_fma_f16 v101, v44, v99, v63
	;; [unrolled: 1-line block ×8, first 2 shown]
	s_waitcnt lgkmcnt(0)
	v_pk_fma_f16 v107, v48, v98, v69
	v_pk_fma_f16 v48, v48, v99, v58
	ds_read2_b64 v[4:7], v42 offset1:32
	ds_read2_b64 v[44:47], v42 offset0:64 offset1:96
	ds_read2_b64 v[58:61], v42 offset0:128 offset1:160
	;; [unrolled: 1-line block ×3, first 2 shown]
	ds_read2_b64 v[66:69], v41 offset1:32
	ds_read2_b64 v[70:73], v41 offset0:64 offset1:96
	ds_read2_b64 v[74:77], v41 offset0:128 offset1:160
	;; [unrolled: 1-line block ×3, first 2 shown]
	s_waitcnt lgkmcnt(0)
	s_barrier
	global_load_dwordx4 v[82:85], v[90:91], off
	global_load_dwordx4 v[86:89], v[90:91], off offset:512
	v_pk_fma_f16 v90, v49, v98, v92
	v_pk_fma_f16 v49, v49, v99, v93
	v_pk_fma_f16 v91, v50, v98, v94
	v_pk_fma_f16 v50, v50, v99, v95
	v_pk_fma_f16 v92, v51, v98, v96
	v_pk_fma_f16 v51, v51, v99, v97
	v_mul_u32_u24_sdwa v93, v0, s31 dst_sel:DWORD dst_unused:UNUSED_PAD src0_sel:WORD_0 src1_sel:DWORD
	v_mul_u32_u24_sdwa v0, v0, s31 dst_sel:DWORD dst_unused:UNUSED_PAD src0_sel:WORD_1 src1_sel:DWORD
	v_pk_fma_f16 v94, v4, v93, v100
	v_pk_fma_f16 v4, v4, v0, v101
	v_pk_fma_f16 v95, v5, v93, v102
	v_pk_fma_f16 v5, v5, v0, v103
	v_pk_fma_f16 v43, v6, v93, v43
	v_pk_fma_f16 v6, v6, v0, v104
	v_pk_fma_f16 v96, v7, v93, v105
	v_pk_fma_f16 v7, v7, v0, v106
	v_pk_fma_f16 v97, v44, v93, v107
	v_pk_fma_f16 v44, v44, v0, v48
	v_pk_fma_f16 v48, v45, v93, v90
	v_pk_fma_f16 v45, v45, v0, v49
	v_pk_fma_f16 v49, v46, v93, v91
	v_pk_fma_f16 v46, v46, v0, v50
	v_pk_fma_f16 v50, v47, v93, v92
	v_pk_fma_f16 v0, v47, v0, v51
	v_mul_u32_u24_sdwa v47, v1, s31 dst_sel:DWORD dst_unused:UNUSED_PAD src0_sel:WORD_0 src1_sel:DWORD
	v_mul_u32_u24_sdwa v1, v1, s31 dst_sel:DWORD dst_unused:UNUSED_PAD src0_sel:WORD_1 src1_sel:DWORD
	v_pk_fma_f16 v51, v58, v47, v94
	v_pk_fma_f16 v4, v58, v1, v4
	v_pk_fma_f16 v58, v59, v47, v95
	v_pk_fma_f16 v5, v59, v1, v5
	v_pk_fma_f16 v43, v60, v47, v43
	v_pk_fma_f16 v6, v60, v1, v6
	v_pk_fma_f16 v59, v61, v47, v96
	v_pk_fma_f16 v7, v61, v1, v7
	v_pk_fma_f16 v60, v62, v47, v97
	v_pk_fma_f16 v44, v62, v1, v44
	;; [unrolled: 18-line block ×4, first 2 shown]
	v_pk_fma_f16 v75, v79, v2, v48
	v_pk_fma_f16 v76, v79, v3, v45
	;; [unrolled: 1-line block ×6, first 2 shown]
	s_waitcnt vmcnt(1)
	ds_write_b128 v31, v[82:85]
	s_waitcnt vmcnt(0)
	ds_write_b128 v32, v[86:89]
	s_waitcnt lgkmcnt(0)
	s_barrier
	ds_read2_b64 v[44:47], v33 offset1:32
	ds_read_b128 v[48:51], v30 offset:256
	ds_read2_b64 v[58:61], v33 offset0:64 offset1:96
	ds_read_b128 v[62:65], v30 offset:272
	ds_read_b128 v[4:7], v30 offset:288
	;; [unrolled: 1-line block ×3, first 2 shown]
	s_waitcnt lgkmcnt(4)
	v_mul_u32_u24_sdwa v81, v48, s31 dst_sel:DWORD dst_unused:UNUSED_PAD src0_sel:WORD_0 src1_sel:DWORD
	v_mul_u32_u24_sdwa v48, v48, s31 dst_sel:DWORD dst_unused:UNUSED_PAD src0_sel:WORD_1 src1_sel:DWORD
	v_pk_fma_f16 v66, v44, v81, v66
	v_pk_fma_f16 v67, v44, v48, v67
	v_pk_fma_f16 v68, v45, v81, v68
	v_pk_fma_f16 v69, v45, v48, v69
	v_pk_fma_f16 v43, v46, v81, v43
	v_pk_fma_f16 v70, v46, v48, v70
	v_pk_fma_f16 v71, v47, v81, v71
	v_pk_fma_f16 v72, v47, v48, v72
	s_waitcnt lgkmcnt(3)
	v_pk_fma_f16 v73, v58, v81, v73
	v_pk_fma_f16 v74, v58, v48, v74
	v_pk_fma_f16 v75, v59, v81, v75
	v_pk_fma_f16 v76, v59, v48, v76
	v_pk_fma_f16 v77, v60, v81, v77
	v_pk_fma_f16 v78, v60, v48, v78
	v_pk_fma_f16 v79, v61, v81, v79
	ds_read2_b64 v[44:47], v33 offset0:128 offset1:160
	v_pk_fma_f16 v48, v61, v48, v80
	ds_read2_b64 v[58:61], v33 offset0:192 offset1:224
	v_mul_u32_u24_sdwa v80, v49, s31 dst_sel:DWORD dst_unused:UNUSED_PAD src0_sel:WORD_0 src1_sel:DWORD
	v_mul_u32_u24_sdwa v49, v49, s31 dst_sel:DWORD dst_unused:UNUSED_PAD src0_sel:WORD_1 src1_sel:DWORD
	s_waitcnt lgkmcnt(1)
	v_pk_fma_f16 v66, v44, v80, v66
	v_pk_fma_f16 v67, v44, v49, v67
	v_pk_fma_f16 v68, v45, v80, v68
	v_pk_fma_f16 v69, v45, v49, v69
	v_pk_fma_f16 v43, v46, v80, v43
	v_pk_fma_f16 v70, v46, v49, v70
	v_pk_fma_f16 v71, v47, v80, v71
	v_pk_fma_f16 v72, v47, v49, v72
	s_waitcnt lgkmcnt(0)
	v_pk_fma_f16 v73, v58, v80, v73
	v_pk_fma_f16 v74, v58, v49, v74
	v_pk_fma_f16 v75, v59, v80, v75
	v_pk_fma_f16 v76, v59, v49, v76
	v_pk_fma_f16 v77, v60, v80, v77
	v_pk_fma_f16 v78, v60, v49, v78
	v_pk_fma_f16 v79, v61, v80, v79
	ds_read2_b64 v[44:47], v36 offset1:32
	v_pk_fma_f16 v48, v61, v49, v48
	ds_read2_b64 v[58:61], v36 offset0:64 offset1:96
	v_mul_u32_u24_sdwa v49, v50, s31 dst_sel:DWORD dst_unused:UNUSED_PAD src0_sel:WORD_0 src1_sel:DWORD
	v_mul_u32_u24_sdwa v50, v50, s31 dst_sel:DWORD dst_unused:UNUSED_PAD src0_sel:WORD_1 src1_sel:DWORD
	s_waitcnt lgkmcnt(1)
	v_pk_fma_f16 v66, v44, v49, v66
	v_pk_fma_f16 v67, v44, v50, v67
	v_pk_fma_f16 v68, v45, v49, v68
	v_pk_fma_f16 v69, v45, v50, v69
	v_pk_fma_f16 v43, v46, v49, v43
	v_pk_fma_f16 v70, v46, v50, v70
	v_pk_fma_f16 v71, v47, v49, v71
	v_pk_fma_f16 v72, v47, v50, v72
	s_waitcnt lgkmcnt(0)
	v_pk_fma_f16 v73, v58, v49, v73
	v_pk_fma_f16 v74, v58, v50, v74
	v_pk_fma_f16 v75, v59, v49, v75
	v_pk_fma_f16 v76, v59, v50, v76
	v_pk_fma_f16 v77, v60, v49, v77
	v_pk_fma_f16 v78, v60, v50, v78
	v_pk_fma_f16 v49, v61, v49, v79
	ds_read2_b64 v[44:47], v36 offset0:128 offset1:160
	v_pk_fma_f16 v48, v61, v50, v48
	ds_read2_b64 v[58:61], v36 offset0:192 offset1:224
	v_mul_u32_u24_sdwa v50, v51, s31 dst_sel:DWORD dst_unused:UNUSED_PAD src0_sel:WORD_0 src1_sel:DWORD
	v_mul_u32_u24_sdwa v51, v51, s31 dst_sel:DWORD dst_unused:UNUSED_PAD src0_sel:WORD_1 src1_sel:DWORD
	s_waitcnt lgkmcnt(1)
	v_pk_fma_f16 v66, v44, v50, v66
	v_pk_fma_f16 v67, v44, v51, v67
	v_pk_fma_f16 v68, v45, v50, v68
	v_pk_fma_f16 v69, v45, v51, v69
	v_pk_fma_f16 v43, v46, v50, v43
	v_pk_fma_f16 v70, v46, v51, v70
	v_pk_fma_f16 v71, v47, v50, v71
	v_pk_fma_f16 v72, v47, v51, v72
	s_waitcnt lgkmcnt(0)
	v_pk_fma_f16 v73, v58, v50, v73
	v_pk_fma_f16 v58, v58, v51, v74
	v_pk_fma_f16 v74, v59, v50, v75
	v_pk_fma_f16 v59, v59, v51, v76
	v_pk_fma_f16 v75, v60, v50, v77
	v_pk_fma_f16 v60, v60, v51, v78
	v_pk_fma_f16 v76, v61, v50, v49
	ds_read2_b64 v[44:47], v37 offset1:32
	v_pk_fma_f16 v61, v61, v51, v48
	ds_read2_b64 v[48:51], v37 offset0:64 offset1:96
	v_mul_u32_u24_sdwa v77, v62, s31 dst_sel:DWORD dst_unused:UNUSED_PAD src0_sel:WORD_0 src1_sel:DWORD
	v_mul_u32_u24_sdwa v62, v62, s31 dst_sel:DWORD dst_unused:UNUSED_PAD src0_sel:WORD_1 src1_sel:DWORD
	s_waitcnt lgkmcnt(1)
	;; [unrolled: 44-line block ×5, first 2 shown]
	v_pk_fma_f16 v62, v44, v5, v63
	v_pk_fma_f16 v63, v44, v6, v64
	;; [unrolled: 1-line block ×8, first 2 shown]
	s_waitcnt lgkmcnt(0)
	v_pk_fma_f16 v69, v48, v5, v70
	v_pk_fma_f16 v58, v48, v6, v58
	;; [unrolled: 1-line block ×7, first 2 shown]
	ds_read2_b64 v[44:47], v40 offset0:128 offset1:160
	v_pk_fma_f16 v97, v51, v6, v4
	ds_read2_b64 v[48:51], v40 offset0:192 offset1:224
	s_or_b32 s6, s2, 0x50
	s_mul_hi_i32 s7, s6, s11
	s_mul_i32 s6, s6, s11
	v_mul_u32_u24_sdwa v98, v7, s31 dst_sel:DWORD dst_unused:UNUSED_PAD src0_sel:WORD_0 src1_sel:DWORD
	v_mul_u32_u24_sdwa v99, v7, s31 dst_sel:DWORD dst_unused:UNUSED_PAD src0_sel:WORD_1 src1_sel:DWORD
	v_lshl_add_u64 v[90:91], s[6:7], 2, v[20:21]
	s_waitcnt lgkmcnt(1)
	v_pk_fma_f16 v100, v44, v98, v62
	v_pk_fma_f16 v101, v44, v99, v63
	;; [unrolled: 1-line block ×8, first 2 shown]
	s_waitcnt lgkmcnt(0)
	v_pk_fma_f16 v107, v48, v98, v69
	v_pk_fma_f16 v48, v48, v99, v58
	ds_read2_b64 v[4:7], v42 offset1:32
	ds_read2_b64 v[44:47], v42 offset0:64 offset1:96
	ds_read2_b64 v[58:61], v42 offset0:128 offset1:160
	;; [unrolled: 1-line block ×3, first 2 shown]
	ds_read2_b64 v[66:69], v41 offset1:32
	ds_read2_b64 v[70:73], v41 offset0:64 offset1:96
	ds_read2_b64 v[74:77], v41 offset0:128 offset1:160
	;; [unrolled: 1-line block ×3, first 2 shown]
	s_waitcnt lgkmcnt(0)
	s_barrier
	global_load_dwordx4 v[82:85], v[90:91], off
	global_load_dwordx4 v[86:89], v[90:91], off offset:512
	v_pk_fma_f16 v90, v49, v98, v92
	v_pk_fma_f16 v49, v49, v99, v93
	v_pk_fma_f16 v91, v50, v98, v94
	v_pk_fma_f16 v50, v50, v99, v95
	v_pk_fma_f16 v92, v51, v98, v96
	v_pk_fma_f16 v51, v51, v99, v97
	v_mul_u32_u24_sdwa v93, v0, s31 dst_sel:DWORD dst_unused:UNUSED_PAD src0_sel:WORD_0 src1_sel:DWORD
	v_mul_u32_u24_sdwa v0, v0, s31 dst_sel:DWORD dst_unused:UNUSED_PAD src0_sel:WORD_1 src1_sel:DWORD
	v_pk_fma_f16 v94, v4, v93, v100
	v_pk_fma_f16 v4, v4, v0, v101
	v_pk_fma_f16 v95, v5, v93, v102
	v_pk_fma_f16 v5, v5, v0, v103
	v_pk_fma_f16 v43, v6, v93, v43
	v_pk_fma_f16 v6, v6, v0, v104
	v_pk_fma_f16 v96, v7, v93, v105
	v_pk_fma_f16 v7, v7, v0, v106
	v_pk_fma_f16 v97, v44, v93, v107
	v_pk_fma_f16 v44, v44, v0, v48
	v_pk_fma_f16 v48, v45, v93, v90
	v_pk_fma_f16 v45, v45, v0, v49
	v_pk_fma_f16 v49, v46, v93, v91
	v_pk_fma_f16 v46, v46, v0, v50
	v_pk_fma_f16 v50, v47, v93, v92
	v_pk_fma_f16 v0, v47, v0, v51
	v_mul_u32_u24_sdwa v47, v1, s31 dst_sel:DWORD dst_unused:UNUSED_PAD src0_sel:WORD_0 src1_sel:DWORD
	v_mul_u32_u24_sdwa v1, v1, s31 dst_sel:DWORD dst_unused:UNUSED_PAD src0_sel:WORD_1 src1_sel:DWORD
	v_pk_fma_f16 v51, v58, v47, v94
	v_pk_fma_f16 v4, v58, v1, v4
	v_pk_fma_f16 v58, v59, v47, v95
	v_pk_fma_f16 v5, v59, v1, v5
	v_pk_fma_f16 v43, v60, v47, v43
	v_pk_fma_f16 v6, v60, v1, v6
	v_pk_fma_f16 v59, v61, v47, v96
	v_pk_fma_f16 v7, v61, v1, v7
	v_pk_fma_f16 v60, v62, v47, v97
	v_pk_fma_f16 v44, v62, v1, v44
	;; [unrolled: 18-line block ×4, first 2 shown]
	v_pk_fma_f16 v75, v79, v2, v48
	v_pk_fma_f16 v76, v79, v3, v45
	;; [unrolled: 1-line block ×6, first 2 shown]
	s_waitcnt vmcnt(1)
	ds_write_b128 v31, v[82:85]
	s_waitcnt vmcnt(0)
	ds_write_b128 v32, v[86:89]
	s_waitcnt lgkmcnt(0)
	s_barrier
	ds_read2_b64 v[44:47], v33 offset1:32
	ds_read_b128 v[48:51], v30 offset:320
	ds_read2_b64 v[58:61], v33 offset0:64 offset1:96
	ds_read_b128 v[62:65], v30 offset:336
	ds_read_b128 v[4:7], v30 offset:352
	;; [unrolled: 1-line block ×3, first 2 shown]
	s_waitcnt lgkmcnt(4)
	v_mul_u32_u24_sdwa v81, v48, s31 dst_sel:DWORD dst_unused:UNUSED_PAD src0_sel:WORD_0 src1_sel:DWORD
	v_mul_u32_u24_sdwa v48, v48, s31 dst_sel:DWORD dst_unused:UNUSED_PAD src0_sel:WORD_1 src1_sel:DWORD
	v_pk_fma_f16 v66, v44, v81, v66
	v_pk_fma_f16 v67, v44, v48, v67
	v_pk_fma_f16 v68, v45, v81, v68
	v_pk_fma_f16 v69, v45, v48, v69
	v_pk_fma_f16 v43, v46, v81, v43
	v_pk_fma_f16 v70, v46, v48, v70
	v_pk_fma_f16 v71, v47, v81, v71
	v_pk_fma_f16 v72, v47, v48, v72
	s_waitcnt lgkmcnt(3)
	v_pk_fma_f16 v73, v58, v81, v73
	v_pk_fma_f16 v74, v58, v48, v74
	v_pk_fma_f16 v75, v59, v81, v75
	v_pk_fma_f16 v76, v59, v48, v76
	v_pk_fma_f16 v77, v60, v81, v77
	v_pk_fma_f16 v78, v60, v48, v78
	v_pk_fma_f16 v79, v61, v81, v79
	ds_read2_b64 v[44:47], v33 offset0:128 offset1:160
	v_pk_fma_f16 v48, v61, v48, v80
	ds_read2_b64 v[58:61], v33 offset0:192 offset1:224
	v_mul_u32_u24_sdwa v80, v49, s31 dst_sel:DWORD dst_unused:UNUSED_PAD src0_sel:WORD_0 src1_sel:DWORD
	v_mul_u32_u24_sdwa v49, v49, s31 dst_sel:DWORD dst_unused:UNUSED_PAD src0_sel:WORD_1 src1_sel:DWORD
	s_waitcnt lgkmcnt(1)
	v_pk_fma_f16 v66, v44, v80, v66
	v_pk_fma_f16 v67, v44, v49, v67
	v_pk_fma_f16 v68, v45, v80, v68
	v_pk_fma_f16 v69, v45, v49, v69
	v_pk_fma_f16 v43, v46, v80, v43
	v_pk_fma_f16 v70, v46, v49, v70
	v_pk_fma_f16 v71, v47, v80, v71
	v_pk_fma_f16 v72, v47, v49, v72
	s_waitcnt lgkmcnt(0)
	v_pk_fma_f16 v73, v58, v80, v73
	v_pk_fma_f16 v74, v58, v49, v74
	v_pk_fma_f16 v75, v59, v80, v75
	v_pk_fma_f16 v76, v59, v49, v76
	v_pk_fma_f16 v77, v60, v80, v77
	v_pk_fma_f16 v78, v60, v49, v78
	v_pk_fma_f16 v79, v61, v80, v79
	ds_read2_b64 v[44:47], v36 offset1:32
	v_pk_fma_f16 v48, v61, v49, v48
	ds_read2_b64 v[58:61], v36 offset0:64 offset1:96
	v_mul_u32_u24_sdwa v49, v50, s31 dst_sel:DWORD dst_unused:UNUSED_PAD src0_sel:WORD_0 src1_sel:DWORD
	v_mul_u32_u24_sdwa v50, v50, s31 dst_sel:DWORD dst_unused:UNUSED_PAD src0_sel:WORD_1 src1_sel:DWORD
	s_waitcnt lgkmcnt(1)
	v_pk_fma_f16 v66, v44, v49, v66
	v_pk_fma_f16 v67, v44, v50, v67
	v_pk_fma_f16 v68, v45, v49, v68
	v_pk_fma_f16 v69, v45, v50, v69
	v_pk_fma_f16 v43, v46, v49, v43
	v_pk_fma_f16 v70, v46, v50, v70
	v_pk_fma_f16 v71, v47, v49, v71
	v_pk_fma_f16 v72, v47, v50, v72
	s_waitcnt lgkmcnt(0)
	v_pk_fma_f16 v73, v58, v49, v73
	v_pk_fma_f16 v74, v58, v50, v74
	v_pk_fma_f16 v75, v59, v49, v75
	v_pk_fma_f16 v76, v59, v50, v76
	v_pk_fma_f16 v77, v60, v49, v77
	v_pk_fma_f16 v78, v60, v50, v78
	v_pk_fma_f16 v49, v61, v49, v79
	ds_read2_b64 v[44:47], v36 offset0:128 offset1:160
	v_pk_fma_f16 v48, v61, v50, v48
	ds_read2_b64 v[58:61], v36 offset0:192 offset1:224
	v_mul_u32_u24_sdwa v50, v51, s31 dst_sel:DWORD dst_unused:UNUSED_PAD src0_sel:WORD_0 src1_sel:DWORD
	v_mul_u32_u24_sdwa v51, v51, s31 dst_sel:DWORD dst_unused:UNUSED_PAD src0_sel:WORD_1 src1_sel:DWORD
	s_waitcnt lgkmcnt(1)
	v_pk_fma_f16 v66, v44, v50, v66
	v_pk_fma_f16 v67, v44, v51, v67
	v_pk_fma_f16 v68, v45, v50, v68
	v_pk_fma_f16 v69, v45, v51, v69
	v_pk_fma_f16 v43, v46, v50, v43
	v_pk_fma_f16 v70, v46, v51, v70
	v_pk_fma_f16 v71, v47, v50, v71
	v_pk_fma_f16 v72, v47, v51, v72
	s_waitcnt lgkmcnt(0)
	v_pk_fma_f16 v73, v58, v50, v73
	v_pk_fma_f16 v58, v58, v51, v74
	v_pk_fma_f16 v74, v59, v50, v75
	v_pk_fma_f16 v59, v59, v51, v76
	v_pk_fma_f16 v75, v60, v50, v77
	v_pk_fma_f16 v60, v60, v51, v78
	v_pk_fma_f16 v76, v61, v50, v49
	ds_read2_b64 v[44:47], v37 offset1:32
	v_pk_fma_f16 v61, v61, v51, v48
	ds_read2_b64 v[48:51], v37 offset0:64 offset1:96
	v_mul_u32_u24_sdwa v77, v62, s31 dst_sel:DWORD dst_unused:UNUSED_PAD src0_sel:WORD_0 src1_sel:DWORD
	v_mul_u32_u24_sdwa v62, v62, s31 dst_sel:DWORD dst_unused:UNUSED_PAD src0_sel:WORD_1 src1_sel:DWORD
	s_waitcnt lgkmcnt(1)
	;; [unrolled: 44-line block ×5, first 2 shown]
	v_pk_fma_f16 v62, v44, v5, v63
	v_pk_fma_f16 v63, v44, v6, v64
	;; [unrolled: 1-line block ×8, first 2 shown]
	s_waitcnt lgkmcnt(0)
	v_pk_fma_f16 v69, v48, v5, v70
	v_pk_fma_f16 v58, v48, v6, v58
	v_pk_fma_f16 v92, v49, v5, v71
	v_pk_fma_f16 v93, v49, v6, v59
	v_pk_fma_f16 v94, v50, v5, v72
	v_pk_fma_f16 v95, v50, v6, v60
	v_pk_fma_f16 v96, v51, v5, v61
	ds_read2_b64 v[44:47], v40 offset0:128 offset1:160
	v_pk_fma_f16 v97, v51, v6, v4
	ds_read2_b64 v[48:51], v40 offset0:192 offset1:224
	s_or_b32 s6, s2, 0x60
	s_mul_hi_i32 s7, s6, s11
	s_mul_i32 s6, s6, s11
	v_mul_u32_u24_sdwa v98, v7, s31 dst_sel:DWORD dst_unused:UNUSED_PAD src0_sel:WORD_0 src1_sel:DWORD
	v_mul_u32_u24_sdwa v99, v7, s31 dst_sel:DWORD dst_unused:UNUSED_PAD src0_sel:WORD_1 src1_sel:DWORD
	v_lshl_add_u64 v[90:91], s[6:7], 2, v[20:21]
	s_waitcnt lgkmcnt(1)
	v_pk_fma_f16 v100, v44, v98, v62
	v_pk_fma_f16 v101, v44, v99, v63
	;; [unrolled: 1-line block ×8, first 2 shown]
	s_waitcnt lgkmcnt(0)
	v_pk_fma_f16 v107, v48, v98, v69
	v_pk_fma_f16 v48, v48, v99, v58
	ds_read2_b64 v[4:7], v42 offset1:32
	ds_read2_b64 v[44:47], v42 offset0:64 offset1:96
	ds_read2_b64 v[58:61], v42 offset0:128 offset1:160
	ds_read2_b64 v[62:65], v42 offset0:192 offset1:224
	ds_read2_b64 v[66:69], v41 offset1:32
	ds_read2_b64 v[70:73], v41 offset0:64 offset1:96
	ds_read2_b64 v[74:77], v41 offset0:128 offset1:160
	;; [unrolled: 1-line block ×3, first 2 shown]
	s_waitcnt lgkmcnt(0)
	s_barrier
	global_load_dwordx4 v[82:85], v[90:91], off
	global_load_dwordx4 v[86:89], v[90:91], off offset:512
	v_pk_fma_f16 v90, v49, v98, v92
	v_pk_fma_f16 v49, v49, v99, v93
	v_pk_fma_f16 v91, v50, v98, v94
	v_pk_fma_f16 v50, v50, v99, v95
	v_pk_fma_f16 v92, v51, v98, v96
	v_pk_fma_f16 v51, v51, v99, v97
	v_mul_u32_u24_sdwa v93, v0, s31 dst_sel:DWORD dst_unused:UNUSED_PAD src0_sel:WORD_0 src1_sel:DWORD
	v_mul_u32_u24_sdwa v0, v0, s31 dst_sel:DWORD dst_unused:UNUSED_PAD src0_sel:WORD_1 src1_sel:DWORD
	v_pk_fma_f16 v94, v4, v93, v100
	v_pk_fma_f16 v4, v4, v0, v101
	v_pk_fma_f16 v95, v5, v93, v102
	v_pk_fma_f16 v5, v5, v0, v103
	v_pk_fma_f16 v43, v6, v93, v43
	v_pk_fma_f16 v6, v6, v0, v104
	v_pk_fma_f16 v96, v7, v93, v105
	v_pk_fma_f16 v7, v7, v0, v106
	v_pk_fma_f16 v97, v44, v93, v107
	v_pk_fma_f16 v44, v44, v0, v48
	v_pk_fma_f16 v48, v45, v93, v90
	v_pk_fma_f16 v45, v45, v0, v49
	v_pk_fma_f16 v49, v46, v93, v91
	v_pk_fma_f16 v46, v46, v0, v50
	v_pk_fma_f16 v50, v47, v93, v92
	v_pk_fma_f16 v0, v47, v0, v51
	v_mul_u32_u24_sdwa v47, v1, s31 dst_sel:DWORD dst_unused:UNUSED_PAD src0_sel:WORD_0 src1_sel:DWORD
	v_mul_u32_u24_sdwa v1, v1, s31 dst_sel:DWORD dst_unused:UNUSED_PAD src0_sel:WORD_1 src1_sel:DWORD
	v_pk_fma_f16 v51, v58, v47, v94
	v_pk_fma_f16 v4, v58, v1, v4
	v_pk_fma_f16 v58, v59, v47, v95
	v_pk_fma_f16 v5, v59, v1, v5
	v_pk_fma_f16 v43, v60, v47, v43
	v_pk_fma_f16 v6, v60, v1, v6
	v_pk_fma_f16 v59, v61, v47, v96
	v_pk_fma_f16 v7, v61, v1, v7
	v_pk_fma_f16 v60, v62, v47, v97
	v_pk_fma_f16 v44, v62, v1, v44
	;; [unrolled: 18-line block ×4, first 2 shown]
	v_pk_fma_f16 v75, v79, v2, v48
	v_pk_fma_f16 v76, v79, v3, v45
	v_pk_fma_f16 v77, v80, v2, v49
	v_pk_fma_f16 v78, v80, v3, v46
	v_pk_fma_f16 v79, v81, v2, v1
	v_pk_fma_f16 v80, v81, v3, v0
	s_waitcnt vmcnt(1)
	ds_write_b128 v31, v[82:85]
	s_waitcnt vmcnt(0)
	ds_write_b128 v32, v[86:89]
	s_waitcnt lgkmcnt(0)
	s_barrier
	ds_read2_b64 v[44:47], v33 offset1:32
	ds_read_b128 v[48:51], v30 offset:384
	ds_read2_b64 v[58:61], v33 offset0:64 offset1:96
	ds_read_b128 v[62:65], v30 offset:400
	ds_read_b128 v[4:7], v30 offset:416
	;; [unrolled: 1-line block ×3, first 2 shown]
	s_waitcnt lgkmcnt(4)
	v_mul_u32_u24_sdwa v81, v48, s31 dst_sel:DWORD dst_unused:UNUSED_PAD src0_sel:WORD_0 src1_sel:DWORD
	v_mul_u32_u24_sdwa v48, v48, s31 dst_sel:DWORD dst_unused:UNUSED_PAD src0_sel:WORD_1 src1_sel:DWORD
	v_pk_fma_f16 v66, v44, v81, v66
	v_pk_fma_f16 v67, v44, v48, v67
	v_pk_fma_f16 v68, v45, v81, v68
	v_pk_fma_f16 v69, v45, v48, v69
	v_pk_fma_f16 v43, v46, v81, v43
	v_pk_fma_f16 v70, v46, v48, v70
	v_pk_fma_f16 v71, v47, v81, v71
	v_pk_fma_f16 v72, v47, v48, v72
	s_waitcnt lgkmcnt(3)
	v_pk_fma_f16 v73, v58, v81, v73
	v_pk_fma_f16 v74, v58, v48, v74
	v_pk_fma_f16 v75, v59, v81, v75
	v_pk_fma_f16 v76, v59, v48, v76
	v_pk_fma_f16 v77, v60, v81, v77
	v_pk_fma_f16 v78, v60, v48, v78
	v_pk_fma_f16 v79, v61, v81, v79
	ds_read2_b64 v[44:47], v33 offset0:128 offset1:160
	v_pk_fma_f16 v48, v61, v48, v80
	ds_read2_b64 v[58:61], v33 offset0:192 offset1:224
	v_mul_u32_u24_sdwa v80, v49, s31 dst_sel:DWORD dst_unused:UNUSED_PAD src0_sel:WORD_0 src1_sel:DWORD
	v_mul_u32_u24_sdwa v49, v49, s31 dst_sel:DWORD dst_unused:UNUSED_PAD src0_sel:WORD_1 src1_sel:DWORD
	s_waitcnt lgkmcnt(1)
	v_pk_fma_f16 v66, v44, v80, v66
	v_pk_fma_f16 v67, v44, v49, v67
	v_pk_fma_f16 v68, v45, v80, v68
	v_pk_fma_f16 v69, v45, v49, v69
	v_pk_fma_f16 v43, v46, v80, v43
	v_pk_fma_f16 v70, v46, v49, v70
	v_pk_fma_f16 v71, v47, v80, v71
	v_pk_fma_f16 v72, v47, v49, v72
	s_waitcnt lgkmcnt(0)
	v_pk_fma_f16 v73, v58, v80, v73
	v_pk_fma_f16 v74, v58, v49, v74
	v_pk_fma_f16 v75, v59, v80, v75
	v_pk_fma_f16 v76, v59, v49, v76
	v_pk_fma_f16 v77, v60, v80, v77
	v_pk_fma_f16 v78, v60, v49, v78
	v_pk_fma_f16 v79, v61, v80, v79
	ds_read2_b64 v[44:47], v36 offset1:32
	v_pk_fma_f16 v48, v61, v49, v48
	ds_read2_b64 v[58:61], v36 offset0:64 offset1:96
	v_mul_u32_u24_sdwa v49, v50, s31 dst_sel:DWORD dst_unused:UNUSED_PAD src0_sel:WORD_0 src1_sel:DWORD
	v_mul_u32_u24_sdwa v50, v50, s31 dst_sel:DWORD dst_unused:UNUSED_PAD src0_sel:WORD_1 src1_sel:DWORD
	s_waitcnt lgkmcnt(1)
	v_pk_fma_f16 v66, v44, v49, v66
	v_pk_fma_f16 v67, v44, v50, v67
	v_pk_fma_f16 v68, v45, v49, v68
	v_pk_fma_f16 v69, v45, v50, v69
	v_pk_fma_f16 v43, v46, v49, v43
	v_pk_fma_f16 v70, v46, v50, v70
	v_pk_fma_f16 v71, v47, v49, v71
	v_pk_fma_f16 v72, v47, v50, v72
	s_waitcnt lgkmcnt(0)
	v_pk_fma_f16 v73, v58, v49, v73
	v_pk_fma_f16 v74, v58, v50, v74
	v_pk_fma_f16 v75, v59, v49, v75
	v_pk_fma_f16 v76, v59, v50, v76
	v_pk_fma_f16 v77, v60, v49, v77
	v_pk_fma_f16 v78, v60, v50, v78
	v_pk_fma_f16 v49, v61, v49, v79
	ds_read2_b64 v[44:47], v36 offset0:128 offset1:160
	v_pk_fma_f16 v48, v61, v50, v48
	ds_read2_b64 v[58:61], v36 offset0:192 offset1:224
	v_mul_u32_u24_sdwa v50, v51, s31 dst_sel:DWORD dst_unused:UNUSED_PAD src0_sel:WORD_0 src1_sel:DWORD
	v_mul_u32_u24_sdwa v51, v51, s31 dst_sel:DWORD dst_unused:UNUSED_PAD src0_sel:WORD_1 src1_sel:DWORD
	s_waitcnt lgkmcnt(1)
	v_pk_fma_f16 v66, v44, v50, v66
	v_pk_fma_f16 v67, v44, v51, v67
	v_pk_fma_f16 v68, v45, v50, v68
	v_pk_fma_f16 v69, v45, v51, v69
	v_pk_fma_f16 v43, v46, v50, v43
	v_pk_fma_f16 v70, v46, v51, v70
	v_pk_fma_f16 v71, v47, v50, v71
	v_pk_fma_f16 v72, v47, v51, v72
	s_waitcnt lgkmcnt(0)
	v_pk_fma_f16 v73, v58, v50, v73
	v_pk_fma_f16 v58, v58, v51, v74
	v_pk_fma_f16 v74, v59, v50, v75
	v_pk_fma_f16 v59, v59, v51, v76
	v_pk_fma_f16 v75, v60, v50, v77
	v_pk_fma_f16 v60, v60, v51, v78
	v_pk_fma_f16 v76, v61, v50, v49
	ds_read2_b64 v[44:47], v37 offset1:32
	v_pk_fma_f16 v61, v61, v51, v48
	ds_read2_b64 v[48:51], v37 offset0:64 offset1:96
	v_mul_u32_u24_sdwa v77, v62, s31 dst_sel:DWORD dst_unused:UNUSED_PAD src0_sel:WORD_0 src1_sel:DWORD
	v_mul_u32_u24_sdwa v62, v62, s31 dst_sel:DWORD dst_unused:UNUSED_PAD src0_sel:WORD_1 src1_sel:DWORD
	s_waitcnt lgkmcnt(1)
	;; [unrolled: 44-line block ×5, first 2 shown]
	v_pk_fma_f16 v62, v44, v5, v63
	v_pk_fma_f16 v63, v44, v6, v64
	;; [unrolled: 1-line block ×8, first 2 shown]
	s_waitcnt lgkmcnt(0)
	v_pk_fma_f16 v69, v48, v5, v70
	v_pk_fma_f16 v58, v48, v6, v58
	;; [unrolled: 1-line block ×7, first 2 shown]
	ds_read2_b64 v[44:47], v40 offset0:128 offset1:160
	v_pk_fma_f16 v97, v51, v6, v4
	ds_read2_b64 v[48:51], v40 offset0:192 offset1:224
	s_or_b32 s6, s2, 0x70
	s_mul_hi_i32 s7, s6, s11
	s_mul_i32 s6, s6, s11
	v_mul_u32_u24_sdwa v98, v7, s31 dst_sel:DWORD dst_unused:UNUSED_PAD src0_sel:WORD_0 src1_sel:DWORD
	v_mul_u32_u24_sdwa v99, v7, s31 dst_sel:DWORD dst_unused:UNUSED_PAD src0_sel:WORD_1 src1_sel:DWORD
	v_lshl_add_u64 v[90:91], s[6:7], 2, v[20:21]
	s_waitcnt lgkmcnt(1)
	v_pk_fma_f16 v100, v44, v98, v62
	v_pk_fma_f16 v101, v44, v99, v63
	;; [unrolled: 1-line block ×8, first 2 shown]
	s_waitcnt lgkmcnt(0)
	v_pk_fma_f16 v107, v48, v98, v69
	v_pk_fma_f16 v48, v48, v99, v58
	ds_read2_b64 v[4:7], v42 offset1:32
	ds_read2_b64 v[44:47], v42 offset0:64 offset1:96
	ds_read2_b64 v[58:61], v42 offset0:128 offset1:160
	;; [unrolled: 1-line block ×3, first 2 shown]
	ds_read2_b64 v[66:69], v41 offset1:32
	ds_read2_b64 v[70:73], v41 offset0:64 offset1:96
	ds_read2_b64 v[74:77], v41 offset0:128 offset1:160
	;; [unrolled: 1-line block ×3, first 2 shown]
	s_waitcnt lgkmcnt(0)
	s_barrier
	global_load_dwordx4 v[82:85], v[90:91], off
	global_load_dwordx4 v[86:89], v[90:91], off offset:512
	v_pk_fma_f16 v90, v49, v98, v92
	v_pk_fma_f16 v49, v49, v99, v93
	v_pk_fma_f16 v91, v50, v98, v94
	v_pk_fma_f16 v50, v50, v99, v95
	v_pk_fma_f16 v92, v51, v98, v96
	v_pk_fma_f16 v51, v51, v99, v97
	v_mul_u32_u24_sdwa v93, v0, s31 dst_sel:DWORD dst_unused:UNUSED_PAD src0_sel:WORD_0 src1_sel:DWORD
	v_mul_u32_u24_sdwa v0, v0, s31 dst_sel:DWORD dst_unused:UNUSED_PAD src0_sel:WORD_1 src1_sel:DWORD
	v_pk_fma_f16 v94, v4, v93, v100
	v_pk_fma_f16 v4, v4, v0, v101
	v_pk_fma_f16 v95, v5, v93, v102
	v_pk_fma_f16 v5, v5, v0, v103
	v_pk_fma_f16 v43, v6, v93, v43
	v_pk_fma_f16 v6, v6, v0, v104
	v_pk_fma_f16 v96, v7, v93, v105
	v_pk_fma_f16 v7, v7, v0, v106
	v_pk_fma_f16 v97, v44, v93, v107
	v_pk_fma_f16 v44, v44, v0, v48
	v_pk_fma_f16 v48, v45, v93, v90
	v_pk_fma_f16 v45, v45, v0, v49
	v_pk_fma_f16 v49, v46, v93, v91
	v_pk_fma_f16 v46, v46, v0, v50
	v_pk_fma_f16 v50, v47, v93, v92
	v_pk_fma_f16 v0, v47, v0, v51
	v_mul_u32_u24_sdwa v47, v1, s31 dst_sel:DWORD dst_unused:UNUSED_PAD src0_sel:WORD_0 src1_sel:DWORD
	v_mul_u32_u24_sdwa v1, v1, s31 dst_sel:DWORD dst_unused:UNUSED_PAD src0_sel:WORD_1 src1_sel:DWORD
	v_pk_fma_f16 v51, v58, v47, v94
	v_pk_fma_f16 v4, v58, v1, v4
	v_pk_fma_f16 v58, v59, v47, v95
	v_pk_fma_f16 v5, v59, v1, v5
	v_pk_fma_f16 v43, v60, v47, v43
	v_pk_fma_f16 v6, v60, v1, v6
	v_pk_fma_f16 v59, v61, v47, v96
	v_pk_fma_f16 v7, v61, v1, v7
	v_pk_fma_f16 v60, v62, v47, v97
	v_pk_fma_f16 v44, v62, v1, v44
	;; [unrolled: 18-line block ×4, first 2 shown]
	v_pk_fma_f16 v75, v79, v2, v48
	v_pk_fma_f16 v76, v79, v3, v45
	v_pk_fma_f16 v77, v80, v2, v49
	v_pk_fma_f16 v78, v80, v3, v46
	v_pk_fma_f16 v79, v81, v2, v1
	v_pk_fma_f16 v80, v81, v3, v0
	s_waitcnt vmcnt(1)
	ds_write_b128 v31, v[82:85]
	s_waitcnt vmcnt(0)
	ds_write_b128 v32, v[86:89]
	s_waitcnt lgkmcnt(0)
	s_barrier
	ds_read2_b64 v[44:47], v33 offset1:32
	ds_read_b128 v[48:51], v30 offset:448
	ds_read2_b64 v[58:61], v33 offset0:64 offset1:96
	ds_read_b128 v[62:65], v30 offset:464
	ds_read_b128 v[4:7], v30 offset:480
	;; [unrolled: 1-line block ×3, first 2 shown]
	s_waitcnt lgkmcnt(4)
	v_mul_u32_u24_sdwa v81, v48, s31 dst_sel:DWORD dst_unused:UNUSED_PAD src0_sel:WORD_0 src1_sel:DWORD
	v_mul_u32_u24_sdwa v48, v48, s31 dst_sel:DWORD dst_unused:UNUSED_PAD src0_sel:WORD_1 src1_sel:DWORD
	v_pk_fma_f16 v66, v44, v81, v66
	v_pk_fma_f16 v67, v44, v48, v67
	v_pk_fma_f16 v68, v45, v81, v68
	v_pk_fma_f16 v69, v45, v48, v69
	v_pk_fma_f16 v43, v46, v81, v43
	v_pk_fma_f16 v70, v46, v48, v70
	v_pk_fma_f16 v71, v47, v81, v71
	v_pk_fma_f16 v72, v47, v48, v72
	s_waitcnt lgkmcnt(3)
	v_pk_fma_f16 v73, v58, v81, v73
	v_pk_fma_f16 v74, v58, v48, v74
	v_pk_fma_f16 v75, v59, v81, v75
	v_pk_fma_f16 v76, v59, v48, v76
	v_pk_fma_f16 v77, v60, v81, v77
	v_pk_fma_f16 v78, v60, v48, v78
	v_pk_fma_f16 v79, v61, v81, v79
	ds_read2_b64 v[44:47], v33 offset0:128 offset1:160
	v_pk_fma_f16 v48, v61, v48, v80
	ds_read2_b64 v[58:61], v33 offset0:192 offset1:224
	v_mul_u32_u24_sdwa v80, v49, s31 dst_sel:DWORD dst_unused:UNUSED_PAD src0_sel:WORD_0 src1_sel:DWORD
	v_mul_u32_u24_sdwa v49, v49, s31 dst_sel:DWORD dst_unused:UNUSED_PAD src0_sel:WORD_1 src1_sel:DWORD
	s_waitcnt lgkmcnt(1)
	v_pk_fma_f16 v66, v44, v80, v66
	v_pk_fma_f16 v67, v44, v49, v67
	v_pk_fma_f16 v68, v45, v80, v68
	v_pk_fma_f16 v69, v45, v49, v69
	v_pk_fma_f16 v43, v46, v80, v43
	v_pk_fma_f16 v70, v46, v49, v70
	v_pk_fma_f16 v71, v47, v80, v71
	v_pk_fma_f16 v72, v47, v49, v72
	s_waitcnt lgkmcnt(0)
	v_pk_fma_f16 v73, v58, v80, v73
	v_pk_fma_f16 v74, v58, v49, v74
	v_pk_fma_f16 v75, v59, v80, v75
	v_pk_fma_f16 v76, v59, v49, v76
	v_pk_fma_f16 v77, v60, v80, v77
	v_pk_fma_f16 v78, v60, v49, v78
	v_pk_fma_f16 v79, v61, v80, v79
	ds_read2_b64 v[44:47], v36 offset1:32
	v_pk_fma_f16 v48, v61, v49, v48
	ds_read2_b64 v[58:61], v36 offset0:64 offset1:96
	v_mul_u32_u24_sdwa v49, v50, s31 dst_sel:DWORD dst_unused:UNUSED_PAD src0_sel:WORD_0 src1_sel:DWORD
	v_mul_u32_u24_sdwa v50, v50, s31 dst_sel:DWORD dst_unused:UNUSED_PAD src0_sel:WORD_1 src1_sel:DWORD
	s_waitcnt lgkmcnt(1)
	v_pk_fma_f16 v66, v44, v49, v66
	v_pk_fma_f16 v67, v44, v50, v67
	v_pk_fma_f16 v68, v45, v49, v68
	v_pk_fma_f16 v69, v45, v50, v69
	v_pk_fma_f16 v43, v46, v49, v43
	v_pk_fma_f16 v70, v46, v50, v70
	v_pk_fma_f16 v71, v47, v49, v71
	v_pk_fma_f16 v72, v47, v50, v72
	s_waitcnt lgkmcnt(0)
	v_pk_fma_f16 v73, v58, v49, v73
	v_pk_fma_f16 v74, v58, v50, v74
	v_pk_fma_f16 v75, v59, v49, v75
	v_pk_fma_f16 v76, v59, v50, v76
	v_pk_fma_f16 v77, v60, v49, v77
	v_pk_fma_f16 v78, v60, v50, v78
	v_pk_fma_f16 v49, v61, v49, v79
	ds_read2_b64 v[44:47], v36 offset0:128 offset1:160
	v_pk_fma_f16 v48, v61, v50, v48
	ds_read2_b64 v[58:61], v36 offset0:192 offset1:224
	v_mul_u32_u24_sdwa v36, v51, s31 dst_sel:DWORD dst_unused:UNUSED_PAD src0_sel:WORD_0 src1_sel:DWORD
	v_mul_u32_u24_sdwa v50, v51, s31 dst_sel:DWORD dst_unused:UNUSED_PAD src0_sel:WORD_1 src1_sel:DWORD
	s_waitcnt lgkmcnt(1)
	v_pk_fma_f16 v66, v44, v36, v66
	v_pk_fma_f16 v67, v44, v50, v67
	v_pk_fma_f16 v68, v45, v36, v68
	v_pk_fma_f16 v69, v45, v50, v69
	v_pk_fma_f16 v43, v46, v36, v43
	v_pk_fma_f16 v70, v46, v50, v70
	v_pk_fma_f16 v71, v47, v36, v71
	v_pk_fma_f16 v72, v47, v50, v72
	s_waitcnt lgkmcnt(0)
	v_pk_fma_f16 v73, v58, v36, v73
	v_pk_fma_f16 v58, v58, v50, v74
	v_pk_fma_f16 v74, v59, v36, v75
	v_pk_fma_f16 v59, v59, v50, v76
	v_pk_fma_f16 v75, v60, v36, v77
	v_pk_fma_f16 v60, v60, v50, v78
	v_pk_fma_f16 v36, v61, v36, v49
	ds_read2_b64 v[44:47], v37 offset1:32
	v_pk_fma_f16 v61, v61, v50, v48
	ds_read2_b64 v[48:51], v37 offset0:64 offset1:96
	v_mul_u32_u24_sdwa v76, v62, s31 dst_sel:DWORD dst_unused:UNUSED_PAD src0_sel:WORD_0 src1_sel:DWORD
	v_mul_u32_u24_sdwa v62, v62, s31 dst_sel:DWORD dst_unused:UNUSED_PAD src0_sel:WORD_1 src1_sel:DWORD
	s_waitcnt lgkmcnt(1)
	;; [unrolled: 44-line block ×7, first 2 shown]
	v_pk_fma_f16 v42, v4, v1, v42
	v_pk_fma_f16 v44, v4, v2, v44
	;; [unrolled: 1-line block ×8, first 2 shown]
	s_waitcnt lgkmcnt(0)
	v_pk_fma_f16 v65, v37, v1, v58
	v_pk_fma_f16 v66, v38, v1, v59
	ds_read2_b64 v[4:7], v41 offset0:128 offset1:160
	ds_read2_b64 v[58:61], v41 offset0:192 offset1:224
	s_waitcnt lgkmcnt(0)
	s_barrier
	s_load_dword s6, s[4:5], 0x4
	v_pk_fma_f16 v62, v36, v1, v62
	v_pk_fma_f16 v36, v36, v2, v48
	;; [unrolled: 1-line block ×4, first 2 shown]
	s_waitcnt lgkmcnt(0)
	s_lshl_b32 s6, s6, 7
	v_pk_fma_f16 v1, v39, v1, v40
	v_pk_fma_f16 v0, v39, v2, v0
	v_mul_u32_u24_sdwa v2, v3, s31 dst_sel:DWORD dst_unused:UNUSED_PAD src0_sel:WORD_0 src1_sel:DWORD
	v_mul_u32_u24_sdwa v3, v3, s31 dst_sel:DWORD dst_unused:UNUSED_PAD src0_sel:WORD_1 src1_sel:DWORD
	s_add_i32 s2, s6, s2
	v_pk_fma_f16 v41, v4, v2, v42
	v_pk_fma_f16 v37, v4, v3, v44
	;; [unrolled: 1-line block ×15, first 2 shown]
	s_cmp_ge_i32 s2, s24
	v_pk_fma_f16 v5, v61, v3, v0
	s_cbranch_scc1 .LBB29_7
; %bb.54:                               ;   in Loop: Header=BB29_21 Depth=1
	v_mov_b32_e32 v49, v22
	v_mov_b32_e32 v4, v23
	s_branch .LBB29_21
	.section	.rodata,"a",@progbits
	.p2align	6, 0x0
	.amdhsa_kernel _ZL15flash_attn_tileILi512ELi512ELi8ELi4ELb1EEvPKcS1_S1_S1_S1_PKiPfP15HIP_vector_typeIfLj2EEffffjfiS5_IjLj3EEiiiiiiiiiiiliiliiiiil
		.amdhsa_group_segment_fixed_size 59392
		.amdhsa_private_segment_fixed_size 0
		.amdhsa_kernarg_size 464
		.amdhsa_user_sgpr_count 2
		.amdhsa_user_sgpr_dispatch_ptr 0
		.amdhsa_user_sgpr_queue_ptr 0
		.amdhsa_user_sgpr_kernarg_segment_ptr 1
		.amdhsa_user_sgpr_dispatch_id 0
		.amdhsa_user_sgpr_kernarg_preload_length 0
		.amdhsa_user_sgpr_kernarg_preload_offset 0
		.amdhsa_user_sgpr_private_segment_size 0
		.amdhsa_uses_dynamic_stack 0
		.amdhsa_enable_private_segment 0
		.amdhsa_system_sgpr_workgroup_id_x 1
		.amdhsa_system_sgpr_workgroup_id_y 1
		.amdhsa_system_sgpr_workgroup_id_z 1
		.amdhsa_system_sgpr_workgroup_info 0
		.amdhsa_system_vgpr_workitem_id 1
		.amdhsa_next_free_vgpr 108
		.amdhsa_next_free_sgpr 96
		.amdhsa_accum_offset 108
		.amdhsa_reserve_vcc 1
		.amdhsa_float_round_mode_32 0
		.amdhsa_float_round_mode_16_64 0
		.amdhsa_float_denorm_mode_32 3
		.amdhsa_float_denorm_mode_16_64 3
		.amdhsa_dx10_clamp 1
		.amdhsa_ieee_mode 1
		.amdhsa_fp16_overflow 0
		.amdhsa_tg_split 0
		.amdhsa_exception_fp_ieee_invalid_op 0
		.amdhsa_exception_fp_denorm_src 0
		.amdhsa_exception_fp_ieee_div_zero 0
		.amdhsa_exception_fp_ieee_overflow 0
		.amdhsa_exception_fp_ieee_underflow 0
		.amdhsa_exception_fp_ieee_inexact 0
		.amdhsa_exception_int_div_zero 0
	.end_amdhsa_kernel
	.section	.text._ZL15flash_attn_tileILi512ELi512ELi8ELi4ELb1EEvPKcS1_S1_S1_S1_PKiPfP15HIP_vector_typeIfLj2EEffffjfiS5_IjLj3EEiiiiiiiiiiiliiliiiiil,"axG",@progbits,_ZL15flash_attn_tileILi512ELi512ELi8ELi4ELb1EEvPKcS1_S1_S1_S1_PKiPfP15HIP_vector_typeIfLj2EEffffjfiS5_IjLj3EEiiiiiiiiiiiliiliiiiil,comdat
.Lfunc_end29:
	.size	_ZL15flash_attn_tileILi512ELi512ELi8ELi4ELb1EEvPKcS1_S1_S1_S1_PKiPfP15HIP_vector_typeIfLj2EEffffjfiS5_IjLj3EEiiiiiiiiiiiliiliiiiil, .Lfunc_end29-_ZL15flash_attn_tileILi512ELi512ELi8ELi4ELb1EEvPKcS1_S1_S1_S1_PKiPfP15HIP_vector_typeIfLj2EEffffjfiS5_IjLj3EEiiiiiiiiiiiliiliiiiil
                                        ; -- End function
	.set _ZL15flash_attn_tileILi512ELi512ELi8ELi4ELb1EEvPKcS1_S1_S1_S1_PKiPfP15HIP_vector_typeIfLj2EEffffjfiS5_IjLj3EEiiiiiiiiiiiliiliiiiil.num_vgpr, 108
	.set _ZL15flash_attn_tileILi512ELi512ELi8ELi4ELb1EEvPKcS1_S1_S1_S1_PKiPfP15HIP_vector_typeIfLj2EEffffjfiS5_IjLj3EEiiiiiiiiiiiliiliiiiil.num_agpr, 0
	.set _ZL15flash_attn_tileILi512ELi512ELi8ELi4ELb1EEvPKcS1_S1_S1_S1_PKiPfP15HIP_vector_typeIfLj2EEffffjfiS5_IjLj3EEiiiiiiiiiiiliiliiiiil.numbered_sgpr, 40
	.set _ZL15flash_attn_tileILi512ELi512ELi8ELi4ELb1EEvPKcS1_S1_S1_S1_PKiPfP15HIP_vector_typeIfLj2EEffffjfiS5_IjLj3EEiiiiiiiiiiiliiliiiiil.num_named_barrier, 0
	.set _ZL15flash_attn_tileILi512ELi512ELi8ELi4ELb1EEvPKcS1_S1_S1_S1_PKiPfP15HIP_vector_typeIfLj2EEffffjfiS5_IjLj3EEiiiiiiiiiiiliiliiiiil.private_seg_size, 0
	.set _ZL15flash_attn_tileILi512ELi512ELi8ELi4ELb1EEvPKcS1_S1_S1_S1_PKiPfP15HIP_vector_typeIfLj2EEffffjfiS5_IjLj3EEiiiiiiiiiiiliiliiiiil.uses_vcc, 1
	.set _ZL15flash_attn_tileILi512ELi512ELi8ELi4ELb1EEvPKcS1_S1_S1_S1_PKiPfP15HIP_vector_typeIfLj2EEffffjfiS5_IjLj3EEiiiiiiiiiiiliiliiiiil.uses_flat_scratch, 0
	.set _ZL15flash_attn_tileILi512ELi512ELi8ELi4ELb1EEvPKcS1_S1_S1_S1_PKiPfP15HIP_vector_typeIfLj2EEffffjfiS5_IjLj3EEiiiiiiiiiiiliiliiiiil.has_dyn_sized_stack, 0
	.set _ZL15flash_attn_tileILi512ELi512ELi8ELi4ELb1EEvPKcS1_S1_S1_S1_PKiPfP15HIP_vector_typeIfLj2EEffffjfiS5_IjLj3EEiiiiiiiiiiiliiliiiiil.has_recursion, 0
	.set _ZL15flash_attn_tileILi512ELi512ELi8ELi4ELb1EEvPKcS1_S1_S1_S1_PKiPfP15HIP_vector_typeIfLj2EEffffjfiS5_IjLj3EEiiiiiiiiiiiliiliiiiil.has_indirect_call, 0
	.section	.AMDGPU.csdata,"",@progbits
; Kernel info:
; codeLenInByte = 72232
; TotalNumSgprs: 46
; NumVgprs: 108
; NumAgprs: 0
; TotalNumVgprs: 108
; ScratchSize: 0
; MemoryBound: 0
; FloatMode: 240
; IeeeMode: 1
; LDSByteSize: 59392 bytes/workgroup (compile time only)
; SGPRBlocks: 12
; VGPRBlocks: 13
; NumSGPRsForWavesPerEU: 102
; NumVGPRsForWavesPerEU: 108
; AccumOffset: 108
; Occupancy: 4
; WaveLimiterHint : 1
; COMPUTE_PGM_RSRC2:SCRATCH_EN: 0
; COMPUTE_PGM_RSRC2:USER_SGPR: 2
; COMPUTE_PGM_RSRC2:TRAP_HANDLER: 0
; COMPUTE_PGM_RSRC2:TGID_X_EN: 1
; COMPUTE_PGM_RSRC2:TGID_Y_EN: 1
; COMPUTE_PGM_RSRC2:TGID_Z_EN: 1
; COMPUTE_PGM_RSRC2:TIDIG_COMP_CNT: 1
; COMPUTE_PGM_RSRC3_GFX90A:ACCUM_OFFSET: 26
; COMPUTE_PGM_RSRC3_GFX90A:TG_SPLIT: 0
	.section	.text._ZL15flash_attn_tileILi512ELi512ELi4ELi4ELb1EEvPKcS1_S1_S1_S1_PKiPfP15HIP_vector_typeIfLj2EEffffjfiS5_IjLj3EEiiiiiiiiiiiliiliiiiil,"axG",@progbits,_ZL15flash_attn_tileILi512ELi512ELi4ELi4ELb1EEvPKcS1_S1_S1_S1_PKiPfP15HIP_vector_typeIfLj2EEffffjfiS5_IjLj3EEiiiiiiiiiiiliiliiiiil,comdat
	.globl	_ZL15flash_attn_tileILi512ELi512ELi4ELi4ELb1EEvPKcS1_S1_S1_S1_PKiPfP15HIP_vector_typeIfLj2EEffffjfiS5_IjLj3EEiiiiiiiiiiiliiliiiiil ; -- Begin function _ZL15flash_attn_tileILi512ELi512ELi4ELi4ELb1EEvPKcS1_S1_S1_S1_PKiPfP15HIP_vector_typeIfLj2EEffffjfiS5_IjLj3EEiiiiiiiiiiiliiliiiiil
	.p2align	8
	.type	_ZL15flash_attn_tileILi512ELi512ELi4ELi4ELb1EEvPKcS1_S1_S1_S1_PKiPfP15HIP_vector_typeIfLj2EEffffjfiS5_IjLj3EEiiiiiiiiiiiliiliiiiil,@function
_ZL15flash_attn_tileILi512ELi512ELi4ELi4ELb1EEvPKcS1_S1_S1_S1_PKiPfP15HIP_vector_typeIfLj2EEffffjfiS5_IjLj3EEiiiiiiiiiiiliiliiiiil: ; @_ZL15flash_attn_tileILi512ELi512ELi4ELi4ELb1EEvPKcS1_S1_S1_S1_PKiPfP15HIP_vector_typeIfLj2EEffffjfiS5_IjLj3EEiiiiiiiiiiiliiliiiiil
; %bb.0:
	s_load_dwordx4 s[20:23], s[0:1], 0x5c
	s_load_dwordx2 s[24:25], s[0:1], 0x80
	s_load_dwordx2 s[28:29], s[0:1], 0xb8
	s_mov_b64 s[26:27], 0
	s_waitcnt lgkmcnt(0)
	s_ashr_i32 s5, s23, 31
	s_lshr_b32 s5, s5, 30
	s_add_i32 s5, s23, s5
	s_ashr_i32 s5, s5, 2
	v_cvt_f32_u32_e32 v1, s5
	s_sub_i32 s6, 0, s5
	v_rcp_iflag_f32_e32 v1, v1
	s_nop 0
	v_mul_f32_e32 v1, 0x4f7ffffe, v1
	v_cvt_u32_f32_e32 v1, v1
	s_nop 0
	v_readfirstlane_b32 s7, v1
	s_mul_i32 s6, s6, s7
	s_mul_hi_u32 s6, s7, s6
	s_add_i32 s7, s7, s6
	s_mul_hi_u32 s6, s4, s7
	s_mul_i32 s7, s6, s5
	s_sub_i32 s7, s4, s7
	s_add_i32 s8, s6, 1
	s_sub_i32 s9, s7, s5
	s_cmp_ge_u32 s7, s5
	s_cselect_b32 s6, s8, s6
	s_cselect_b32 s7, s9, s7
	s_add_i32 s8, s6, 1
	s_cmp_ge_u32 s7, s5
	s_cselect_b32 s30, s8, s6
	s_abs_i32 s5, s25
	v_cvt_f32_u32_e32 v1, s5
	s_lshl_b32 s4, s4, 2
	s_mul_i32 s8, s30, s23
	s_xor_b32 s6, s23, s25
	v_rcp_iflag_f32_e32 v1, v1
	s_sub_i32 s9, 0, s5
	s_sub_i32 s25, s4, s8
	s_abs_i32 s7, s23
	v_mul_f32_e32 v1, 0x4f7ffffe, v1
	v_cvt_u32_f32_e32 v1, v1
	s_ashr_i32 s6, s6, 31
	v_readfirstlane_b32 s4, v1
	s_mul_i32 s9, s9, s4
	s_mul_hi_u32 s8, s4, s9
	s_add_i32 s4, s4, s8
	s_mul_hi_u32 s4, s7, s4
	s_mul_i32 s8, s4, s5
	s_sub_i32 s7, s7, s8
	s_add_i32 s9, s4, 1
	s_sub_i32 s8, s7, s5
	s_cmp_ge_u32 s7, s5
	s_cselect_b32 s4, s9, s4
	s_cselect_b32 s7, s8, s7
	s_add_i32 s8, s4, 1
	s_cmp_ge_u32 s7, s5
	s_cselect_b32 s4, s8, s4
	s_xor_b32 s4, s4, s6
	s_sub_i32 s33, s4, s6
	s_abs_i32 s31, s33
	v_cvt_f32_u32_e32 v1, s31
	s_load_dwordx16 s[4:19], s[0:1], 0x0
	v_rcp_iflag_f32_e32 v1, v1
	s_waitcnt lgkmcnt(0)
	s_cmp_eq_u64 s[10:11], 0
	v_mul_f32_e32 v1, 0x4f7ffffe, v1
	v_cvt_u32_f32_e32 v1, v1
	s_nop 0
	v_readfirstlane_b32 s34, v1
	s_cbranch_scc1 .LBB30_2
; %bb.1:
	s_abs_i32 s28, s28
	v_cvt_f32_u32_e32 v1, s28
	s_sub_i32 s37, 0, s28
	s_abs_i32 s36, s30
	s_ashr_i32 s35, s30, 31
	v_rcp_iflag_f32_e32 v1, v1
	s_load_dwordx2 s[26:27], s[0:1], 0xc8
	v_mul_f32_e32 v1, 0x4f7ffffe, v1
	v_cvt_u32_f32_e32 v1, v1
	s_nop 0
	v_readfirstlane_b32 s38, v1
	s_mul_i32 s37, s37, s38
	s_mul_hi_u32 s37, s38, s37
	s_add_i32 s38, s38, s37
	s_mul_hi_u32 s37, s36, s38
	s_mul_i32 s37, s37, s28
	s_sub_i32 s36, s36, s37
	s_sub_i32 s37, s36, s28
	s_cmp_ge_u32 s36, s28
	s_cselect_b32 s36, s37, s36
	s_sub_i32 s37, s36, s28
	s_cmp_ge_u32 s36, s28
	s_cselect_b32 s28, s37, s36
	s_xor_b32 s28, s28, s35
	s_sub_i32 s28, s28, s35
	s_ashr_i32 s35, s28, 31
	s_waitcnt lgkmcnt(0)
	s_mul_hi_u32 s36, s26, s28
	s_mul_i32 s35, s26, s35
	s_mul_i32 s27, s27, s28
	s_add_i32 s35, s36, s35
	s_add_i32 s35, s35, s27
	s_mul_i32 s26, s26, s28
	s_add_u32 s26, s10, s26
	s_addc_u32 s27, s11, s35
.LBB30_2:
	s_load_dwordx4 s[36:39], s[0:1], 0x70
	v_lshrrev_b32_e32 v2, 10, v0
	v_bfe_u32 v2, v2, 1, 9
	v_lshl_add_u32 v5, s2, 2, v2
	v_mul_hi_u32 v2, s20, v5
	s_waitcnt lgkmcnt(0)
	s_mul_i32 s10, s30, s38
	s_ashr_i32 s28, s10, 31
	s_mul_i32 s11, s25, s37
	s_add_u32 s4, s4, s10
	s_addc_u32 s5, s5, s28
	s_ashr_i32 s10, s11, 31
	v_add_u32_e32 v2, v5, v2
	s_add_u32 s4, s4, s11
	v_lshrrev_b32_e32 v2, s21, v2
	s_addc_u32 s5, s5, s10
	s_ashr_i32 s11, s37, 31
	s_mov_b32 s10, s37
	v_mul_lo_u32 v2, v2, s22
	s_ashr_i32 s37, s36, 31
	v_sub_u32_e32 v2, v5, v2
	s_lshr_b64 s[20:21], s[36:37], 2
	v_mad_u64_u32 v[6:7], s[20:21], s20, v2, 0
	s_lshr_b64 s[38:39], s[10:11], 2
	v_mov_b32_e32 v4, v7
	s_lshr_b32 s10, s37, 2
	v_bfe_u32 v1, v0, 10, 10
	v_mad_u64_u32 v[8:9], s[20:21], s10, v2, v[4:5]
	v_lshlrev_b32_e32 v3, 1, v1
	v_mov_b32_e32 v7, v8
	v_and_b32_e32 v4, 0x3ff, v0
	v_mov_b32_e32 v9, 0
	v_lshl_add_u64 v[6:7], v[6:7], 2, s[4:5]
	v_lshlrev_b32_e32 v8, 4, v4
	v_and_b32_e32 v20, 2, v3
	s_lshr_b32 s10, s11, 2
	v_lshl_add_u64 v[18:19], v[6:7], 0, v[8:9]
	v_mul_lo_u32 v0, s10, v20
	v_mad_u64_u32 v[6:7], s[4:5], s38, v20, 0
	v_or_b32_e32 v7, v7, v0
	v_lshl_add_u64 v[22:23], v[6:7], 2, v[18:19]
	global_load_dwordx4 v[6:9], v[22:23], off
	global_load_dwordx4 v[10:13], v[22:23], off offset:512
	global_load_dwordx4 v[14:17], v[22:23], off offset:1024
	;; [unrolled: 1-line block ×3, first 2 shown]
	v_bitop3_b32 v21, v3, 3, 1 bitop3:0xc8
	v_mad_u64_u32 v[22:23], s[4:5], s38, v21, 0
	v_mov_b32_e32 v0, v23
	v_mad_u64_u32 v[28:29], s[4:5], s10, v21, v[0:1]
	v_mov_b32_e32 v23, v28
	v_lshl_add_u64 v[18:19], v[22:23], 2, v[18:19]
	global_load_dwordx4 v[28:31], v[18:19], off
	global_load_dwordx4 v[32:35], v[18:19], off offset:512
	global_load_dwordx4 v[36:39], v[18:19], off offset:1024
	;; [unrolled: 1-line block ×3, first 2 shown]
	s_load_dword s4, s[0:1], 0x40
	v_lshlrev_b32_e32 v0, 3, v4
	v_lshlrev_b32_e32 v22, 11, v1
	v_add_u32_e32 v21, v0, v22
	v_or_b32_e32 v3, 1, v3
	v_lshl_add_u32 v3, v3, 10, v0
	s_cmp_eq_u64 s[14:15], 0
	s_waitcnt vmcnt(7) lgkmcnt(0)
	v_fma_mixlo_f16 v6, s4, v6, 0
	v_fma_mixlo_f16 v7, s4, v7, 0
	;; [unrolled: 1-line block ×4, first 2 shown]
	s_waitcnt vmcnt(6)
	v_fma_mixlo_f16 v10, s4, v10, 0
	v_fma_mixlo_f16 v11, s4, v11, 0
	;; [unrolled: 1-line block ×4, first 2 shown]
	v_lshlrev_b32_e32 v7, 16, v7
	v_and_b32_e32 v6, 0xffff, v6
	v_lshlrev_b32_e32 v9, 16, v9
	v_and_b32_e32 v8, 0xffff, v8
	;; [unrolled: 2-line block ×3, first 2 shown]
	s_waitcnt vmcnt(5)
	v_fma_mixlo_f16 v14, s4, v14, 0
	v_fma_mixlo_f16 v15, s4, v15, 0
	s_waitcnt vmcnt(4)
	v_fma_mixlo_f16 v18, s4, v24, 0
	v_fma_mixlo_f16 v19, s4, v25, 0
	v_lshlrev_b32_e32 v13, 16, v13
	v_and_b32_e32 v12, 0xffff, v12
	v_or_b32_e32 v6, v7, v6
	v_or3_b32 v7, v9, v8, 0
	v_or_b32_e32 v8, v11, v10
	v_fma_mixlo_f16 v16, s4, v16, 0
	v_fma_mixlo_f16 v17, s4, v17, 0
	;; [unrolled: 1-line block ×4, first 2 shown]
	v_lshlrev_b32_e32 v15, 16, v15
	v_and_b32_e32 v14, 0xffff, v14
	v_lshlrev_b32_e32 v19, 16, v19
	v_and_b32_e32 v18, 0xffff, v18
	v_or3_b32 v9, v13, v12, 0
	v_or3_b32 v6, 0, 0, v6
	;; [unrolled: 1-line block ×3, first 2 shown]
	v_lshlrev_b32_e32 v17, 16, v17
	v_and_b32_e32 v16, 0xffff, v16
	v_or_b32_e32 v10, v15, v14
	v_or_b32_e32 v12, v19, v18
	ds_write2_b64 v21, v[6:7], v[8:9] offset1:32
	v_lshlrev_b32_e32 v6, 16, v24
	v_and_b32_e32 v7, 0xffff, v23
	v_or3_b32 v11, v17, v16, 0
	v_or3_b32 v10, 0, 0, v10
	;; [unrolled: 1-line block ×4, first 2 shown]
	ds_write2_b64 v21, v[10:11], v[6:7] offset0:64 offset1:96
	s_waitcnt vmcnt(3)
	v_fma_mixlo_f16 v6, s4, v28, 0
	v_fma_mixlo_f16 v7, s4, v29, 0
	v_lshlrev_b32_e32 v7, 16, v7
	v_and_b32_e32 v6, 0xffff, v6
	v_or_b32_e32 v6, v7, v6
	v_fma_mixlo_f16 v7, s4, v30, 0
	v_fma_mixlo_f16 v8, s4, v31, 0
	v_lshlrev_b32_e32 v8, 16, v8
	v_and_b32_e32 v7, 0xffff, v7
	v_or3_b32 v7, v8, v7, 0
	s_waitcnt vmcnt(2)
	v_fma_mixlo_f16 v8, s4, v32, 0
	v_fma_mixlo_f16 v9, s4, v33, 0
	v_lshlrev_b32_e32 v9, 16, v9
	v_and_b32_e32 v8, 0xffff, v8
	v_or_b32_e32 v8, v9, v8
	v_fma_mixlo_f16 v9, s4, v34, 0
	v_fma_mixlo_f16 v10, s4, v35, 0
	v_lshlrev_b32_e32 v10, 16, v10
	v_and_b32_e32 v9, 0xffff, v9
	v_or3_b32 v6, 0, 0, v6
	v_or3_b32 v9, v10, v9, 0
	;; [unrolled: 1-line block ×3, first 2 shown]
	ds_write2_b64 v3, v[6:7], v[8:9] offset1:32
	s_waitcnt vmcnt(1)
	v_fma_mixlo_f16 v6, s4, v36, 0
	v_fma_mixlo_f16 v7, s4, v37, 0
	v_lshlrev_b32_e32 v7, 16, v7
	v_and_b32_e32 v6, 0xffff, v6
	v_or_b32_e32 v6, v7, v6
	v_fma_mixlo_f16 v7, s4, v38, 0
	v_fma_mixlo_f16 v8, s4, v39, 0
	v_lshlrev_b32_e32 v8, 16, v8
	v_and_b32_e32 v7, 0xffff, v7
	v_or3_b32 v7, v8, v7, 0
	s_waitcnt vmcnt(0)
	v_fma_mixlo_f16 v8, s4, v40, 0
	v_fma_mixlo_f16 v9, s4, v41, 0
	v_lshlrev_b32_e32 v9, 16, v9
	v_and_b32_e32 v8, 0xffff, v8
	v_or_b32_e32 v8, v9, v8
	v_fma_mixlo_f16 v9, s4, v42, 0
	v_fma_mixlo_f16 v10, s4, v43, 0
	v_lshlrev_b32_e32 v10, 16, v10
	v_and_b32_e32 v9, 0xffff, v9
	v_or3_b32 v6, 0, 0, v6
	v_or3_b32 v9, v10, v9, 0
	;; [unrolled: 1-line block ×3, first 2 shown]
	ds_write2_b64 v3, v[6:7], v[8:9] offset0:64 offset1:96
	s_waitcnt lgkmcnt(0)
	s_barrier
	s_cbranch_scc1 .LBB30_4
; %bb.3:
	s_load_dword s4, s[0:1], 0xd0
	s_mov_b32 s5, 0
	s_waitcnt lgkmcnt(0)
	s_mul_i32 s4, s4, s30
	s_add_i32 s4, s4, s2
	s_lshl_b64 s[4:5], s[4:5], 2
	s_add_u32 s4, s14, s4
	s_addc_u32 s5, s15, s5
	s_load_dword s24, s[4:5], 0x0
.LBB30_4:
	s_lshl_b32 s2, s3, 6
	v_lshlrev_b32_e32 v21, 2, v4
	s_waitcnt lgkmcnt(0)
	s_cmp_lt_i32 s2, s24
	v_mbcnt_lo_u32_b32 v3, -1, 0
	s_cbranch_scc1 .LBB30_19
; %bb.5:
	v_mbcnt_hi_u32_b32 v15, -1, v3
	v_and_b32_e32 v6, 0x60, v15
	v_add_u32_e32 v50, 32, v6
	v_xor_b32_e32 v55, 16, v15
	v_xor_b32_e32 v51, 8, v15
	;; [unrolled: 1-line block ×5, first 2 shown]
	s_cbranch_execz .LBB30_20
; %bb.6:
	v_mov_b32_e32 v7, 0
	v_mov_b32_e32 v19, 0xfeffffff
	;; [unrolled: 1-line block ×20, first 2 shown]
.LBB30_7:
	v_cmp_lt_i32_e32 vcc, v55, v50
	s_cmp_lg_u64 s[12:13], 0
	s_cselect_b64 s[4:5], -1, 0
	v_cndmask_b32_e32 v0, v15, v55, vcc
	v_lshlrev_b32_e32 v1, 2, v0
	ds_bpermute_b32 v0, v1, v6
	ds_bpermute_b32 v1, v1, v7
	v_cmp_lt_i32_e32 vcc, v51, v50
	s_cmp_eq_u32 s3, 0
	s_cselect_b64 s[6:7], -1, 0
	v_cndmask_b32_e32 v2, v15, v51, vcc
	v_lshlrev_b32_e32 v3, 2, v2
	s_waitcnt lgkmcnt(0)
	v_pk_add_f32 v[0:1], v[6:7], v[0:1]
	ds_bpermute_b32 v2, v3, v0
	ds_bpermute_b32 v3, v3, v1
	v_cmp_lt_i32_e32 vcc, v52, v50
	s_and_b64 s[4:5], s[6:7], s[4:5]
	s_waitcnt lgkmcnt(0)
	v_pk_add_f32 v[0:1], v[0:1], v[2:3]
	v_cndmask_b32_e32 v6, v15, v52, vcc
	v_lshlrev_b32_e32 v6, 2, v6
	ds_bpermute_b32 v2, v6, v0
	ds_bpermute_b32 v3, v6, v1
	v_cmp_lt_i32_e32 vcc, v53, v50
	s_waitcnt lgkmcnt(0)
	v_pk_add_f32 v[0:1], v[0:1], v[2:3]
	v_cndmask_b32_e32 v6, v15, v53, vcc
	v_lshlrev_b32_e32 v6, 2, v6
	ds_bpermute_b32 v2, v6, v0
	ds_bpermute_b32 v3, v6, v1
	v_cmp_lt_i32_e32 vcc, v54, v50
	s_waitcnt lgkmcnt(0)
	v_pk_add_f32 v[0:1], v[0:1], v[2:3]
	v_cndmask_b32_e32 v6, v15, v54, vcc
	v_lshlrev_b32_e32 v6, 2, v6
	ds_bpermute_b32 v2, v6, v0
	ds_bpermute_b32 v3, v6, v1
	s_and_b64 vcc, exec, s[4:5]
	s_waitcnt lgkmcnt(0)
	v_pk_add_f32 v[0:1], v[0:1], v[2:3]
	s_cbranch_vccz .LBB30_9
; %bb.8:
	v_add_u32_e32 v2, s25, v20
	v_ashrrev_i32_e32 v3, 31, v2
	v_lshl_add_u64 v[2:3], v[2:3], 2, s[12:13]
	global_load_dwordx2 v[2:3], v[2:3], off
	v_max_f32_e32 v6, v18, v18
	v_max_f32_e32 v7, v19, v19
	s_mov_b32 s2, 0x3fb8aa3b
	s_mov_b32 s4, 0xc2ce8ed0
	;; [unrolled: 1-line block ×3, first 2 shown]
	v_mov_b32_e32 v9, 0x7f800000
	s_waitcnt vmcnt(0)
	v_max_f32_e32 v8, v2, v2
	v_max_f32_e32 v6, v6, v8
	v_max_f32_e32 v10, v3, v3
	v_sub_f32_e32 v8, v18, v6
	v_max_f32_e32 v7, v7, v10
	v_sub_f32_e32 v10, v2, v6
	v_mul_f32_e32 v2, 0x3fb8aa3b, v8
	v_sub_f32_e32 v11, v19, v7
	v_sub_f32_e32 v12, v3, v7
	v_mul_f32_e32 v3, 0x3fb8aa3b, v10
	v_fma_f32 v15, v8, s2, -v2
	v_rndne_f32_e32 v16, v2
	v_mul_f32_e32 v13, 0x3fb8aa3b, v11
	v_fma_f32 v17, v10, s2, -v3
	v_rndne_f32_e32 v18, v3
	v_fmac_f32_e32 v15, 0x32a5705f, v8
	v_sub_f32_e32 v2, v2, v16
	v_mul_f32_e32 v14, 0x3fb8aa3b, v12
	v_fma_f32 v19, v11, s2, -v13
	v_rndne_f32_e32 v22, v13
	v_fmac_f32_e32 v17, 0x32a5705f, v10
	v_sub_f32_e32 v3, v3, v18
	v_add_f32_e32 v2, v2, v15
	v_fma_f32 v23, v12, s2, -v14
	v_rndne_f32_e32 v24, v14
	v_cvt_i32_f32_e32 v16, v16
	v_fmac_f32_e32 v19, 0x32a5705f, v11
	v_sub_f32_e32 v13, v13, v22
	v_add_f32_e32 v3, v3, v17
	v_exp_f32_e32 v2, v2
	v_cvt_i32_f32_e32 v18, v18
	v_fmac_f32_e32 v23, 0x32a5705f, v12
	v_sub_f32_e32 v14, v14, v24
	v_add_f32_e32 v13, v13, v19
	v_exp_f32_e32 v3, v3
	v_cvt_i32_f32_e32 v22, v22
	v_add_f32_e32 v14, v14, v23
	v_exp_f32_e32 v13, v13
	v_cvt_i32_f32_e32 v24, v24
	v_exp_f32_e32 v14, v14
	v_ldexp_f32 v2, v2, v16
	v_cmp_ngt_f32_e32 vcc, s4, v8
	v_ldexp_f32 v3, v3, v18
	v_ldexp_f32 v13, v13, v22
	v_cndmask_b32_e32 v2, 0, v2, vcc
	v_cmp_ngt_f32_e32 vcc, s4, v10
	v_ldexp_f32 v14, v14, v24
	v_mov_b64_e32 v[18:19], v[6:7]
	v_cndmask_b32_e32 v3, 0, v3, vcc
	v_cmp_ngt_f32_e32 vcc, s4, v11
	s_nop 1
	v_cndmask_b32_e32 v13, 0, v13, vcc
	v_cmp_ngt_f32_e32 vcc, s4, v12
	s_nop 1
	v_cndmask_b32_e32 v14, 0, v14, vcc
	v_cmp_nlt_f32_e32 vcc, s5, v8
	s_nop 1
	v_cndmask_b32_e32 v2, v9, v2, vcc
	v_cmp_nlt_f32_e32 vcc, s5, v10
	v_cvt_f16_f32_e32 v10, v2
	s_nop 0
	v_cndmask_b32_e32 v8, v9, v3, vcc
	v_cmp_nlt_f32_e32 vcc, s5, v11
	s_nop 1
	v_cndmask_b32_e32 v3, v9, v13, vcc
	v_cvt_f16_f32_e32 v11, v3
	v_cmp_nlt_f32_e32 vcc, s5, v12
	s_nop 1
	v_cndmask_b32_e32 v9, v9, v14, vcc
	v_pk_fma_f32 v[0:1], v[0:1], v[2:3], v[8:9]
	v_mul_u32_u24_e32 v2, 0x10001, v10
	v_mul_u32_u24_e32 v3, 0x10001, v11
	v_pk_mul_f16 v40, v40, v2
	v_pk_mul_f16 v47, v47, v2
	;; [unrolled: 1-line block ×16, first 2 shown]
.LBB30_9:
	v_cmp_gt_i32_e32 vcc, s22, v5
	s_and_saveexec_b64 s[4:5], vcc
	s_cbranch_execz .LBB30_18
; %bb.10:
	s_load_dword s6, s[0:1], 0xd4
	v_mov_b32_e32 v6, 1.0
	s_waitcnt lgkmcnt(0)
	s_cmp_lg_u32 s6, 1
	s_cselect_b64 s[0:1], -1, 0
	s_cmp_eq_u32 s6, 1
	s_cselect_b64 s[4:5], -1, 0
	s_and_b64 vcc, exec, s[0:1]
	s_cbranch_vccnz .LBB30_12
; %bb.11:
	v_div_scale_f32 v2, s[8:9], v0, v0, 1.0
	v_rcp_f32_e32 v3, v2
	v_div_scale_f32 v6, vcc, 1.0, v0, 1.0
	v_fma_f32 v7, -v2, v3, 1.0
	v_fmac_f32_e32 v3, v7, v3
	v_mul_f32_e32 v7, v6, v3
	v_fma_f32 v8, -v2, v7, v6
	v_fmac_f32_e32 v7, v8, v3
	v_fma_f32 v2, -v2, v7, v6
	v_div_fmas_f32 v2, v2, v3, v7
	v_div_fixup_f32 v6, v2, v0, 1.0
.LBB30_12:
	s_mul_i32 s30, s30, s22
	v_add_u32_e32 v2, s30, v5
	v_mul_lo_u32 v2, v2, s23
	v_add3_u32 v2, s25, v20, v2
	v_cvt_f32_f16_sdwa v9, v40 dst_sel:DWORD dst_unused:UNUSED_PAD src0_sel:WORD_1
	v_cvt_f32_f16_e32 v8, v40
	v_cvt_f32_f16_sdwa v11, v47 dst_sel:DWORD dst_unused:UNUSED_PAD src0_sel:WORD_1
	v_cvt_f32_f16_e32 v10, v47
	v_mul_lo_u32 v2, s6, v2
	v_add_u32_e32 v2, s3, v2
	v_cmp_eq_u32_e32 vcc, 0, v4
	v_lshl_add_u32 v4, v2, 9, v21
	v_mov_b32_e32 v5, 0
	v_lshl_add_u64 v[12:13], v[4:5], 2, s[16:17]
	v_pk_mul_f32 v[8:9], v[6:7], v[8:9] op_sel_hi:[0,1]
	v_pk_mul_f32 v[10:11], v[6:7], v[10:11] op_sel_hi:[0,1]
	global_store_dwordx4 v[12:13], v[8:11], off
	v_cvt_f32_f16_sdwa v13, v45 dst_sel:DWORD dst_unused:UNUSED_PAD src0_sel:WORD_1
	v_cvt_f32_f16_e32 v12, v45
	v_cvt_f32_f16_sdwa v11, v46 dst_sel:DWORD dst_unused:UNUSED_PAD src0_sel:WORD_1
	v_cvt_f32_f16_e32 v10, v46
	v_add_u32_e32 v8, 0x80, v4
	v_mov_b32_e32 v9, v5
	v_lshl_add_u64 v[14:15], v[8:9], 2, s[16:17]
	v_pk_mul_f32 v[8:9], v[6:7], v[10:11] op_sel_hi:[0,1]
	v_pk_mul_f32 v[10:11], v[6:7], v[12:13] op_sel_hi:[0,1]
	global_store_dwordx4 v[14:15], v[8:11], off
	v_cvt_f32_f16_sdwa v13, v43 dst_sel:DWORD dst_unused:UNUSED_PAD src0_sel:WORD_1
	v_cvt_f32_f16_e32 v12, v43
	v_cvt_f32_f16_sdwa v11, v44 dst_sel:DWORD dst_unused:UNUSED_PAD src0_sel:WORD_1
	v_cvt_f32_f16_e32 v10, v44
	v_add_u32_e32 v8, 0x100, v4
	v_mov_b32_e32 v9, v5
	v_lshl_add_u64 v[14:15], v[8:9], 2, s[16:17]
	v_pk_mul_f32 v[8:9], v[6:7], v[10:11] op_sel_hi:[0,1]
	v_pk_mul_f32 v[10:11], v[6:7], v[12:13] op_sel_hi:[0,1]
	global_store_dwordx4 v[14:15], v[8:11], off
	v_add_u32_e32 v4, 0x180, v4
	s_and_b64 s[0:1], vcc, s[0:1]
	v_cvt_f32_f16_sdwa v9, v42 dst_sel:DWORD dst_unused:UNUSED_PAD src0_sel:WORD_1
	v_cvt_f32_f16_e32 v8, v42
	v_cvt_f32_f16_sdwa v11, v41 dst_sel:DWORD dst_unused:UNUSED_PAD src0_sel:WORD_1
	v_cvt_f32_f16_e32 v10, v41
	v_lshl_add_u64 v[12:13], v[4:5], 2, s[16:17]
	v_pk_mul_f32 v[4:5], v[6:7], v[8:9] op_sel_hi:[0,1]
	v_pk_mul_f32 v[6:7], v[6:7], v[10:11] op_sel_hi:[0,1]
	global_store_dwordx4 v[12:13], v[4:7], off
	s_and_saveexec_b64 s[2:3], s[0:1]
	s_cbranch_execz .LBB30_14
; %bb.13:
	v_ashrrev_i32_e32 v3, 31, v2
	v_lshl_add_u64 v[4:5], v[2:3], 3, s[18:19]
	v_mov_b32_e32 v6, v18
	v_mov_b32_e32 v7, v0
	global_store_dwordx2 v[4:5], v[6:7], off
.LBB30_14:
	s_or_b64 exec, exec, s[2:3]
	s_andn2_b64 vcc, exec, s[4:5]
	v_mov_b32_e32 v0, 1.0
	s_cbranch_vccnz .LBB30_16
; %bb.15:
	v_div_scale_f32 v0, s[2:3], v1, v1, 1.0
	v_rcp_f32_e32 v3, v0
	v_div_scale_f32 v4, vcc, 1.0, v1, 1.0
	v_fma_f32 v5, -v0, v3, 1.0
	v_fmac_f32_e32 v3, v5, v3
	v_mul_f32_e32 v5, v4, v3
	v_fma_f32 v6, -v0, v5, v4
	v_fmac_f32_e32 v5, v6, v3
	v_fma_f32 v0, -v0, v5, v4
	v_div_fmas_f32 v0, v0, v3, v5
	v_div_fixup_f32 v0, v0, v1, 1.0
.LBB30_16:
	v_cvt_f32_f16_sdwa v5, v36 dst_sel:DWORD dst_unused:UNUSED_PAD src0_sel:WORD_1
	v_cvt_f32_f16_e32 v4, v36
	v_cvt_f32_f16_sdwa v7, v39 dst_sel:DWORD dst_unused:UNUSED_PAD src0_sel:WORD_1
	v_cvt_f32_f16_e32 v6, v39
	v_add_u32_e32 v2, s6, v2
	v_lshl_add_u32 v8, v2, 9, v21
	v_mov_b32_e32 v9, 0
	v_lshl_add_u64 v[10:11], v[8:9], 2, s[16:17]
	v_pk_mul_f32 v[4:5], v[0:1], v[4:5] op_sel_hi:[0,1]
	v_pk_mul_f32 v[6:7], v[0:1], v[6:7] op_sel_hi:[0,1]
	global_store_dwordx4 v[10:11], v[4:7], off
	v_cvt_f32_f16_sdwa v11, v37 dst_sel:DWORD dst_unused:UNUSED_PAD src0_sel:WORD_1
	v_cvt_f32_f16_e32 v10, v37
	v_cvt_f32_f16_sdwa v7, v38 dst_sel:DWORD dst_unused:UNUSED_PAD src0_sel:WORD_1
	v_cvt_f32_f16_e32 v6, v38
	v_add_u32_e32 v4, 0x80, v8
	v_mov_b32_e32 v5, v9
	v_lshl_add_u64 v[12:13], v[4:5], 2, s[16:17]
	v_pk_mul_f32 v[4:5], v[0:1], v[6:7] op_sel_hi:[0,1]
	v_pk_mul_f32 v[6:7], v[0:1], v[10:11] op_sel_hi:[0,1]
	global_store_dwordx4 v[12:13], v[4:7], off
	v_cvt_f32_f16_sdwa v11, v35 dst_sel:DWORD dst_unused:UNUSED_PAD src0_sel:WORD_1
	v_cvt_f32_f16_e32 v10, v35
	v_cvt_f32_f16_sdwa v7, v34 dst_sel:DWORD dst_unused:UNUSED_PAD src0_sel:WORD_1
	v_cvt_f32_f16_e32 v6, v34
	v_add_u32_e32 v4, 0x100, v8
	v_mov_b32_e32 v5, v9
	v_lshl_add_u64 v[12:13], v[4:5], 2, s[16:17]
	v_pk_mul_f32 v[4:5], v[0:1], v[6:7] op_sel_hi:[0,1]
	v_pk_mul_f32 v[6:7], v[0:1], v[10:11] op_sel_hi:[0,1]
	global_store_dwordx4 v[12:13], v[4:7], off
	v_add_u32_e32 v8, 0x180, v8
	v_lshl_add_u64 v[8:9], v[8:9], 2, s[16:17]
	v_cvt_f32_f16_sdwa v5, v33 dst_sel:DWORD dst_unused:UNUSED_PAD src0_sel:WORD_1
	v_cvt_f32_f16_e32 v4, v33
	v_cvt_f32_f16_sdwa v7, v32 dst_sel:DWORD dst_unused:UNUSED_PAD src0_sel:WORD_1
	v_cvt_f32_f16_e32 v6, v32
	v_pk_mul_f32 v[4:5], v[0:1], v[4:5] op_sel_hi:[0,1]
	v_pk_mul_f32 v[6:7], v[0:1], v[6:7] op_sel_hi:[0,1]
	global_store_dwordx4 v[8:9], v[4:7], off
	s_and_b64 exec, exec, s[0:1]
	s_cbranch_execz .LBB30_18
; %bb.17:
	v_ashrrev_i32_e32 v3, 31, v2
	v_lshl_add_u64 v[2:3], v[2:3], 3, s[18:19]
	v_mov_b32_e32 v0, v19
	global_store_dwordx2 v[2:3], v[0:1], off
.LBB30_18:
	s_endpgm
.LBB30_19:
                                        ; implicit-def: $vgpr15
                                        ; implicit-def: $vgpr50
                                        ; implicit-def: $vgpr55
                                        ; implicit-def: $vgpr51
                                        ; implicit-def: $vgpr52
                                        ; implicit-def: $vgpr53
                                        ; implicit-def: $vgpr54
.LBB30_20:
	s_sub_i32 s4, 0, s31
	s_mul_i32 s4, s4, s34
	s_mul_hi_u32 s4, s34, s4
	s_add_i32 s34, s34, s4
	s_load_dwordx4 s[36:39], s[0:1], 0x98
	s_load_dword s10, s[0:1], 0x54
	s_load_dwordx2 s[4:5], s[0:1], 0x8c
	s_ashr_i32 s28, s33, 31
	s_abs_i32 s15, s25
	s_waitcnt lgkmcnt(0)
	s_ashr_i32 s11, s38, 2
	s_mul_hi_u32 s33, s36, s30
	s_ashr_i32 s14, s4, 2
	s_ashr_i32 s4, s30, 31
	s_mul_i32 s38, s36, s4
	s_add_i32 s33, s33, s38
	s_mul_i32 s37, s37, s30
	s_ashr_i32 s21, s25, 31
	s_ashr_i32 s29, s29, 1
	s_add_i32 s33, s33, s37
	s_mul_i32 s36, s36, s30
	s_mul_hi_u32 s20, s15, s34
	s_add_u32 s6, s6, s36
	s_addc_u32 s7, s7, s33
	s_xor_b32 s21, s21, s28
	s_mul_i32 s28, s20, s31
	s_sub_i32 s15, s15, s28
	s_add_i32 s28, s20, 1
	s_sub_i32 s33, s15, s31
	s_cmp_ge_u32 s15, s31
	s_cselect_b32 s20, s28, s20
	s_cselect_b32 s15, s33, s15
	s_add_i32 s28, s20, 1
	s_cmp_ge_u32 s15, s31
	s_load_dwordx2 s[34:35], s[0:1], 0xa8
	s_cselect_b32 s15, s28, s20
	s_xor_b32 s15, s15, s21
	s_sub_i32 s21, s15, s21
	s_mul_i32 s5, s21, s5
	s_ashr_i32 s20, s5, 31
	s_add_u32 s15, s6, s5
	s_waitcnt lgkmcnt(0)
	s_mul_hi_u32 s5, s34, s30
	s_mul_i32 s4, s34, s4
	s_addc_u32 s20, s7, s20
	s_add_i32 s4, s5, s4
	s_mul_i32 s5, s35, s30
	s_add_i32 s4, s4, s5
	s_mul_i32 s5, s34, s30
	s_add_u32 s5, s8, s5
	s_mul_i32 s21, s21, s39
	s_addc_u32 s6, s9, s4
	s_ashr_i32 s7, s21, 31
	v_lshrrev_b32_e32 v6, 3, v4
	s_add_u32 s4, s5, s21
	v_lshl_add_u32 v7, v1, 2, v6
	v_and_b32_e32 v6, 28, v21
	s_addc_u32 s5, s6, s7
	v_lshlrev_b32_e32 v8, 2, v6
	s_movk_i32 s6, 0x90
	v_mad_u32_u24 v8, v7, s6, v8
	v_mul_lo_u32 v10, s14, v7
	v_mov_b32_e32 v7, 0x4000
	v_mul_lo_u32 v16, s11, v1
	v_add_u32_e32 v23, 0x4000, v8
	v_add_u32_e32 v24, 0x5200, v8
	v_mad_u32_u24 v25, v4, s6, v7
	v_mad_u64_u32 v[14:15], s[6:7], v2, s29, v[4:5]
	v_mov_b32_e32 v2, 0x6400
	v_lshlrev_b32_e32 v8, 2, v21
	v_ashrrev_i32_e32 v17, 31, v16
	v_mov_b32_e32 v9, 0
	v_lshl_add_u32 v12, s14, 5, v10
	v_lshl_add_u32 v26, v1, 8, v2
	;; [unrolled: 1-line block ×3, first 2 shown]
	v_lshl_add_u64 v[16:17], v[16:17], 2, s[4:5]
	s_add_u32 s4, s0, 0xd0
	v_ashrrev_i32_e32 v11, 31, v10
	v_ashrrev_i32_e32 v13, 31, v12
	v_add_u32_e32 v27, 0x4000, v2
	v_add_u32_e32 v28, 0x4200, v2
	v_or_b32_e32 v29, 0x4000, v0
	s_addc_u32 s5, s1, 0
	v_lshl_add_u64 v[16:17], v[16:17], 0, v[8:9]
	v_mov_b32_e32 v49, 0xfeffffff
	v_lshlrev_b32_e32 v8, 2, v6
	s_mov_b32 s8, 0x3f200000
	s_mov_b32 s9, 0x3fb8aa3b
	;; [unrolled: 1-line block ×4, first 2 shown]
	v_mov_b32_e32 v30, 0x3ca908c9
	s_brev_b32 s29, -2
	s_mov_b32 s31, 0x10001
	v_mov_b32_e32 v31, 0x7f800000
	v_mbcnt_hi_u32_b32 v15, -1, v3
	v_mov_b32_e32 v32, v9
	v_mov_b32_e32 v33, v9
	;; [unrolled: 1-line block ×19, first 2 shown]
                                        ; implicit-def: $vgpr0
                                        ; implicit-def: $vgpr0
	;; [unrolled: 1-line block ×3, first 2 shown]
.LBB30_21:                              ; =>This Inner Loop Header: Depth=1
	s_mul_hi_i32 s7, s2, s14
	s_mul_i32 s6, s2, s14
	s_lshl_b64 s[6:7], s[6:7], 2
	s_add_u32 s6, s15, s6
	s_addc_u32 s7, s20, s7
	v_lshl_add_u64 v[0:1], v[10:11], 2, s[6:7]
	v_lshl_add_u64 v[0:1], v[0:1], 0, v[8:9]
	;; [unrolled: 1-line block ×4, first 2 shown]
	global_load_dwordx4 v[52:55], v[0:1], off
	global_load_dwordx4 v[56:59], v[2:3], off
	v_mov_b32_e32 v50, 0
	v_mov_b32_e32 v18, 0
	;; [unrolled: 1-line block ×4, first 2 shown]
	s_waitcnt vmcnt(1)
	ds_write_b128 v23, v[52:55]
	s_waitcnt vmcnt(0)
	ds_write_b128 v24, v[56:59]
	s_waitcnt lgkmcnt(0)
	s_barrier
	ds_read_b128 v[52:55], v25
	ds_read_b128 v[56:59], v22
	ds_read_b128 v[60:63], v25 offset:4608
	ds_read_b128 v[64:67], v22 offset:1024
	s_waitcnt lgkmcnt(2)
	;;#ASMSTART
	v_dot2_f32_f16 v50, v52, v56, v50
	;;#ASMEND
	s_nop 0
	;;#ASMSTART
	v_dot2_f32_f16 v50, v53, v57, v50
	;;#ASMEND
	s_nop 0
	;; [unrolled: 4-line block ×3, first 2 shown]
	;;#ASMSTART
	v_dot2_f32_f16 v50, v55, v59, v50
	;;#ASMEND
	s_waitcnt lgkmcnt(0)
	;;#ASMSTART
	v_dot2_f32_f16 v18, v52, v64, v18
	;;#ASMEND
	s_nop 0
	;;#ASMSTART
	v_dot2_f32_f16 v18, v53, v65, v18
	;;#ASMEND
	s_nop 0
	;;#ASMSTART
	v_dot2_f32_f16 v18, v54, v66, v18
	;;#ASMEND
	s_nop 0
	;;#ASMSTART
	v_dot2_f32_f16 v18, v55, v67, v18
	;;#ASMEND
	;;#ASMSTART
	v_dot2_f32_f16 v51, v60, v56, v51
	;;#ASMEND
	s_nop 0
	;;#ASMSTART
	v_dot2_f32_f16 v51, v61, v57, v51
	;;#ASMEND
	s_nop 0
	;;#ASMSTART
	v_dot2_f32_f16 v51, v62, v58, v51
	;;#ASMEND
	s_nop 0
	;;#ASMSTART
	v_dot2_f32_f16 v51, v63, v59, v51
	;;#ASMEND
	;; [unrolled: 15-line block ×3, first 2 shown]
	ds_read_b128 v[52:55], v22 offset:16
	ds_read_b128 v[56:59], v25 offset:16
	;; [unrolled: 1-line block ×4, first 2 shown]
	s_waitcnt lgkmcnt(2)
	;;#ASMSTART
	v_dot2_f32_f16 v50, v56, v52, v50
	;;#ASMEND
	s_nop 0
	;;#ASMSTART
	v_dot2_f32_f16 v50, v57, v53, v50
	;;#ASMEND
	s_nop 0
	;; [unrolled: 4-line block ×3, first 2 shown]
	;;#ASMSTART
	v_dot2_f32_f16 v50, v59, v55, v50
	;;#ASMEND
	s_waitcnt lgkmcnt(0)
	;;#ASMSTART
	v_dot2_f32_f16 v18, v56, v64, v18
	;;#ASMEND
	s_nop 0
	;;#ASMSTART
	v_dot2_f32_f16 v18, v57, v65, v18
	;;#ASMEND
	s_nop 0
	;;#ASMSTART
	v_dot2_f32_f16 v18, v58, v66, v18
	;;#ASMEND
	s_nop 0
	;;#ASMSTART
	v_dot2_f32_f16 v18, v59, v67, v18
	;;#ASMEND
	;;#ASMSTART
	v_dot2_f32_f16 v51, v60, v52, v51
	;;#ASMEND
	s_nop 0
	;;#ASMSTART
	v_dot2_f32_f16 v51, v61, v53, v51
	;;#ASMEND
	s_nop 0
	;;#ASMSTART
	v_dot2_f32_f16 v51, v62, v54, v51
	;;#ASMEND
	s_nop 0
	;;#ASMSTART
	v_dot2_f32_f16 v51, v63, v55, v51
	;;#ASMEND
	;; [unrolled: 15-line block ×3, first 2 shown]
	ds_read_b128 v[52:55], v22 offset:32
	ds_read_b128 v[56:59], v25 offset:32
	;; [unrolled: 1-line block ×4, first 2 shown]
	s_waitcnt lgkmcnt(2)
	;;#ASMSTART
	v_dot2_f32_f16 v50, v56, v52, v50
	;;#ASMEND
	s_nop 0
	;;#ASMSTART
	v_dot2_f32_f16 v50, v57, v53, v50
	;;#ASMEND
	s_nop 0
	;; [unrolled: 4-line block ×3, first 2 shown]
	;;#ASMSTART
	v_dot2_f32_f16 v50, v59, v55, v50
	;;#ASMEND
	s_waitcnt lgkmcnt(0)
	;;#ASMSTART
	v_dot2_f32_f16 v18, v56, v64, v18
	;;#ASMEND
	s_nop 0
	;;#ASMSTART
	v_dot2_f32_f16 v18, v57, v65, v18
	;;#ASMEND
	s_nop 0
	;;#ASMSTART
	v_dot2_f32_f16 v18, v58, v66, v18
	;;#ASMEND
	s_nop 0
	;;#ASMSTART
	v_dot2_f32_f16 v18, v59, v67, v18
	;;#ASMEND
	;;#ASMSTART
	v_dot2_f32_f16 v51, v60, v52, v51
	;;#ASMEND
	s_nop 0
	;;#ASMSTART
	v_dot2_f32_f16 v51, v61, v53, v51
	;;#ASMEND
	s_nop 0
	;;#ASMSTART
	v_dot2_f32_f16 v51, v62, v54, v51
	;;#ASMEND
	s_nop 0
	;;#ASMSTART
	v_dot2_f32_f16 v51, v63, v55, v51
	;;#ASMEND
	;; [unrolled: 15-line block ×3, first 2 shown]
	ds_read_b128 v[52:55], v22 offset:48
	ds_read_b128 v[56:59], v25 offset:48
	;; [unrolled: 1-line block ×4, first 2 shown]
	s_waitcnt lgkmcnt(2)
	;;#ASMSTART
	v_dot2_f32_f16 v50, v56, v52, v50
	;;#ASMEND
	s_nop 0
	;;#ASMSTART
	v_dot2_f32_f16 v50, v57, v53, v50
	;;#ASMEND
	s_nop 0
	;; [unrolled: 4-line block ×3, first 2 shown]
	;;#ASMSTART
	v_dot2_f32_f16 v50, v59, v55, v50
	;;#ASMEND
	s_waitcnt lgkmcnt(0)
	;;#ASMSTART
	v_dot2_f32_f16 v18, v56, v64, v18
	;;#ASMEND
	s_nop 0
	;;#ASMSTART
	v_dot2_f32_f16 v18, v57, v65, v18
	;;#ASMEND
	s_nop 0
	;;#ASMSTART
	v_dot2_f32_f16 v18, v58, v66, v18
	;;#ASMEND
	s_nop 0
	;;#ASMSTART
	v_dot2_f32_f16 v18, v59, v67, v18
	;;#ASMEND
	;;#ASMSTART
	v_dot2_f32_f16 v51, v60, v52, v51
	;;#ASMEND
	s_nop 0
	;;#ASMSTART
	v_dot2_f32_f16 v51, v61, v53, v51
	;;#ASMEND
	s_nop 0
	;;#ASMSTART
	v_dot2_f32_f16 v51, v62, v54, v51
	;;#ASMEND
	s_nop 0
	;;#ASMSTART
	v_dot2_f32_f16 v51, v63, v55, v51
	;;#ASMEND
	;; [unrolled: 15-line block ×3, first 2 shown]
	ds_read_b128 v[52:55], v22 offset:64
	ds_read_b128 v[56:59], v25 offset:64
	;; [unrolled: 1-line block ×4, first 2 shown]
	s_waitcnt lgkmcnt(2)
	;;#ASMSTART
	v_dot2_f32_f16 v50, v56, v52, v50
	;;#ASMEND
	s_nop 0
	;;#ASMSTART
	v_dot2_f32_f16 v50, v57, v53, v50
	;;#ASMEND
	s_nop 0
	;; [unrolled: 4-line block ×3, first 2 shown]
	;;#ASMSTART
	v_dot2_f32_f16 v50, v59, v55, v50
	;;#ASMEND
	s_waitcnt lgkmcnt(0)
	;;#ASMSTART
	v_dot2_f32_f16 v18, v56, v64, v18
	;;#ASMEND
	s_nop 0
	;;#ASMSTART
	v_dot2_f32_f16 v18, v57, v65, v18
	;;#ASMEND
	s_nop 0
	;;#ASMSTART
	v_dot2_f32_f16 v18, v58, v66, v18
	;;#ASMEND
	s_nop 0
	;;#ASMSTART
	v_dot2_f32_f16 v18, v59, v67, v18
	;;#ASMEND
	;;#ASMSTART
	v_dot2_f32_f16 v51, v60, v52, v51
	;;#ASMEND
	s_nop 0
	;;#ASMSTART
	v_dot2_f32_f16 v51, v61, v53, v51
	;;#ASMEND
	s_nop 0
	;;#ASMSTART
	v_dot2_f32_f16 v51, v62, v54, v51
	;;#ASMEND
	s_nop 0
	;;#ASMSTART
	v_dot2_f32_f16 v51, v63, v55, v51
	;;#ASMEND
	;; [unrolled: 15-line block ×3, first 2 shown]
	ds_read_b128 v[52:55], v22 offset:80
	ds_read_b128 v[56:59], v25 offset:80
	;; [unrolled: 1-line block ×4, first 2 shown]
	s_waitcnt lgkmcnt(2)
	;;#ASMSTART
	v_dot2_f32_f16 v50, v56, v52, v50
	;;#ASMEND
	s_nop 0
	;;#ASMSTART
	v_dot2_f32_f16 v50, v57, v53, v50
	;;#ASMEND
	s_nop 0
	;; [unrolled: 4-line block ×3, first 2 shown]
	;;#ASMSTART
	v_dot2_f32_f16 v50, v59, v55, v50
	;;#ASMEND
	s_waitcnt lgkmcnt(0)
	;;#ASMSTART
	v_dot2_f32_f16 v18, v56, v64, v18
	;;#ASMEND
	s_nop 0
	;;#ASMSTART
	v_dot2_f32_f16 v18, v57, v65, v18
	;;#ASMEND
	s_nop 0
	;;#ASMSTART
	v_dot2_f32_f16 v18, v58, v66, v18
	;;#ASMEND
	s_nop 0
	;;#ASMSTART
	v_dot2_f32_f16 v18, v59, v67, v18
	;;#ASMEND
	;;#ASMSTART
	v_dot2_f32_f16 v51, v60, v52, v51
	;;#ASMEND
	s_nop 0
	;;#ASMSTART
	v_dot2_f32_f16 v51, v61, v53, v51
	;;#ASMEND
	s_nop 0
	;;#ASMSTART
	v_dot2_f32_f16 v51, v62, v54, v51
	;;#ASMEND
	s_nop 0
	;;#ASMSTART
	v_dot2_f32_f16 v51, v63, v55, v51
	;;#ASMEND
	;; [unrolled: 15-line block ×3, first 2 shown]
	ds_read_b128 v[52:55], v22 offset:96
	ds_read_b128 v[56:59], v25 offset:96
	;; [unrolled: 1-line block ×4, first 2 shown]
	s_waitcnt lgkmcnt(2)
	;;#ASMSTART
	v_dot2_f32_f16 v50, v56, v52, v50
	;;#ASMEND
	s_nop 0
	;;#ASMSTART
	v_dot2_f32_f16 v50, v57, v53, v50
	;;#ASMEND
	s_nop 0
	;; [unrolled: 4-line block ×3, first 2 shown]
	;;#ASMSTART
	v_dot2_f32_f16 v50, v59, v55, v50
	;;#ASMEND
	s_waitcnt lgkmcnt(0)
	;;#ASMSTART
	v_dot2_f32_f16 v18, v56, v64, v18
	;;#ASMEND
	s_nop 0
	;;#ASMSTART
	v_dot2_f32_f16 v18, v57, v65, v18
	;;#ASMEND
	s_nop 0
	;;#ASMSTART
	v_dot2_f32_f16 v18, v58, v66, v18
	;;#ASMEND
	s_nop 0
	;;#ASMSTART
	v_dot2_f32_f16 v18, v59, v67, v18
	;;#ASMEND
	;;#ASMSTART
	v_dot2_f32_f16 v51, v60, v52, v51
	;;#ASMEND
	s_nop 0
	;;#ASMSTART
	v_dot2_f32_f16 v51, v61, v53, v51
	;;#ASMEND
	s_nop 0
	;;#ASMSTART
	v_dot2_f32_f16 v51, v62, v54, v51
	;;#ASMEND
	s_nop 0
	;;#ASMSTART
	v_dot2_f32_f16 v51, v63, v55, v51
	;;#ASMEND
	;; [unrolled: 15-line block ×3, first 2 shown]
	ds_read_b128 v[52:55], v22 offset:112
	ds_read_b128 v[56:59], v25 offset:112
	;; [unrolled: 1-line block ×4, first 2 shown]
	s_waitcnt lgkmcnt(2)
	;;#ASMSTART
	v_dot2_f32_f16 v50, v56, v52, v50
	;;#ASMEND
	s_nop 0
	;;#ASMSTART
	v_dot2_f32_f16 v50, v57, v53, v50
	;;#ASMEND
	s_nop 0
	;; [unrolled: 4-line block ×3, first 2 shown]
	;;#ASMSTART
	v_dot2_f32_f16 v50, v59, v55, v50
	;;#ASMEND
	s_waitcnt lgkmcnt(0)
	;;#ASMSTART
	v_dot2_f32_f16 v18, v56, v64, v18
	;;#ASMEND
	s_nop 0
	;;#ASMSTART
	v_dot2_f32_f16 v18, v57, v65, v18
	;;#ASMEND
	s_nop 0
	;;#ASMSTART
	v_dot2_f32_f16 v18, v58, v66, v18
	;;#ASMEND
	s_nop 0
	;;#ASMSTART
	v_dot2_f32_f16 v18, v59, v67, v18
	;;#ASMEND
	;;#ASMSTART
	v_dot2_f32_f16 v51, v60, v52, v51
	;;#ASMEND
	s_nop 0
	;;#ASMSTART
	v_dot2_f32_f16 v51, v61, v53, v51
	;;#ASMEND
	s_nop 0
	;;#ASMSTART
	v_dot2_f32_f16 v51, v62, v54, v51
	;;#ASMEND
	s_nop 0
	;;#ASMSTART
	v_dot2_f32_f16 v51, v63, v55, v51
	;;#ASMEND
	;;#ASMSTART
	v_dot2_f32_f16 v19, v60, v64, v19
	;;#ASMEND
	s_nop 0
	;;#ASMSTART
	v_dot2_f32_f16 v19, v61, v65, v19
	;;#ASMEND
	s_nop 0
	;;#ASMSTART
	v_dot2_f32_f16 v19, v62, v66, v19
	;;#ASMEND
	s_nop 0
	;;#ASMSTART
	v_dot2_f32_f16 v19, v63, v67, v19
	;;#ASMEND
	s_barrier
	global_load_dwordx4 v[52:55], v[0:1], off offset:128
	global_load_dwordx4 v[56:59], v[2:3], off offset:128
	s_waitcnt vmcnt(1)
	ds_write_b128 v23, v[52:55]
	s_waitcnt vmcnt(0)
	ds_write_b128 v24, v[56:59]
	s_waitcnt lgkmcnt(0)
	s_barrier
	ds_read_b128 v[52:55], v22 offset:128
	ds_read_b128 v[56:59], v25
	ds_read_b128 v[60:63], v25 offset:4608
	ds_read_b128 v[64:67], v22 offset:1152
	s_waitcnt lgkmcnt(2)
	;;#ASMSTART
	v_dot2_f32_f16 v50, v56, v52, v50
	;;#ASMEND
	s_nop 0
	;;#ASMSTART
	v_dot2_f32_f16 v50, v57, v53, v50
	;;#ASMEND
	s_nop 0
	;; [unrolled: 4-line block ×3, first 2 shown]
	;;#ASMSTART
	v_dot2_f32_f16 v50, v59, v55, v50
	;;#ASMEND
	s_waitcnt lgkmcnt(0)
	;;#ASMSTART
	v_dot2_f32_f16 v18, v56, v64, v18
	;;#ASMEND
	s_nop 0
	;;#ASMSTART
	v_dot2_f32_f16 v18, v57, v65, v18
	;;#ASMEND
	s_nop 0
	;;#ASMSTART
	v_dot2_f32_f16 v18, v58, v66, v18
	;;#ASMEND
	s_nop 0
	;;#ASMSTART
	v_dot2_f32_f16 v18, v59, v67, v18
	;;#ASMEND
	;;#ASMSTART
	v_dot2_f32_f16 v51, v60, v52, v51
	;;#ASMEND
	s_nop 0
	;;#ASMSTART
	v_dot2_f32_f16 v51, v61, v53, v51
	;;#ASMEND
	s_nop 0
	;;#ASMSTART
	v_dot2_f32_f16 v51, v62, v54, v51
	;;#ASMEND
	s_nop 0
	;;#ASMSTART
	v_dot2_f32_f16 v51, v63, v55, v51
	;;#ASMEND
	;; [unrolled: 15-line block ×3, first 2 shown]
	ds_read_b128 v[52:55], v22 offset:144
	ds_read_b128 v[56:59], v25 offset:16
	;; [unrolled: 1-line block ×4, first 2 shown]
	s_waitcnt lgkmcnt(2)
	;;#ASMSTART
	v_dot2_f32_f16 v50, v56, v52, v50
	;;#ASMEND
	s_nop 0
	;;#ASMSTART
	v_dot2_f32_f16 v50, v57, v53, v50
	;;#ASMEND
	s_nop 0
	;;#ASMSTART
	v_dot2_f32_f16 v50, v58, v54, v50
	;;#ASMEND
	s_nop 0
	;;#ASMSTART
	v_dot2_f32_f16 v50, v59, v55, v50
	;;#ASMEND
	s_waitcnt lgkmcnt(0)
	;;#ASMSTART
	v_dot2_f32_f16 v18, v56, v64, v18
	;;#ASMEND
	s_nop 0
	;;#ASMSTART
	v_dot2_f32_f16 v18, v57, v65, v18
	;;#ASMEND
	s_nop 0
	;;#ASMSTART
	v_dot2_f32_f16 v18, v58, v66, v18
	;;#ASMEND
	s_nop 0
	;;#ASMSTART
	v_dot2_f32_f16 v18, v59, v67, v18
	;;#ASMEND
	;;#ASMSTART
	v_dot2_f32_f16 v51, v60, v52, v51
	;;#ASMEND
	s_nop 0
	;;#ASMSTART
	v_dot2_f32_f16 v51, v61, v53, v51
	;;#ASMEND
	s_nop 0
	;;#ASMSTART
	v_dot2_f32_f16 v51, v62, v54, v51
	;;#ASMEND
	s_nop 0
	;;#ASMSTART
	v_dot2_f32_f16 v51, v63, v55, v51
	;;#ASMEND
	;;#ASMSTART
	v_dot2_f32_f16 v19, v60, v64, v19
	;;#ASMEND
	s_nop 0
	;;#ASMSTART
	v_dot2_f32_f16 v19, v61, v65, v19
	;;#ASMEND
	s_nop 0
	;;#ASMSTART
	v_dot2_f32_f16 v19, v62, v66, v19
	;;#ASMEND
	s_nop 0
	;;#ASMSTART
	v_dot2_f32_f16 v19, v63, v67, v19
	;;#ASMEND
	ds_read_b128 v[52:55], v22 offset:160
	ds_read_b128 v[56:59], v25 offset:32
	;; [unrolled: 1-line block ×4, first 2 shown]
	s_waitcnt lgkmcnt(2)
	;;#ASMSTART
	v_dot2_f32_f16 v50, v56, v52, v50
	;;#ASMEND
	s_nop 0
	;;#ASMSTART
	v_dot2_f32_f16 v50, v57, v53, v50
	;;#ASMEND
	s_nop 0
	;; [unrolled: 4-line block ×3, first 2 shown]
	;;#ASMSTART
	v_dot2_f32_f16 v50, v59, v55, v50
	;;#ASMEND
	s_waitcnt lgkmcnt(0)
	;;#ASMSTART
	v_dot2_f32_f16 v18, v56, v64, v18
	;;#ASMEND
	s_nop 0
	;;#ASMSTART
	v_dot2_f32_f16 v18, v57, v65, v18
	;;#ASMEND
	s_nop 0
	;;#ASMSTART
	v_dot2_f32_f16 v18, v58, v66, v18
	;;#ASMEND
	s_nop 0
	;;#ASMSTART
	v_dot2_f32_f16 v18, v59, v67, v18
	;;#ASMEND
	;;#ASMSTART
	v_dot2_f32_f16 v51, v60, v52, v51
	;;#ASMEND
	s_nop 0
	;;#ASMSTART
	v_dot2_f32_f16 v51, v61, v53, v51
	;;#ASMEND
	s_nop 0
	;;#ASMSTART
	v_dot2_f32_f16 v51, v62, v54, v51
	;;#ASMEND
	s_nop 0
	;;#ASMSTART
	v_dot2_f32_f16 v51, v63, v55, v51
	;;#ASMEND
	;; [unrolled: 15-line block ×3, first 2 shown]
	ds_read_b128 v[52:55], v22 offset:176
	ds_read_b128 v[56:59], v25 offset:48
	;; [unrolled: 1-line block ×4, first 2 shown]
	s_waitcnt lgkmcnt(2)
	;;#ASMSTART
	v_dot2_f32_f16 v50, v56, v52, v50
	;;#ASMEND
	s_nop 0
	;;#ASMSTART
	v_dot2_f32_f16 v50, v57, v53, v50
	;;#ASMEND
	s_nop 0
	;; [unrolled: 4-line block ×3, first 2 shown]
	;;#ASMSTART
	v_dot2_f32_f16 v50, v59, v55, v50
	;;#ASMEND
	s_waitcnt lgkmcnt(0)
	;;#ASMSTART
	v_dot2_f32_f16 v18, v56, v64, v18
	;;#ASMEND
	s_nop 0
	;;#ASMSTART
	v_dot2_f32_f16 v18, v57, v65, v18
	;;#ASMEND
	s_nop 0
	;;#ASMSTART
	v_dot2_f32_f16 v18, v58, v66, v18
	;;#ASMEND
	s_nop 0
	;;#ASMSTART
	v_dot2_f32_f16 v18, v59, v67, v18
	;;#ASMEND
	;;#ASMSTART
	v_dot2_f32_f16 v51, v60, v52, v51
	;;#ASMEND
	s_nop 0
	;;#ASMSTART
	v_dot2_f32_f16 v51, v61, v53, v51
	;;#ASMEND
	s_nop 0
	;;#ASMSTART
	v_dot2_f32_f16 v51, v62, v54, v51
	;;#ASMEND
	s_nop 0
	;;#ASMSTART
	v_dot2_f32_f16 v51, v63, v55, v51
	;;#ASMEND
	;; [unrolled: 15-line block ×3, first 2 shown]
	ds_read_b128 v[52:55], v22 offset:192
	ds_read_b128 v[56:59], v25 offset:64
	;; [unrolled: 1-line block ×4, first 2 shown]
	s_waitcnt lgkmcnt(2)
	;;#ASMSTART
	v_dot2_f32_f16 v50, v56, v52, v50
	;;#ASMEND
	s_nop 0
	;;#ASMSTART
	v_dot2_f32_f16 v50, v57, v53, v50
	;;#ASMEND
	s_nop 0
	;; [unrolled: 4-line block ×3, first 2 shown]
	;;#ASMSTART
	v_dot2_f32_f16 v50, v59, v55, v50
	;;#ASMEND
	s_waitcnt lgkmcnt(0)
	;;#ASMSTART
	v_dot2_f32_f16 v18, v56, v64, v18
	;;#ASMEND
	s_nop 0
	;;#ASMSTART
	v_dot2_f32_f16 v18, v57, v65, v18
	;;#ASMEND
	s_nop 0
	;;#ASMSTART
	v_dot2_f32_f16 v18, v58, v66, v18
	;;#ASMEND
	s_nop 0
	;;#ASMSTART
	v_dot2_f32_f16 v18, v59, v67, v18
	;;#ASMEND
	;;#ASMSTART
	v_dot2_f32_f16 v51, v60, v52, v51
	;;#ASMEND
	s_nop 0
	;;#ASMSTART
	v_dot2_f32_f16 v51, v61, v53, v51
	;;#ASMEND
	s_nop 0
	;;#ASMSTART
	v_dot2_f32_f16 v51, v62, v54, v51
	;;#ASMEND
	s_nop 0
	;;#ASMSTART
	v_dot2_f32_f16 v51, v63, v55, v51
	;;#ASMEND
	;; [unrolled: 15-line block ×3, first 2 shown]
	ds_read_b128 v[52:55], v22 offset:208
	ds_read_b128 v[56:59], v25 offset:80
	ds_read_b128 v[60:63], v25 offset:4688
	ds_read_b128 v[64:67], v22 offset:1232
	s_waitcnt lgkmcnt(2)
	;;#ASMSTART
	v_dot2_f32_f16 v50, v56, v52, v50
	;;#ASMEND
	s_nop 0
	;;#ASMSTART
	v_dot2_f32_f16 v50, v57, v53, v50
	;;#ASMEND
	s_nop 0
	;; [unrolled: 4-line block ×3, first 2 shown]
	;;#ASMSTART
	v_dot2_f32_f16 v50, v59, v55, v50
	;;#ASMEND
	s_waitcnt lgkmcnt(0)
	;;#ASMSTART
	v_dot2_f32_f16 v18, v56, v64, v18
	;;#ASMEND
	s_nop 0
	;;#ASMSTART
	v_dot2_f32_f16 v18, v57, v65, v18
	;;#ASMEND
	s_nop 0
	;;#ASMSTART
	v_dot2_f32_f16 v18, v58, v66, v18
	;;#ASMEND
	s_nop 0
	;;#ASMSTART
	v_dot2_f32_f16 v18, v59, v67, v18
	;;#ASMEND
	;;#ASMSTART
	v_dot2_f32_f16 v51, v60, v52, v51
	;;#ASMEND
	s_nop 0
	;;#ASMSTART
	v_dot2_f32_f16 v51, v61, v53, v51
	;;#ASMEND
	s_nop 0
	;;#ASMSTART
	v_dot2_f32_f16 v51, v62, v54, v51
	;;#ASMEND
	s_nop 0
	;;#ASMSTART
	v_dot2_f32_f16 v51, v63, v55, v51
	;;#ASMEND
	;; [unrolled: 15-line block ×3, first 2 shown]
	ds_read_b128 v[52:55], v22 offset:224
	ds_read_b128 v[56:59], v25 offset:96
	;; [unrolled: 1-line block ×4, first 2 shown]
	s_waitcnt lgkmcnt(2)
	;;#ASMSTART
	v_dot2_f32_f16 v50, v56, v52, v50
	;;#ASMEND
	s_nop 0
	;;#ASMSTART
	v_dot2_f32_f16 v50, v57, v53, v50
	;;#ASMEND
	s_nop 0
	;; [unrolled: 4-line block ×3, first 2 shown]
	;;#ASMSTART
	v_dot2_f32_f16 v50, v59, v55, v50
	;;#ASMEND
	s_waitcnt lgkmcnt(0)
	;;#ASMSTART
	v_dot2_f32_f16 v18, v56, v64, v18
	;;#ASMEND
	s_nop 0
	;;#ASMSTART
	v_dot2_f32_f16 v18, v57, v65, v18
	;;#ASMEND
	s_nop 0
	;;#ASMSTART
	v_dot2_f32_f16 v18, v58, v66, v18
	;;#ASMEND
	s_nop 0
	;;#ASMSTART
	v_dot2_f32_f16 v18, v59, v67, v18
	;;#ASMEND
	;;#ASMSTART
	v_dot2_f32_f16 v51, v60, v52, v51
	;;#ASMEND
	s_nop 0
	;;#ASMSTART
	v_dot2_f32_f16 v51, v61, v53, v51
	;;#ASMEND
	s_nop 0
	;;#ASMSTART
	v_dot2_f32_f16 v51, v62, v54, v51
	;;#ASMEND
	s_nop 0
	;;#ASMSTART
	v_dot2_f32_f16 v51, v63, v55, v51
	;;#ASMEND
	;; [unrolled: 15-line block ×3, first 2 shown]
	ds_read_b128 v[52:55], v22 offset:240
	ds_read_b128 v[56:59], v25 offset:112
	;; [unrolled: 1-line block ×4, first 2 shown]
	s_waitcnt lgkmcnt(2)
	;;#ASMSTART
	v_dot2_f32_f16 v50, v56, v52, v50
	;;#ASMEND
	s_nop 0
	;;#ASMSTART
	v_dot2_f32_f16 v50, v57, v53, v50
	;;#ASMEND
	s_nop 0
	;; [unrolled: 4-line block ×3, first 2 shown]
	;;#ASMSTART
	v_dot2_f32_f16 v50, v59, v55, v50
	;;#ASMEND
	s_waitcnt lgkmcnt(0)
	;;#ASMSTART
	v_dot2_f32_f16 v18, v56, v64, v18
	;;#ASMEND
	s_nop 0
	;;#ASMSTART
	v_dot2_f32_f16 v18, v57, v65, v18
	;;#ASMEND
	s_nop 0
	;;#ASMSTART
	v_dot2_f32_f16 v18, v58, v66, v18
	;;#ASMEND
	s_nop 0
	;;#ASMSTART
	v_dot2_f32_f16 v18, v59, v67, v18
	;;#ASMEND
	;;#ASMSTART
	v_dot2_f32_f16 v51, v60, v52, v51
	;;#ASMEND
	s_nop 0
	;;#ASMSTART
	v_dot2_f32_f16 v51, v61, v53, v51
	;;#ASMEND
	s_nop 0
	;;#ASMSTART
	v_dot2_f32_f16 v51, v62, v54, v51
	;;#ASMEND
	s_nop 0
	;;#ASMSTART
	v_dot2_f32_f16 v51, v63, v55, v51
	;;#ASMEND
	;; [unrolled: 15-line block ×3, first 2 shown]
	s_barrier
	global_load_dwordx4 v[52:55], v[0:1], off offset:256
	global_load_dwordx4 v[56:59], v[2:3], off offset:256
	s_waitcnt vmcnt(1)
	ds_write_b128 v23, v[52:55]
	s_waitcnt vmcnt(0)
	ds_write_b128 v24, v[56:59]
	s_waitcnt lgkmcnt(0)
	s_barrier
	ds_read_b128 v[52:55], v22 offset:256
	ds_read_b128 v[56:59], v25
	ds_read_b128 v[60:63], v25 offset:4608
	ds_read_b128 v[64:67], v22 offset:1280
	s_waitcnt lgkmcnt(2)
	;;#ASMSTART
	v_dot2_f32_f16 v50, v56, v52, v50
	;;#ASMEND
	s_nop 0
	;;#ASMSTART
	v_dot2_f32_f16 v50, v57, v53, v50
	;;#ASMEND
	s_nop 0
	;; [unrolled: 4-line block ×3, first 2 shown]
	;;#ASMSTART
	v_dot2_f32_f16 v50, v59, v55, v50
	;;#ASMEND
	s_waitcnt lgkmcnt(0)
	;;#ASMSTART
	v_dot2_f32_f16 v18, v56, v64, v18
	;;#ASMEND
	s_nop 0
	;;#ASMSTART
	v_dot2_f32_f16 v18, v57, v65, v18
	;;#ASMEND
	s_nop 0
	;;#ASMSTART
	v_dot2_f32_f16 v18, v58, v66, v18
	;;#ASMEND
	s_nop 0
	;;#ASMSTART
	v_dot2_f32_f16 v18, v59, v67, v18
	;;#ASMEND
	;;#ASMSTART
	v_dot2_f32_f16 v51, v60, v52, v51
	;;#ASMEND
	s_nop 0
	;;#ASMSTART
	v_dot2_f32_f16 v51, v61, v53, v51
	;;#ASMEND
	s_nop 0
	;;#ASMSTART
	v_dot2_f32_f16 v51, v62, v54, v51
	;;#ASMEND
	s_nop 0
	;;#ASMSTART
	v_dot2_f32_f16 v51, v63, v55, v51
	;;#ASMEND
	;; [unrolled: 15-line block ×3, first 2 shown]
	ds_read_b128 v[52:55], v22 offset:272
	ds_read_b128 v[56:59], v25 offset:16
	;; [unrolled: 1-line block ×4, first 2 shown]
	s_waitcnt lgkmcnt(2)
	;;#ASMSTART
	v_dot2_f32_f16 v50, v56, v52, v50
	;;#ASMEND
	s_nop 0
	;;#ASMSTART
	v_dot2_f32_f16 v50, v57, v53, v50
	;;#ASMEND
	s_nop 0
	;; [unrolled: 4-line block ×3, first 2 shown]
	;;#ASMSTART
	v_dot2_f32_f16 v50, v59, v55, v50
	;;#ASMEND
	s_waitcnt lgkmcnt(0)
	;;#ASMSTART
	v_dot2_f32_f16 v18, v56, v64, v18
	;;#ASMEND
	s_nop 0
	;;#ASMSTART
	v_dot2_f32_f16 v18, v57, v65, v18
	;;#ASMEND
	s_nop 0
	;;#ASMSTART
	v_dot2_f32_f16 v18, v58, v66, v18
	;;#ASMEND
	s_nop 0
	;;#ASMSTART
	v_dot2_f32_f16 v18, v59, v67, v18
	;;#ASMEND
	;;#ASMSTART
	v_dot2_f32_f16 v51, v60, v52, v51
	;;#ASMEND
	s_nop 0
	;;#ASMSTART
	v_dot2_f32_f16 v51, v61, v53, v51
	;;#ASMEND
	s_nop 0
	;;#ASMSTART
	v_dot2_f32_f16 v51, v62, v54, v51
	;;#ASMEND
	s_nop 0
	;;#ASMSTART
	v_dot2_f32_f16 v51, v63, v55, v51
	;;#ASMEND
	;; [unrolled: 15-line block ×3, first 2 shown]
	ds_read_b128 v[52:55], v22 offset:288
	ds_read_b128 v[56:59], v25 offset:32
	;; [unrolled: 1-line block ×4, first 2 shown]
	s_waitcnt lgkmcnt(2)
	;;#ASMSTART
	v_dot2_f32_f16 v50, v56, v52, v50
	;;#ASMEND
	s_nop 0
	;;#ASMSTART
	v_dot2_f32_f16 v50, v57, v53, v50
	;;#ASMEND
	s_nop 0
	;; [unrolled: 4-line block ×3, first 2 shown]
	;;#ASMSTART
	v_dot2_f32_f16 v50, v59, v55, v50
	;;#ASMEND
	s_waitcnt lgkmcnt(0)
	;;#ASMSTART
	v_dot2_f32_f16 v18, v56, v64, v18
	;;#ASMEND
	s_nop 0
	;;#ASMSTART
	v_dot2_f32_f16 v18, v57, v65, v18
	;;#ASMEND
	s_nop 0
	;;#ASMSTART
	v_dot2_f32_f16 v18, v58, v66, v18
	;;#ASMEND
	s_nop 0
	;;#ASMSTART
	v_dot2_f32_f16 v18, v59, v67, v18
	;;#ASMEND
	;;#ASMSTART
	v_dot2_f32_f16 v51, v60, v52, v51
	;;#ASMEND
	s_nop 0
	;;#ASMSTART
	v_dot2_f32_f16 v51, v61, v53, v51
	;;#ASMEND
	s_nop 0
	;;#ASMSTART
	v_dot2_f32_f16 v51, v62, v54, v51
	;;#ASMEND
	s_nop 0
	;;#ASMSTART
	v_dot2_f32_f16 v51, v63, v55, v51
	;;#ASMEND
	;; [unrolled: 15-line block ×3, first 2 shown]
	ds_read_b128 v[52:55], v22 offset:304
	ds_read_b128 v[56:59], v25 offset:48
	ds_read_b128 v[60:63], v25 offset:4656
	ds_read_b128 v[64:67], v22 offset:1328
	s_waitcnt lgkmcnt(2)
	;;#ASMSTART
	v_dot2_f32_f16 v50, v56, v52, v50
	;;#ASMEND
	s_nop 0
	;;#ASMSTART
	v_dot2_f32_f16 v50, v57, v53, v50
	;;#ASMEND
	s_nop 0
	;;#ASMSTART
	v_dot2_f32_f16 v50, v58, v54, v50
	;;#ASMEND
	s_nop 0
	;;#ASMSTART
	v_dot2_f32_f16 v50, v59, v55, v50
	;;#ASMEND
	s_waitcnt lgkmcnt(0)
	;;#ASMSTART
	v_dot2_f32_f16 v18, v56, v64, v18
	;;#ASMEND
	s_nop 0
	;;#ASMSTART
	v_dot2_f32_f16 v18, v57, v65, v18
	;;#ASMEND
	s_nop 0
	;;#ASMSTART
	v_dot2_f32_f16 v18, v58, v66, v18
	;;#ASMEND
	s_nop 0
	;;#ASMSTART
	v_dot2_f32_f16 v18, v59, v67, v18
	;;#ASMEND
	;;#ASMSTART
	v_dot2_f32_f16 v51, v60, v52, v51
	;;#ASMEND
	s_nop 0
	;;#ASMSTART
	v_dot2_f32_f16 v51, v61, v53, v51
	;;#ASMEND
	s_nop 0
	;;#ASMSTART
	v_dot2_f32_f16 v51, v62, v54, v51
	;;#ASMEND
	s_nop 0
	;;#ASMSTART
	v_dot2_f32_f16 v51, v63, v55, v51
	;;#ASMEND
	;; [unrolled: 15-line block ×3, first 2 shown]
	ds_read_b128 v[52:55], v22 offset:320
	ds_read_b128 v[56:59], v25 offset:64
	;; [unrolled: 1-line block ×4, first 2 shown]
	s_waitcnt lgkmcnt(2)
	;;#ASMSTART
	v_dot2_f32_f16 v50, v56, v52, v50
	;;#ASMEND
	s_nop 0
	;;#ASMSTART
	v_dot2_f32_f16 v50, v57, v53, v50
	;;#ASMEND
	s_nop 0
	;; [unrolled: 4-line block ×3, first 2 shown]
	;;#ASMSTART
	v_dot2_f32_f16 v50, v59, v55, v50
	;;#ASMEND
	s_waitcnt lgkmcnt(0)
	;;#ASMSTART
	v_dot2_f32_f16 v18, v56, v64, v18
	;;#ASMEND
	s_nop 0
	;;#ASMSTART
	v_dot2_f32_f16 v18, v57, v65, v18
	;;#ASMEND
	s_nop 0
	;;#ASMSTART
	v_dot2_f32_f16 v18, v58, v66, v18
	;;#ASMEND
	s_nop 0
	;;#ASMSTART
	v_dot2_f32_f16 v18, v59, v67, v18
	;;#ASMEND
	;;#ASMSTART
	v_dot2_f32_f16 v51, v60, v52, v51
	;;#ASMEND
	s_nop 0
	;;#ASMSTART
	v_dot2_f32_f16 v51, v61, v53, v51
	;;#ASMEND
	s_nop 0
	;;#ASMSTART
	v_dot2_f32_f16 v51, v62, v54, v51
	;;#ASMEND
	s_nop 0
	;;#ASMSTART
	v_dot2_f32_f16 v51, v63, v55, v51
	;;#ASMEND
	;; [unrolled: 15-line block ×3, first 2 shown]
	ds_read_b128 v[52:55], v22 offset:336
	ds_read_b128 v[56:59], v25 offset:80
	;; [unrolled: 1-line block ×4, first 2 shown]
	s_waitcnt lgkmcnt(2)
	;;#ASMSTART
	v_dot2_f32_f16 v50, v56, v52, v50
	;;#ASMEND
	s_nop 0
	;;#ASMSTART
	v_dot2_f32_f16 v50, v57, v53, v50
	;;#ASMEND
	s_nop 0
	;; [unrolled: 4-line block ×3, first 2 shown]
	;;#ASMSTART
	v_dot2_f32_f16 v50, v59, v55, v50
	;;#ASMEND
	s_waitcnt lgkmcnt(0)
	;;#ASMSTART
	v_dot2_f32_f16 v18, v56, v64, v18
	;;#ASMEND
	s_nop 0
	;;#ASMSTART
	v_dot2_f32_f16 v18, v57, v65, v18
	;;#ASMEND
	s_nop 0
	;;#ASMSTART
	v_dot2_f32_f16 v18, v58, v66, v18
	;;#ASMEND
	s_nop 0
	;;#ASMSTART
	v_dot2_f32_f16 v18, v59, v67, v18
	;;#ASMEND
	;;#ASMSTART
	v_dot2_f32_f16 v51, v60, v52, v51
	;;#ASMEND
	s_nop 0
	;;#ASMSTART
	v_dot2_f32_f16 v51, v61, v53, v51
	;;#ASMEND
	s_nop 0
	;;#ASMSTART
	v_dot2_f32_f16 v51, v62, v54, v51
	;;#ASMEND
	s_nop 0
	;;#ASMSTART
	v_dot2_f32_f16 v51, v63, v55, v51
	;;#ASMEND
	;; [unrolled: 15-line block ×3, first 2 shown]
	ds_read_b128 v[52:55], v22 offset:352
	ds_read_b128 v[56:59], v25 offset:96
	;; [unrolled: 1-line block ×4, first 2 shown]
	s_waitcnt lgkmcnt(2)
	;;#ASMSTART
	v_dot2_f32_f16 v50, v56, v52, v50
	;;#ASMEND
	s_nop 0
	;;#ASMSTART
	v_dot2_f32_f16 v50, v57, v53, v50
	;;#ASMEND
	s_nop 0
	;; [unrolled: 4-line block ×3, first 2 shown]
	;;#ASMSTART
	v_dot2_f32_f16 v50, v59, v55, v50
	;;#ASMEND
	s_waitcnt lgkmcnt(0)
	;;#ASMSTART
	v_dot2_f32_f16 v18, v56, v64, v18
	;;#ASMEND
	s_nop 0
	;;#ASMSTART
	v_dot2_f32_f16 v18, v57, v65, v18
	;;#ASMEND
	s_nop 0
	;;#ASMSTART
	v_dot2_f32_f16 v18, v58, v66, v18
	;;#ASMEND
	s_nop 0
	;;#ASMSTART
	v_dot2_f32_f16 v18, v59, v67, v18
	;;#ASMEND
	;;#ASMSTART
	v_dot2_f32_f16 v51, v60, v52, v51
	;;#ASMEND
	s_nop 0
	;;#ASMSTART
	v_dot2_f32_f16 v51, v61, v53, v51
	;;#ASMEND
	s_nop 0
	;;#ASMSTART
	v_dot2_f32_f16 v51, v62, v54, v51
	;;#ASMEND
	s_nop 0
	;;#ASMSTART
	v_dot2_f32_f16 v51, v63, v55, v51
	;;#ASMEND
	;; [unrolled: 15-line block ×3, first 2 shown]
	ds_read_b128 v[52:55], v22 offset:368
	ds_read_b128 v[56:59], v25 offset:112
	;; [unrolled: 1-line block ×4, first 2 shown]
	s_waitcnt lgkmcnt(2)
	;;#ASMSTART
	v_dot2_f32_f16 v50, v56, v52, v50
	;;#ASMEND
	s_nop 0
	;;#ASMSTART
	v_dot2_f32_f16 v50, v57, v53, v50
	;;#ASMEND
	s_nop 0
	;; [unrolled: 4-line block ×3, first 2 shown]
	;;#ASMSTART
	v_dot2_f32_f16 v50, v59, v55, v50
	;;#ASMEND
	s_waitcnt lgkmcnt(0)
	;;#ASMSTART
	v_dot2_f32_f16 v18, v56, v64, v18
	;;#ASMEND
	s_nop 0
	;;#ASMSTART
	v_dot2_f32_f16 v18, v57, v65, v18
	;;#ASMEND
	s_nop 0
	;;#ASMSTART
	v_dot2_f32_f16 v18, v58, v66, v18
	;;#ASMEND
	s_nop 0
	;;#ASMSTART
	v_dot2_f32_f16 v18, v59, v67, v18
	;;#ASMEND
	;;#ASMSTART
	v_dot2_f32_f16 v51, v60, v52, v51
	;;#ASMEND
	s_nop 0
	;;#ASMSTART
	v_dot2_f32_f16 v51, v61, v53, v51
	;;#ASMEND
	s_nop 0
	;;#ASMSTART
	v_dot2_f32_f16 v51, v62, v54, v51
	;;#ASMEND
	s_nop 0
	;;#ASMSTART
	v_dot2_f32_f16 v51, v63, v55, v51
	;;#ASMEND
	;; [unrolled: 15-line block ×3, first 2 shown]
	s_barrier
	global_load_dwordx4 v[52:55], v[0:1], off offset:384
	global_load_dwordx4 v[56:59], v[2:3], off offset:384
	s_waitcnt vmcnt(1)
	ds_write_b128 v23, v[52:55]
	s_waitcnt vmcnt(0)
	ds_write_b128 v24, v[56:59]
	s_waitcnt lgkmcnt(0)
	s_barrier
	ds_read_b128 v[52:55], v22 offset:384
	ds_read_b128 v[56:59], v25
	ds_read_b128 v[60:63], v25 offset:4608
	ds_read_b128 v[64:67], v22 offset:1408
	s_waitcnt lgkmcnt(2)
	;;#ASMSTART
	v_dot2_f32_f16 v50, v56, v52, v50
	;;#ASMEND
	s_nop 0
	;;#ASMSTART
	v_dot2_f32_f16 v50, v57, v53, v50
	;;#ASMEND
	s_nop 0
	;;#ASMSTART
	v_dot2_f32_f16 v50, v58, v54, v50
	;;#ASMEND
	s_nop 0
	;;#ASMSTART
	v_dot2_f32_f16 v50, v59, v55, v50
	;;#ASMEND
	s_waitcnt lgkmcnt(0)
	;;#ASMSTART
	v_dot2_f32_f16 v18, v56, v64, v18
	;;#ASMEND
	s_nop 0
	;;#ASMSTART
	v_dot2_f32_f16 v18, v57, v65, v18
	;;#ASMEND
	s_nop 0
	;;#ASMSTART
	v_dot2_f32_f16 v18, v58, v66, v18
	;;#ASMEND
	s_nop 0
	;;#ASMSTART
	v_dot2_f32_f16 v18, v59, v67, v18
	;;#ASMEND
	;;#ASMSTART
	v_dot2_f32_f16 v51, v60, v52, v51
	;;#ASMEND
	s_nop 0
	;;#ASMSTART
	v_dot2_f32_f16 v51, v61, v53, v51
	;;#ASMEND
	s_nop 0
	;;#ASMSTART
	v_dot2_f32_f16 v51, v62, v54, v51
	;;#ASMEND
	s_nop 0
	;;#ASMSTART
	v_dot2_f32_f16 v51, v63, v55, v51
	;;#ASMEND
	;;#ASMSTART
	v_dot2_f32_f16 v19, v60, v64, v19
	;;#ASMEND
	s_nop 0
	;;#ASMSTART
	v_dot2_f32_f16 v19, v61, v65, v19
	;;#ASMEND
	s_nop 0
	;;#ASMSTART
	v_dot2_f32_f16 v19, v62, v66, v19
	;;#ASMEND
	s_nop 0
	;;#ASMSTART
	v_dot2_f32_f16 v19, v63, v67, v19
	;;#ASMEND
	ds_read_b128 v[52:55], v22 offset:400
	ds_read_b128 v[56:59], v25 offset:16
	;; [unrolled: 1-line block ×4, first 2 shown]
	s_waitcnt lgkmcnt(2)
	;;#ASMSTART
	v_dot2_f32_f16 v50, v56, v52, v50
	;;#ASMEND
	s_nop 0
	;;#ASMSTART
	v_dot2_f32_f16 v50, v57, v53, v50
	;;#ASMEND
	s_nop 0
	;;#ASMSTART
	v_dot2_f32_f16 v50, v58, v54, v50
	;;#ASMEND
	s_nop 0
	;;#ASMSTART
	v_dot2_f32_f16 v50, v59, v55, v50
	;;#ASMEND
	s_waitcnt lgkmcnt(0)
	;;#ASMSTART
	v_dot2_f32_f16 v18, v56, v64, v18
	;;#ASMEND
	s_nop 0
	;;#ASMSTART
	v_dot2_f32_f16 v18, v57, v65, v18
	;;#ASMEND
	s_nop 0
	;;#ASMSTART
	v_dot2_f32_f16 v18, v58, v66, v18
	;;#ASMEND
	s_nop 0
	;;#ASMSTART
	v_dot2_f32_f16 v18, v59, v67, v18
	;;#ASMEND
	;;#ASMSTART
	v_dot2_f32_f16 v51, v60, v52, v51
	;;#ASMEND
	s_nop 0
	;;#ASMSTART
	v_dot2_f32_f16 v51, v61, v53, v51
	;;#ASMEND
	s_nop 0
	;;#ASMSTART
	v_dot2_f32_f16 v51, v62, v54, v51
	;;#ASMEND
	s_nop 0
	;;#ASMSTART
	v_dot2_f32_f16 v51, v63, v55, v51
	;;#ASMEND
	;; [unrolled: 15-line block ×3, first 2 shown]
	ds_read_b128 v[52:55], v22 offset:416
	ds_read_b128 v[56:59], v25 offset:32
	;; [unrolled: 1-line block ×4, first 2 shown]
	s_waitcnt lgkmcnt(2)
	;;#ASMSTART
	v_dot2_f32_f16 v50, v56, v52, v50
	;;#ASMEND
	s_nop 0
	;;#ASMSTART
	v_dot2_f32_f16 v50, v57, v53, v50
	;;#ASMEND
	s_nop 0
	;; [unrolled: 4-line block ×3, first 2 shown]
	;;#ASMSTART
	v_dot2_f32_f16 v50, v59, v55, v50
	;;#ASMEND
	s_waitcnt lgkmcnt(0)
	;;#ASMSTART
	v_dot2_f32_f16 v18, v56, v64, v18
	;;#ASMEND
	s_nop 0
	;;#ASMSTART
	v_dot2_f32_f16 v18, v57, v65, v18
	;;#ASMEND
	s_nop 0
	;;#ASMSTART
	v_dot2_f32_f16 v18, v58, v66, v18
	;;#ASMEND
	s_nop 0
	;;#ASMSTART
	v_dot2_f32_f16 v18, v59, v67, v18
	;;#ASMEND
	;;#ASMSTART
	v_dot2_f32_f16 v51, v60, v52, v51
	;;#ASMEND
	s_nop 0
	;;#ASMSTART
	v_dot2_f32_f16 v51, v61, v53, v51
	;;#ASMEND
	s_nop 0
	;;#ASMSTART
	v_dot2_f32_f16 v51, v62, v54, v51
	;;#ASMEND
	s_nop 0
	;;#ASMSTART
	v_dot2_f32_f16 v51, v63, v55, v51
	;;#ASMEND
	;;#ASMSTART
	v_dot2_f32_f16 v19, v60, v64, v19
	;;#ASMEND
	s_nop 0
	;;#ASMSTART
	v_dot2_f32_f16 v19, v61, v65, v19
	;;#ASMEND
	s_nop 0
	;;#ASMSTART
	v_dot2_f32_f16 v19, v62, v66, v19
	;;#ASMEND
	s_nop 0
	;;#ASMSTART
	v_dot2_f32_f16 v19, v63, v67, v19
	;;#ASMEND
	ds_read_b128 v[52:55], v22 offset:432
	ds_read_b128 v[56:59], v25 offset:48
	;; [unrolled: 1-line block ×4, first 2 shown]
	s_waitcnt lgkmcnt(2)
	;;#ASMSTART
	v_dot2_f32_f16 v50, v56, v52, v50
	;;#ASMEND
	s_nop 0
	;;#ASMSTART
	v_dot2_f32_f16 v50, v57, v53, v50
	;;#ASMEND
	s_nop 0
	;; [unrolled: 4-line block ×3, first 2 shown]
	;;#ASMSTART
	v_dot2_f32_f16 v50, v59, v55, v50
	;;#ASMEND
	s_waitcnt lgkmcnt(0)
	;;#ASMSTART
	v_dot2_f32_f16 v18, v56, v64, v18
	;;#ASMEND
	s_nop 0
	;;#ASMSTART
	v_dot2_f32_f16 v18, v57, v65, v18
	;;#ASMEND
	s_nop 0
	;;#ASMSTART
	v_dot2_f32_f16 v18, v58, v66, v18
	;;#ASMEND
	s_nop 0
	;;#ASMSTART
	v_dot2_f32_f16 v18, v59, v67, v18
	;;#ASMEND
	;;#ASMSTART
	v_dot2_f32_f16 v51, v60, v52, v51
	;;#ASMEND
	s_nop 0
	;;#ASMSTART
	v_dot2_f32_f16 v51, v61, v53, v51
	;;#ASMEND
	s_nop 0
	;;#ASMSTART
	v_dot2_f32_f16 v51, v62, v54, v51
	;;#ASMEND
	s_nop 0
	;;#ASMSTART
	v_dot2_f32_f16 v51, v63, v55, v51
	;;#ASMEND
	;; [unrolled: 15-line block ×3, first 2 shown]
	ds_read_b128 v[52:55], v22 offset:448
	ds_read_b128 v[56:59], v25 offset:64
	;; [unrolled: 1-line block ×4, first 2 shown]
	s_waitcnt lgkmcnt(2)
	;;#ASMSTART
	v_dot2_f32_f16 v50, v56, v52, v50
	;;#ASMEND
	s_nop 0
	;;#ASMSTART
	v_dot2_f32_f16 v50, v57, v53, v50
	;;#ASMEND
	s_nop 0
	;; [unrolled: 4-line block ×3, first 2 shown]
	;;#ASMSTART
	v_dot2_f32_f16 v50, v59, v55, v50
	;;#ASMEND
	s_waitcnt lgkmcnt(0)
	;;#ASMSTART
	v_dot2_f32_f16 v18, v56, v64, v18
	;;#ASMEND
	s_nop 0
	;;#ASMSTART
	v_dot2_f32_f16 v18, v57, v65, v18
	;;#ASMEND
	s_nop 0
	;;#ASMSTART
	v_dot2_f32_f16 v18, v58, v66, v18
	;;#ASMEND
	s_nop 0
	;;#ASMSTART
	v_dot2_f32_f16 v18, v59, v67, v18
	;;#ASMEND
	;;#ASMSTART
	v_dot2_f32_f16 v51, v60, v52, v51
	;;#ASMEND
	s_nop 0
	;;#ASMSTART
	v_dot2_f32_f16 v51, v61, v53, v51
	;;#ASMEND
	s_nop 0
	;;#ASMSTART
	v_dot2_f32_f16 v51, v62, v54, v51
	;;#ASMEND
	s_nop 0
	;;#ASMSTART
	v_dot2_f32_f16 v51, v63, v55, v51
	;;#ASMEND
	;; [unrolled: 15-line block ×3, first 2 shown]
	ds_read_b128 v[52:55], v22 offset:464
	ds_read_b128 v[56:59], v25 offset:80
	;; [unrolled: 1-line block ×4, first 2 shown]
	s_waitcnt lgkmcnt(2)
	;;#ASMSTART
	v_dot2_f32_f16 v50, v56, v52, v50
	;;#ASMEND
	s_nop 0
	;;#ASMSTART
	v_dot2_f32_f16 v50, v57, v53, v50
	;;#ASMEND
	s_nop 0
	;; [unrolled: 4-line block ×3, first 2 shown]
	;;#ASMSTART
	v_dot2_f32_f16 v50, v59, v55, v50
	;;#ASMEND
	s_waitcnt lgkmcnt(0)
	;;#ASMSTART
	v_dot2_f32_f16 v18, v56, v64, v18
	;;#ASMEND
	s_nop 0
	;;#ASMSTART
	v_dot2_f32_f16 v18, v57, v65, v18
	;;#ASMEND
	s_nop 0
	;;#ASMSTART
	v_dot2_f32_f16 v18, v58, v66, v18
	;;#ASMEND
	s_nop 0
	;;#ASMSTART
	v_dot2_f32_f16 v18, v59, v67, v18
	;;#ASMEND
	;;#ASMSTART
	v_dot2_f32_f16 v51, v60, v52, v51
	;;#ASMEND
	s_nop 0
	;;#ASMSTART
	v_dot2_f32_f16 v51, v61, v53, v51
	;;#ASMEND
	s_nop 0
	;;#ASMSTART
	v_dot2_f32_f16 v51, v62, v54, v51
	;;#ASMEND
	s_nop 0
	;;#ASMSTART
	v_dot2_f32_f16 v51, v63, v55, v51
	;;#ASMEND
	;; [unrolled: 15-line block ×3, first 2 shown]
	ds_read_b128 v[52:55], v22 offset:480
	ds_read_b128 v[56:59], v25 offset:96
	;; [unrolled: 1-line block ×4, first 2 shown]
	s_waitcnt lgkmcnt(2)
	;;#ASMSTART
	v_dot2_f32_f16 v50, v56, v52, v50
	;;#ASMEND
	s_nop 0
	;;#ASMSTART
	v_dot2_f32_f16 v50, v57, v53, v50
	;;#ASMEND
	s_nop 0
	;; [unrolled: 4-line block ×3, first 2 shown]
	;;#ASMSTART
	v_dot2_f32_f16 v50, v59, v55, v50
	;;#ASMEND
	s_waitcnt lgkmcnt(0)
	;;#ASMSTART
	v_dot2_f32_f16 v18, v56, v64, v18
	;;#ASMEND
	s_nop 0
	;;#ASMSTART
	v_dot2_f32_f16 v18, v57, v65, v18
	;;#ASMEND
	s_nop 0
	;;#ASMSTART
	v_dot2_f32_f16 v18, v58, v66, v18
	;;#ASMEND
	s_nop 0
	;;#ASMSTART
	v_dot2_f32_f16 v18, v59, v67, v18
	;;#ASMEND
	;;#ASMSTART
	v_dot2_f32_f16 v51, v60, v52, v51
	;;#ASMEND
	s_nop 0
	;;#ASMSTART
	v_dot2_f32_f16 v51, v61, v53, v51
	;;#ASMEND
	s_nop 0
	;;#ASMSTART
	v_dot2_f32_f16 v51, v62, v54, v51
	;;#ASMEND
	s_nop 0
	;;#ASMSTART
	v_dot2_f32_f16 v51, v63, v55, v51
	;;#ASMEND
	;; [unrolled: 15-line block ×3, first 2 shown]
	ds_read_b128 v[52:55], v22 offset:496
	ds_read_b128 v[56:59], v25 offset:112
	;; [unrolled: 1-line block ×4, first 2 shown]
	s_waitcnt lgkmcnt(2)
	;;#ASMSTART
	v_dot2_f32_f16 v50, v56, v52, v50
	;;#ASMEND
	s_nop 0
	;;#ASMSTART
	v_dot2_f32_f16 v50, v57, v53, v50
	;;#ASMEND
	s_nop 0
	;; [unrolled: 4-line block ×3, first 2 shown]
	;;#ASMSTART
	v_dot2_f32_f16 v50, v59, v55, v50
	;;#ASMEND
	s_waitcnt lgkmcnt(0)
	;;#ASMSTART
	v_dot2_f32_f16 v18, v56, v64, v18
	;;#ASMEND
	s_nop 0
	;;#ASMSTART
	v_dot2_f32_f16 v18, v57, v65, v18
	;;#ASMEND
	s_nop 0
	;;#ASMSTART
	v_dot2_f32_f16 v18, v58, v66, v18
	;;#ASMEND
	s_nop 0
	;;#ASMSTART
	v_dot2_f32_f16 v18, v59, v67, v18
	;;#ASMEND
	;;#ASMSTART
	v_dot2_f32_f16 v51, v60, v52, v51
	;;#ASMEND
	s_nop 0
	;;#ASMSTART
	v_dot2_f32_f16 v51, v61, v53, v51
	;;#ASMEND
	s_nop 0
	;;#ASMSTART
	v_dot2_f32_f16 v51, v62, v54, v51
	;;#ASMEND
	s_nop 0
	;;#ASMSTART
	v_dot2_f32_f16 v51, v63, v55, v51
	;;#ASMEND
	;; [unrolled: 15-line block ×3, first 2 shown]
	s_barrier
	global_load_dwordx4 v[52:55], v[0:1], off offset:512
	global_load_dwordx4 v[56:59], v[2:3], off offset:512
	s_waitcnt vmcnt(1)
	ds_write_b128 v23, v[52:55]
	s_waitcnt vmcnt(0)
	ds_write_b128 v24, v[56:59]
	s_waitcnt lgkmcnt(0)
	s_barrier
	ds_read_b128 v[52:55], v22 offset:512
	ds_read_b128 v[56:59], v25
	ds_read_b128 v[60:63], v25 offset:4608
	ds_read_b128 v[64:67], v22 offset:1536
	s_waitcnt lgkmcnt(2)
	;;#ASMSTART
	v_dot2_f32_f16 v50, v56, v52, v50
	;;#ASMEND
	s_nop 0
	;;#ASMSTART
	v_dot2_f32_f16 v50, v57, v53, v50
	;;#ASMEND
	s_nop 0
	;; [unrolled: 4-line block ×3, first 2 shown]
	;;#ASMSTART
	v_dot2_f32_f16 v50, v59, v55, v50
	;;#ASMEND
	s_waitcnt lgkmcnt(0)
	;;#ASMSTART
	v_dot2_f32_f16 v18, v56, v64, v18
	;;#ASMEND
	s_nop 0
	;;#ASMSTART
	v_dot2_f32_f16 v18, v57, v65, v18
	;;#ASMEND
	s_nop 0
	;;#ASMSTART
	v_dot2_f32_f16 v18, v58, v66, v18
	;;#ASMEND
	s_nop 0
	;;#ASMSTART
	v_dot2_f32_f16 v18, v59, v67, v18
	;;#ASMEND
	;;#ASMSTART
	v_dot2_f32_f16 v51, v60, v52, v51
	;;#ASMEND
	s_nop 0
	;;#ASMSTART
	v_dot2_f32_f16 v51, v61, v53, v51
	;;#ASMEND
	s_nop 0
	;;#ASMSTART
	v_dot2_f32_f16 v51, v62, v54, v51
	;;#ASMEND
	s_nop 0
	;;#ASMSTART
	v_dot2_f32_f16 v51, v63, v55, v51
	;;#ASMEND
	;; [unrolled: 15-line block ×3, first 2 shown]
	ds_read_b128 v[52:55], v22 offset:528
	ds_read_b128 v[56:59], v25 offset:16
	;; [unrolled: 1-line block ×4, first 2 shown]
	s_waitcnt lgkmcnt(2)
	;;#ASMSTART
	v_dot2_f32_f16 v50, v56, v52, v50
	;;#ASMEND
	s_nop 0
	;;#ASMSTART
	v_dot2_f32_f16 v50, v57, v53, v50
	;;#ASMEND
	s_nop 0
	;; [unrolled: 4-line block ×3, first 2 shown]
	;;#ASMSTART
	v_dot2_f32_f16 v50, v59, v55, v50
	;;#ASMEND
	s_waitcnt lgkmcnt(0)
	;;#ASMSTART
	v_dot2_f32_f16 v18, v56, v64, v18
	;;#ASMEND
	s_nop 0
	;;#ASMSTART
	v_dot2_f32_f16 v18, v57, v65, v18
	;;#ASMEND
	s_nop 0
	;;#ASMSTART
	v_dot2_f32_f16 v18, v58, v66, v18
	;;#ASMEND
	s_nop 0
	;;#ASMSTART
	v_dot2_f32_f16 v18, v59, v67, v18
	;;#ASMEND
	;;#ASMSTART
	v_dot2_f32_f16 v51, v60, v52, v51
	;;#ASMEND
	s_nop 0
	;;#ASMSTART
	v_dot2_f32_f16 v51, v61, v53, v51
	;;#ASMEND
	s_nop 0
	;;#ASMSTART
	v_dot2_f32_f16 v51, v62, v54, v51
	;;#ASMEND
	s_nop 0
	;;#ASMSTART
	v_dot2_f32_f16 v51, v63, v55, v51
	;;#ASMEND
	;; [unrolled: 15-line block ×3, first 2 shown]
	ds_read_b128 v[52:55], v22 offset:544
	ds_read_b128 v[56:59], v25 offset:32
	;; [unrolled: 1-line block ×4, first 2 shown]
	s_waitcnt lgkmcnt(2)
	;;#ASMSTART
	v_dot2_f32_f16 v50, v56, v52, v50
	;;#ASMEND
	s_nop 0
	;;#ASMSTART
	v_dot2_f32_f16 v50, v57, v53, v50
	;;#ASMEND
	s_nop 0
	;; [unrolled: 4-line block ×3, first 2 shown]
	;;#ASMSTART
	v_dot2_f32_f16 v50, v59, v55, v50
	;;#ASMEND
	s_waitcnt lgkmcnt(0)
	;;#ASMSTART
	v_dot2_f32_f16 v18, v56, v64, v18
	;;#ASMEND
	s_nop 0
	;;#ASMSTART
	v_dot2_f32_f16 v18, v57, v65, v18
	;;#ASMEND
	s_nop 0
	;;#ASMSTART
	v_dot2_f32_f16 v18, v58, v66, v18
	;;#ASMEND
	s_nop 0
	;;#ASMSTART
	v_dot2_f32_f16 v18, v59, v67, v18
	;;#ASMEND
	;;#ASMSTART
	v_dot2_f32_f16 v51, v60, v52, v51
	;;#ASMEND
	s_nop 0
	;;#ASMSTART
	v_dot2_f32_f16 v51, v61, v53, v51
	;;#ASMEND
	s_nop 0
	;;#ASMSTART
	v_dot2_f32_f16 v51, v62, v54, v51
	;;#ASMEND
	s_nop 0
	;;#ASMSTART
	v_dot2_f32_f16 v51, v63, v55, v51
	;;#ASMEND
	;; [unrolled: 15-line block ×3, first 2 shown]
	ds_read_b128 v[52:55], v22 offset:560
	ds_read_b128 v[56:59], v25 offset:48
	;; [unrolled: 1-line block ×4, first 2 shown]
	s_waitcnt lgkmcnt(2)
	;;#ASMSTART
	v_dot2_f32_f16 v50, v56, v52, v50
	;;#ASMEND
	s_nop 0
	;;#ASMSTART
	v_dot2_f32_f16 v50, v57, v53, v50
	;;#ASMEND
	s_nop 0
	;; [unrolled: 4-line block ×3, first 2 shown]
	;;#ASMSTART
	v_dot2_f32_f16 v50, v59, v55, v50
	;;#ASMEND
	s_waitcnt lgkmcnt(0)
	;;#ASMSTART
	v_dot2_f32_f16 v18, v56, v64, v18
	;;#ASMEND
	s_nop 0
	;;#ASMSTART
	v_dot2_f32_f16 v18, v57, v65, v18
	;;#ASMEND
	s_nop 0
	;;#ASMSTART
	v_dot2_f32_f16 v18, v58, v66, v18
	;;#ASMEND
	s_nop 0
	;;#ASMSTART
	v_dot2_f32_f16 v18, v59, v67, v18
	;;#ASMEND
	;;#ASMSTART
	v_dot2_f32_f16 v51, v60, v52, v51
	;;#ASMEND
	s_nop 0
	;;#ASMSTART
	v_dot2_f32_f16 v51, v61, v53, v51
	;;#ASMEND
	s_nop 0
	;;#ASMSTART
	v_dot2_f32_f16 v51, v62, v54, v51
	;;#ASMEND
	s_nop 0
	;;#ASMSTART
	v_dot2_f32_f16 v51, v63, v55, v51
	;;#ASMEND
	;; [unrolled: 15-line block ×3, first 2 shown]
	ds_read_b128 v[52:55], v22 offset:576
	ds_read_b128 v[56:59], v25 offset:64
	;; [unrolled: 1-line block ×4, first 2 shown]
	s_waitcnt lgkmcnt(2)
	;;#ASMSTART
	v_dot2_f32_f16 v50, v56, v52, v50
	;;#ASMEND
	s_nop 0
	;;#ASMSTART
	v_dot2_f32_f16 v50, v57, v53, v50
	;;#ASMEND
	s_nop 0
	;; [unrolled: 4-line block ×3, first 2 shown]
	;;#ASMSTART
	v_dot2_f32_f16 v50, v59, v55, v50
	;;#ASMEND
	s_waitcnt lgkmcnt(0)
	;;#ASMSTART
	v_dot2_f32_f16 v18, v56, v64, v18
	;;#ASMEND
	s_nop 0
	;;#ASMSTART
	v_dot2_f32_f16 v18, v57, v65, v18
	;;#ASMEND
	s_nop 0
	;;#ASMSTART
	v_dot2_f32_f16 v18, v58, v66, v18
	;;#ASMEND
	s_nop 0
	;;#ASMSTART
	v_dot2_f32_f16 v18, v59, v67, v18
	;;#ASMEND
	;;#ASMSTART
	v_dot2_f32_f16 v51, v60, v52, v51
	;;#ASMEND
	s_nop 0
	;;#ASMSTART
	v_dot2_f32_f16 v51, v61, v53, v51
	;;#ASMEND
	s_nop 0
	;;#ASMSTART
	v_dot2_f32_f16 v51, v62, v54, v51
	;;#ASMEND
	s_nop 0
	;;#ASMSTART
	v_dot2_f32_f16 v51, v63, v55, v51
	;;#ASMEND
	;; [unrolled: 15-line block ×3, first 2 shown]
	ds_read_b128 v[52:55], v22 offset:592
	ds_read_b128 v[56:59], v25 offset:80
	;; [unrolled: 1-line block ×4, first 2 shown]
	s_waitcnt lgkmcnt(2)
	;;#ASMSTART
	v_dot2_f32_f16 v50, v56, v52, v50
	;;#ASMEND
	s_nop 0
	;;#ASMSTART
	v_dot2_f32_f16 v50, v57, v53, v50
	;;#ASMEND
	s_nop 0
	;;#ASMSTART
	v_dot2_f32_f16 v50, v58, v54, v50
	;;#ASMEND
	s_nop 0
	;;#ASMSTART
	v_dot2_f32_f16 v50, v59, v55, v50
	;;#ASMEND
	s_waitcnt lgkmcnt(0)
	;;#ASMSTART
	v_dot2_f32_f16 v18, v56, v64, v18
	;;#ASMEND
	s_nop 0
	;;#ASMSTART
	v_dot2_f32_f16 v18, v57, v65, v18
	;;#ASMEND
	s_nop 0
	;;#ASMSTART
	v_dot2_f32_f16 v18, v58, v66, v18
	;;#ASMEND
	s_nop 0
	;;#ASMSTART
	v_dot2_f32_f16 v18, v59, v67, v18
	;;#ASMEND
	;;#ASMSTART
	v_dot2_f32_f16 v51, v60, v52, v51
	;;#ASMEND
	s_nop 0
	;;#ASMSTART
	v_dot2_f32_f16 v51, v61, v53, v51
	;;#ASMEND
	s_nop 0
	;;#ASMSTART
	v_dot2_f32_f16 v51, v62, v54, v51
	;;#ASMEND
	s_nop 0
	;;#ASMSTART
	v_dot2_f32_f16 v51, v63, v55, v51
	;;#ASMEND
	;; [unrolled: 15-line block ×3, first 2 shown]
	ds_read_b128 v[52:55], v22 offset:608
	ds_read_b128 v[56:59], v25 offset:96
	;; [unrolled: 1-line block ×4, first 2 shown]
	s_waitcnt lgkmcnt(2)
	;;#ASMSTART
	v_dot2_f32_f16 v50, v56, v52, v50
	;;#ASMEND
	s_nop 0
	;;#ASMSTART
	v_dot2_f32_f16 v50, v57, v53, v50
	;;#ASMEND
	s_nop 0
	;; [unrolled: 4-line block ×3, first 2 shown]
	;;#ASMSTART
	v_dot2_f32_f16 v50, v59, v55, v50
	;;#ASMEND
	s_waitcnt lgkmcnt(0)
	;;#ASMSTART
	v_dot2_f32_f16 v18, v56, v64, v18
	;;#ASMEND
	s_nop 0
	;;#ASMSTART
	v_dot2_f32_f16 v18, v57, v65, v18
	;;#ASMEND
	s_nop 0
	;;#ASMSTART
	v_dot2_f32_f16 v18, v58, v66, v18
	;;#ASMEND
	s_nop 0
	;;#ASMSTART
	v_dot2_f32_f16 v18, v59, v67, v18
	;;#ASMEND
	;;#ASMSTART
	v_dot2_f32_f16 v51, v60, v52, v51
	;;#ASMEND
	s_nop 0
	;;#ASMSTART
	v_dot2_f32_f16 v51, v61, v53, v51
	;;#ASMEND
	s_nop 0
	;;#ASMSTART
	v_dot2_f32_f16 v51, v62, v54, v51
	;;#ASMEND
	s_nop 0
	;;#ASMSTART
	v_dot2_f32_f16 v51, v63, v55, v51
	;;#ASMEND
	;; [unrolled: 15-line block ×3, first 2 shown]
	ds_read_b128 v[52:55], v22 offset:624
	ds_read_b128 v[56:59], v25 offset:112
	;; [unrolled: 1-line block ×4, first 2 shown]
	s_waitcnt lgkmcnt(2)
	;;#ASMSTART
	v_dot2_f32_f16 v50, v56, v52, v50
	;;#ASMEND
	s_nop 0
	;;#ASMSTART
	v_dot2_f32_f16 v50, v57, v53, v50
	;;#ASMEND
	s_nop 0
	;; [unrolled: 4-line block ×3, first 2 shown]
	;;#ASMSTART
	v_dot2_f32_f16 v50, v59, v55, v50
	;;#ASMEND
	s_waitcnt lgkmcnt(0)
	;;#ASMSTART
	v_dot2_f32_f16 v18, v56, v64, v18
	;;#ASMEND
	s_nop 0
	;;#ASMSTART
	v_dot2_f32_f16 v18, v57, v65, v18
	;;#ASMEND
	s_nop 0
	;;#ASMSTART
	v_dot2_f32_f16 v18, v58, v66, v18
	;;#ASMEND
	s_nop 0
	;;#ASMSTART
	v_dot2_f32_f16 v18, v59, v67, v18
	;;#ASMEND
	;;#ASMSTART
	v_dot2_f32_f16 v51, v60, v52, v51
	;;#ASMEND
	s_nop 0
	;;#ASMSTART
	v_dot2_f32_f16 v51, v61, v53, v51
	;;#ASMEND
	s_nop 0
	;;#ASMSTART
	v_dot2_f32_f16 v51, v62, v54, v51
	;;#ASMEND
	s_nop 0
	;;#ASMSTART
	v_dot2_f32_f16 v51, v63, v55, v51
	;;#ASMEND
	;; [unrolled: 15-line block ×3, first 2 shown]
	s_barrier
	global_load_dwordx4 v[52:55], v[0:1], off offset:640
	global_load_dwordx4 v[56:59], v[2:3], off offset:640
	s_waitcnt vmcnt(1)
	ds_write_b128 v23, v[52:55]
	s_waitcnt vmcnt(0)
	ds_write_b128 v24, v[56:59]
	s_waitcnt lgkmcnt(0)
	s_barrier
	ds_read_b128 v[52:55], v22 offset:640
	ds_read_b128 v[56:59], v25
	ds_read_b128 v[60:63], v25 offset:4608
	ds_read_b128 v[64:67], v22 offset:1664
	s_waitcnt lgkmcnt(2)
	;;#ASMSTART
	v_dot2_f32_f16 v50, v56, v52, v50
	;;#ASMEND
	s_nop 0
	;;#ASMSTART
	v_dot2_f32_f16 v50, v57, v53, v50
	;;#ASMEND
	s_nop 0
	;; [unrolled: 4-line block ×3, first 2 shown]
	;;#ASMSTART
	v_dot2_f32_f16 v50, v59, v55, v50
	;;#ASMEND
	s_waitcnt lgkmcnt(0)
	;;#ASMSTART
	v_dot2_f32_f16 v18, v56, v64, v18
	;;#ASMEND
	s_nop 0
	;;#ASMSTART
	v_dot2_f32_f16 v18, v57, v65, v18
	;;#ASMEND
	s_nop 0
	;;#ASMSTART
	v_dot2_f32_f16 v18, v58, v66, v18
	;;#ASMEND
	s_nop 0
	;;#ASMSTART
	v_dot2_f32_f16 v18, v59, v67, v18
	;;#ASMEND
	;;#ASMSTART
	v_dot2_f32_f16 v51, v60, v52, v51
	;;#ASMEND
	s_nop 0
	;;#ASMSTART
	v_dot2_f32_f16 v51, v61, v53, v51
	;;#ASMEND
	s_nop 0
	;;#ASMSTART
	v_dot2_f32_f16 v51, v62, v54, v51
	;;#ASMEND
	s_nop 0
	;;#ASMSTART
	v_dot2_f32_f16 v51, v63, v55, v51
	;;#ASMEND
	;;#ASMSTART
	v_dot2_f32_f16 v19, v60, v64, v19
	;;#ASMEND
	s_nop 0
	;;#ASMSTART
	v_dot2_f32_f16 v19, v61, v65, v19
	;;#ASMEND
	s_nop 0
	;;#ASMSTART
	v_dot2_f32_f16 v19, v62, v66, v19
	;;#ASMEND
	s_nop 0
	;;#ASMSTART
	v_dot2_f32_f16 v19, v63, v67, v19
	;;#ASMEND
	ds_read_b128 v[52:55], v22 offset:656
	ds_read_b128 v[56:59], v25 offset:16
	;; [unrolled: 1-line block ×4, first 2 shown]
	s_waitcnt lgkmcnt(2)
	;;#ASMSTART
	v_dot2_f32_f16 v50, v56, v52, v50
	;;#ASMEND
	s_nop 0
	;;#ASMSTART
	v_dot2_f32_f16 v50, v57, v53, v50
	;;#ASMEND
	s_nop 0
	;; [unrolled: 4-line block ×3, first 2 shown]
	;;#ASMSTART
	v_dot2_f32_f16 v50, v59, v55, v50
	;;#ASMEND
	s_waitcnt lgkmcnt(0)
	;;#ASMSTART
	v_dot2_f32_f16 v18, v56, v64, v18
	;;#ASMEND
	s_nop 0
	;;#ASMSTART
	v_dot2_f32_f16 v18, v57, v65, v18
	;;#ASMEND
	s_nop 0
	;;#ASMSTART
	v_dot2_f32_f16 v18, v58, v66, v18
	;;#ASMEND
	s_nop 0
	;;#ASMSTART
	v_dot2_f32_f16 v18, v59, v67, v18
	;;#ASMEND
	;;#ASMSTART
	v_dot2_f32_f16 v51, v60, v52, v51
	;;#ASMEND
	s_nop 0
	;;#ASMSTART
	v_dot2_f32_f16 v51, v61, v53, v51
	;;#ASMEND
	s_nop 0
	;;#ASMSTART
	v_dot2_f32_f16 v51, v62, v54, v51
	;;#ASMEND
	s_nop 0
	;;#ASMSTART
	v_dot2_f32_f16 v51, v63, v55, v51
	;;#ASMEND
	;; [unrolled: 15-line block ×3, first 2 shown]
	ds_read_b128 v[52:55], v22 offset:672
	ds_read_b128 v[56:59], v25 offset:32
	;; [unrolled: 1-line block ×4, first 2 shown]
	s_waitcnt lgkmcnt(2)
	;;#ASMSTART
	v_dot2_f32_f16 v50, v56, v52, v50
	;;#ASMEND
	s_nop 0
	;;#ASMSTART
	v_dot2_f32_f16 v50, v57, v53, v50
	;;#ASMEND
	s_nop 0
	;; [unrolled: 4-line block ×3, first 2 shown]
	;;#ASMSTART
	v_dot2_f32_f16 v50, v59, v55, v50
	;;#ASMEND
	s_waitcnt lgkmcnt(0)
	;;#ASMSTART
	v_dot2_f32_f16 v18, v56, v64, v18
	;;#ASMEND
	s_nop 0
	;;#ASMSTART
	v_dot2_f32_f16 v18, v57, v65, v18
	;;#ASMEND
	s_nop 0
	;;#ASMSTART
	v_dot2_f32_f16 v18, v58, v66, v18
	;;#ASMEND
	s_nop 0
	;;#ASMSTART
	v_dot2_f32_f16 v18, v59, v67, v18
	;;#ASMEND
	;;#ASMSTART
	v_dot2_f32_f16 v51, v60, v52, v51
	;;#ASMEND
	s_nop 0
	;;#ASMSTART
	v_dot2_f32_f16 v51, v61, v53, v51
	;;#ASMEND
	s_nop 0
	;;#ASMSTART
	v_dot2_f32_f16 v51, v62, v54, v51
	;;#ASMEND
	s_nop 0
	;;#ASMSTART
	v_dot2_f32_f16 v51, v63, v55, v51
	;;#ASMEND
	;; [unrolled: 15-line block ×3, first 2 shown]
	ds_read_b128 v[52:55], v22 offset:688
	ds_read_b128 v[56:59], v25 offset:48
	;; [unrolled: 1-line block ×4, first 2 shown]
	s_waitcnt lgkmcnt(2)
	;;#ASMSTART
	v_dot2_f32_f16 v50, v56, v52, v50
	;;#ASMEND
	s_nop 0
	;;#ASMSTART
	v_dot2_f32_f16 v50, v57, v53, v50
	;;#ASMEND
	s_nop 0
	;; [unrolled: 4-line block ×3, first 2 shown]
	;;#ASMSTART
	v_dot2_f32_f16 v50, v59, v55, v50
	;;#ASMEND
	s_waitcnt lgkmcnt(0)
	;;#ASMSTART
	v_dot2_f32_f16 v18, v56, v64, v18
	;;#ASMEND
	s_nop 0
	;;#ASMSTART
	v_dot2_f32_f16 v18, v57, v65, v18
	;;#ASMEND
	s_nop 0
	;;#ASMSTART
	v_dot2_f32_f16 v18, v58, v66, v18
	;;#ASMEND
	s_nop 0
	;;#ASMSTART
	v_dot2_f32_f16 v18, v59, v67, v18
	;;#ASMEND
	;;#ASMSTART
	v_dot2_f32_f16 v51, v60, v52, v51
	;;#ASMEND
	s_nop 0
	;;#ASMSTART
	v_dot2_f32_f16 v51, v61, v53, v51
	;;#ASMEND
	s_nop 0
	;;#ASMSTART
	v_dot2_f32_f16 v51, v62, v54, v51
	;;#ASMEND
	s_nop 0
	;;#ASMSTART
	v_dot2_f32_f16 v51, v63, v55, v51
	;;#ASMEND
	;; [unrolled: 15-line block ×3, first 2 shown]
	ds_read_b128 v[52:55], v22 offset:704
	ds_read_b128 v[56:59], v25 offset:64
	;; [unrolled: 1-line block ×4, first 2 shown]
	s_waitcnt lgkmcnt(2)
	;;#ASMSTART
	v_dot2_f32_f16 v50, v56, v52, v50
	;;#ASMEND
	s_nop 0
	;;#ASMSTART
	v_dot2_f32_f16 v50, v57, v53, v50
	;;#ASMEND
	s_nop 0
	;; [unrolled: 4-line block ×3, first 2 shown]
	;;#ASMSTART
	v_dot2_f32_f16 v50, v59, v55, v50
	;;#ASMEND
	s_waitcnt lgkmcnt(0)
	;;#ASMSTART
	v_dot2_f32_f16 v18, v56, v64, v18
	;;#ASMEND
	s_nop 0
	;;#ASMSTART
	v_dot2_f32_f16 v18, v57, v65, v18
	;;#ASMEND
	s_nop 0
	;;#ASMSTART
	v_dot2_f32_f16 v18, v58, v66, v18
	;;#ASMEND
	s_nop 0
	;;#ASMSTART
	v_dot2_f32_f16 v18, v59, v67, v18
	;;#ASMEND
	;;#ASMSTART
	v_dot2_f32_f16 v51, v60, v52, v51
	;;#ASMEND
	s_nop 0
	;;#ASMSTART
	v_dot2_f32_f16 v51, v61, v53, v51
	;;#ASMEND
	s_nop 0
	;;#ASMSTART
	v_dot2_f32_f16 v51, v62, v54, v51
	;;#ASMEND
	s_nop 0
	;;#ASMSTART
	v_dot2_f32_f16 v51, v63, v55, v51
	;;#ASMEND
	;; [unrolled: 15-line block ×3, first 2 shown]
	ds_read_b128 v[52:55], v22 offset:720
	ds_read_b128 v[56:59], v25 offset:80
	ds_read_b128 v[60:63], v25 offset:4688
	ds_read_b128 v[64:67], v22 offset:1744
	s_waitcnt lgkmcnt(2)
	;;#ASMSTART
	v_dot2_f32_f16 v50, v56, v52, v50
	;;#ASMEND
	s_nop 0
	;;#ASMSTART
	v_dot2_f32_f16 v50, v57, v53, v50
	;;#ASMEND
	s_nop 0
	;;#ASMSTART
	v_dot2_f32_f16 v50, v58, v54, v50
	;;#ASMEND
	s_nop 0
	;;#ASMSTART
	v_dot2_f32_f16 v50, v59, v55, v50
	;;#ASMEND
	s_waitcnt lgkmcnt(0)
	;;#ASMSTART
	v_dot2_f32_f16 v18, v56, v64, v18
	;;#ASMEND
	s_nop 0
	;;#ASMSTART
	v_dot2_f32_f16 v18, v57, v65, v18
	;;#ASMEND
	s_nop 0
	;;#ASMSTART
	v_dot2_f32_f16 v18, v58, v66, v18
	;;#ASMEND
	s_nop 0
	;;#ASMSTART
	v_dot2_f32_f16 v18, v59, v67, v18
	;;#ASMEND
	;;#ASMSTART
	v_dot2_f32_f16 v51, v60, v52, v51
	;;#ASMEND
	s_nop 0
	;;#ASMSTART
	v_dot2_f32_f16 v51, v61, v53, v51
	;;#ASMEND
	s_nop 0
	;;#ASMSTART
	v_dot2_f32_f16 v51, v62, v54, v51
	;;#ASMEND
	s_nop 0
	;;#ASMSTART
	v_dot2_f32_f16 v51, v63, v55, v51
	;;#ASMEND
	;; [unrolled: 15-line block ×3, first 2 shown]
	ds_read_b128 v[52:55], v22 offset:736
	ds_read_b128 v[56:59], v25 offset:96
	;; [unrolled: 1-line block ×4, first 2 shown]
	s_waitcnt lgkmcnt(2)
	;;#ASMSTART
	v_dot2_f32_f16 v50, v56, v52, v50
	;;#ASMEND
	s_nop 0
	;;#ASMSTART
	v_dot2_f32_f16 v50, v57, v53, v50
	;;#ASMEND
	s_nop 0
	;; [unrolled: 4-line block ×3, first 2 shown]
	;;#ASMSTART
	v_dot2_f32_f16 v50, v59, v55, v50
	;;#ASMEND
	s_waitcnt lgkmcnt(0)
	;;#ASMSTART
	v_dot2_f32_f16 v18, v56, v64, v18
	;;#ASMEND
	s_nop 0
	;;#ASMSTART
	v_dot2_f32_f16 v18, v57, v65, v18
	;;#ASMEND
	s_nop 0
	;;#ASMSTART
	v_dot2_f32_f16 v18, v58, v66, v18
	;;#ASMEND
	s_nop 0
	;;#ASMSTART
	v_dot2_f32_f16 v18, v59, v67, v18
	;;#ASMEND
	;;#ASMSTART
	v_dot2_f32_f16 v51, v60, v52, v51
	;;#ASMEND
	s_nop 0
	;;#ASMSTART
	v_dot2_f32_f16 v51, v61, v53, v51
	;;#ASMEND
	s_nop 0
	;;#ASMSTART
	v_dot2_f32_f16 v51, v62, v54, v51
	;;#ASMEND
	s_nop 0
	;;#ASMSTART
	v_dot2_f32_f16 v51, v63, v55, v51
	;;#ASMEND
	;; [unrolled: 15-line block ×3, first 2 shown]
	ds_read_b128 v[52:55], v22 offset:752
	ds_read_b128 v[56:59], v25 offset:112
	;; [unrolled: 1-line block ×4, first 2 shown]
	s_waitcnt lgkmcnt(2)
	;;#ASMSTART
	v_dot2_f32_f16 v50, v56, v52, v50
	;;#ASMEND
	s_nop 0
	;;#ASMSTART
	v_dot2_f32_f16 v50, v57, v53, v50
	;;#ASMEND
	s_nop 0
	;; [unrolled: 4-line block ×3, first 2 shown]
	;;#ASMSTART
	v_dot2_f32_f16 v50, v59, v55, v50
	;;#ASMEND
	s_waitcnt lgkmcnt(0)
	;;#ASMSTART
	v_dot2_f32_f16 v18, v56, v64, v18
	;;#ASMEND
	s_nop 0
	;;#ASMSTART
	v_dot2_f32_f16 v18, v57, v65, v18
	;;#ASMEND
	s_nop 0
	;;#ASMSTART
	v_dot2_f32_f16 v18, v58, v66, v18
	;;#ASMEND
	s_nop 0
	;;#ASMSTART
	v_dot2_f32_f16 v18, v59, v67, v18
	;;#ASMEND
	;;#ASMSTART
	v_dot2_f32_f16 v51, v60, v52, v51
	;;#ASMEND
	s_nop 0
	;;#ASMSTART
	v_dot2_f32_f16 v51, v61, v53, v51
	;;#ASMEND
	s_nop 0
	;;#ASMSTART
	v_dot2_f32_f16 v51, v62, v54, v51
	;;#ASMEND
	s_nop 0
	;;#ASMSTART
	v_dot2_f32_f16 v51, v63, v55, v51
	;;#ASMEND
	;; [unrolled: 15-line block ×3, first 2 shown]
	s_barrier
	global_load_dwordx4 v[52:55], v[0:1], off offset:768
	global_load_dwordx4 v[56:59], v[2:3], off offset:768
	s_waitcnt vmcnt(1)
	ds_write_b128 v23, v[52:55]
	s_waitcnt vmcnt(0)
	ds_write_b128 v24, v[56:59]
	s_waitcnt lgkmcnt(0)
	s_barrier
	ds_read_b128 v[52:55], v22 offset:768
	ds_read_b128 v[56:59], v25
	ds_read_b128 v[60:63], v25 offset:4608
	ds_read_b128 v[64:67], v22 offset:1792
	s_waitcnt lgkmcnt(2)
	;;#ASMSTART
	v_dot2_f32_f16 v50, v56, v52, v50
	;;#ASMEND
	s_nop 0
	;;#ASMSTART
	v_dot2_f32_f16 v50, v57, v53, v50
	;;#ASMEND
	s_nop 0
	;; [unrolled: 4-line block ×3, first 2 shown]
	;;#ASMSTART
	v_dot2_f32_f16 v50, v59, v55, v50
	;;#ASMEND
	s_waitcnt lgkmcnt(0)
	;;#ASMSTART
	v_dot2_f32_f16 v18, v56, v64, v18
	;;#ASMEND
	s_nop 0
	;;#ASMSTART
	v_dot2_f32_f16 v18, v57, v65, v18
	;;#ASMEND
	s_nop 0
	;;#ASMSTART
	v_dot2_f32_f16 v18, v58, v66, v18
	;;#ASMEND
	s_nop 0
	;;#ASMSTART
	v_dot2_f32_f16 v18, v59, v67, v18
	;;#ASMEND
	;;#ASMSTART
	v_dot2_f32_f16 v51, v60, v52, v51
	;;#ASMEND
	s_nop 0
	;;#ASMSTART
	v_dot2_f32_f16 v51, v61, v53, v51
	;;#ASMEND
	s_nop 0
	;;#ASMSTART
	v_dot2_f32_f16 v51, v62, v54, v51
	;;#ASMEND
	s_nop 0
	;;#ASMSTART
	v_dot2_f32_f16 v51, v63, v55, v51
	;;#ASMEND
	;; [unrolled: 15-line block ×3, first 2 shown]
	ds_read_b128 v[52:55], v22 offset:784
	ds_read_b128 v[56:59], v25 offset:16
	;; [unrolled: 1-line block ×4, first 2 shown]
	s_waitcnt lgkmcnt(2)
	;;#ASMSTART
	v_dot2_f32_f16 v50, v56, v52, v50
	;;#ASMEND
	s_nop 0
	;;#ASMSTART
	v_dot2_f32_f16 v50, v57, v53, v50
	;;#ASMEND
	s_nop 0
	;; [unrolled: 4-line block ×3, first 2 shown]
	;;#ASMSTART
	v_dot2_f32_f16 v50, v59, v55, v50
	;;#ASMEND
	s_waitcnt lgkmcnt(0)
	;;#ASMSTART
	v_dot2_f32_f16 v18, v56, v64, v18
	;;#ASMEND
	s_nop 0
	;;#ASMSTART
	v_dot2_f32_f16 v18, v57, v65, v18
	;;#ASMEND
	s_nop 0
	;;#ASMSTART
	v_dot2_f32_f16 v18, v58, v66, v18
	;;#ASMEND
	s_nop 0
	;;#ASMSTART
	v_dot2_f32_f16 v18, v59, v67, v18
	;;#ASMEND
	;;#ASMSTART
	v_dot2_f32_f16 v51, v60, v52, v51
	;;#ASMEND
	s_nop 0
	;;#ASMSTART
	v_dot2_f32_f16 v51, v61, v53, v51
	;;#ASMEND
	s_nop 0
	;;#ASMSTART
	v_dot2_f32_f16 v51, v62, v54, v51
	;;#ASMEND
	s_nop 0
	;;#ASMSTART
	v_dot2_f32_f16 v51, v63, v55, v51
	;;#ASMEND
	;; [unrolled: 15-line block ×3, first 2 shown]
	ds_read_b128 v[52:55], v22 offset:800
	ds_read_b128 v[56:59], v25 offset:32
	;; [unrolled: 1-line block ×4, first 2 shown]
	s_waitcnt lgkmcnt(2)
	;;#ASMSTART
	v_dot2_f32_f16 v50, v56, v52, v50
	;;#ASMEND
	s_nop 0
	;;#ASMSTART
	v_dot2_f32_f16 v50, v57, v53, v50
	;;#ASMEND
	s_nop 0
	;; [unrolled: 4-line block ×3, first 2 shown]
	;;#ASMSTART
	v_dot2_f32_f16 v50, v59, v55, v50
	;;#ASMEND
	s_waitcnt lgkmcnt(0)
	;;#ASMSTART
	v_dot2_f32_f16 v18, v56, v64, v18
	;;#ASMEND
	s_nop 0
	;;#ASMSTART
	v_dot2_f32_f16 v18, v57, v65, v18
	;;#ASMEND
	s_nop 0
	;;#ASMSTART
	v_dot2_f32_f16 v18, v58, v66, v18
	;;#ASMEND
	s_nop 0
	;;#ASMSTART
	v_dot2_f32_f16 v18, v59, v67, v18
	;;#ASMEND
	;;#ASMSTART
	v_dot2_f32_f16 v51, v60, v52, v51
	;;#ASMEND
	s_nop 0
	;;#ASMSTART
	v_dot2_f32_f16 v51, v61, v53, v51
	;;#ASMEND
	s_nop 0
	;;#ASMSTART
	v_dot2_f32_f16 v51, v62, v54, v51
	;;#ASMEND
	s_nop 0
	;;#ASMSTART
	v_dot2_f32_f16 v51, v63, v55, v51
	;;#ASMEND
	;; [unrolled: 15-line block ×3, first 2 shown]
	ds_read_b128 v[52:55], v22 offset:816
	ds_read_b128 v[56:59], v25 offset:48
	;; [unrolled: 1-line block ×4, first 2 shown]
	s_waitcnt lgkmcnt(2)
	;;#ASMSTART
	v_dot2_f32_f16 v50, v56, v52, v50
	;;#ASMEND
	s_nop 0
	;;#ASMSTART
	v_dot2_f32_f16 v50, v57, v53, v50
	;;#ASMEND
	s_nop 0
	;; [unrolled: 4-line block ×3, first 2 shown]
	;;#ASMSTART
	v_dot2_f32_f16 v50, v59, v55, v50
	;;#ASMEND
	s_waitcnt lgkmcnt(0)
	;;#ASMSTART
	v_dot2_f32_f16 v18, v56, v64, v18
	;;#ASMEND
	s_nop 0
	;;#ASMSTART
	v_dot2_f32_f16 v18, v57, v65, v18
	;;#ASMEND
	s_nop 0
	;;#ASMSTART
	v_dot2_f32_f16 v18, v58, v66, v18
	;;#ASMEND
	s_nop 0
	;;#ASMSTART
	v_dot2_f32_f16 v18, v59, v67, v18
	;;#ASMEND
	;;#ASMSTART
	v_dot2_f32_f16 v51, v60, v52, v51
	;;#ASMEND
	s_nop 0
	;;#ASMSTART
	v_dot2_f32_f16 v51, v61, v53, v51
	;;#ASMEND
	s_nop 0
	;;#ASMSTART
	v_dot2_f32_f16 v51, v62, v54, v51
	;;#ASMEND
	s_nop 0
	;;#ASMSTART
	v_dot2_f32_f16 v51, v63, v55, v51
	;;#ASMEND
	;; [unrolled: 15-line block ×3, first 2 shown]
	ds_read_b128 v[52:55], v22 offset:832
	ds_read_b128 v[56:59], v25 offset:64
	;; [unrolled: 1-line block ×4, first 2 shown]
	s_waitcnt lgkmcnt(2)
	;;#ASMSTART
	v_dot2_f32_f16 v50, v56, v52, v50
	;;#ASMEND
	s_nop 0
	;;#ASMSTART
	v_dot2_f32_f16 v50, v57, v53, v50
	;;#ASMEND
	s_nop 0
	;; [unrolled: 4-line block ×3, first 2 shown]
	;;#ASMSTART
	v_dot2_f32_f16 v50, v59, v55, v50
	;;#ASMEND
	s_waitcnt lgkmcnt(0)
	;;#ASMSTART
	v_dot2_f32_f16 v18, v56, v64, v18
	;;#ASMEND
	s_nop 0
	;;#ASMSTART
	v_dot2_f32_f16 v18, v57, v65, v18
	;;#ASMEND
	s_nop 0
	;;#ASMSTART
	v_dot2_f32_f16 v18, v58, v66, v18
	;;#ASMEND
	s_nop 0
	;;#ASMSTART
	v_dot2_f32_f16 v18, v59, v67, v18
	;;#ASMEND
	;;#ASMSTART
	v_dot2_f32_f16 v51, v60, v52, v51
	;;#ASMEND
	s_nop 0
	;;#ASMSTART
	v_dot2_f32_f16 v51, v61, v53, v51
	;;#ASMEND
	s_nop 0
	;;#ASMSTART
	v_dot2_f32_f16 v51, v62, v54, v51
	;;#ASMEND
	s_nop 0
	;;#ASMSTART
	v_dot2_f32_f16 v51, v63, v55, v51
	;;#ASMEND
	;;#ASMSTART
	v_dot2_f32_f16 v19, v60, v64, v19
	;;#ASMEND
	s_nop 0
	;;#ASMSTART
	v_dot2_f32_f16 v19, v61, v65, v19
	;;#ASMEND
	s_nop 0
	;;#ASMSTART
	v_dot2_f32_f16 v19, v62, v66, v19
	;;#ASMEND
	s_nop 0
	;;#ASMSTART
	v_dot2_f32_f16 v19, v63, v67, v19
	;;#ASMEND
	ds_read_b128 v[52:55], v22 offset:848
	ds_read_b128 v[56:59], v25 offset:80
	;; [unrolled: 1-line block ×4, first 2 shown]
	s_waitcnt lgkmcnt(2)
	;;#ASMSTART
	v_dot2_f32_f16 v50, v56, v52, v50
	;;#ASMEND
	s_nop 0
	;;#ASMSTART
	v_dot2_f32_f16 v50, v57, v53, v50
	;;#ASMEND
	s_nop 0
	;; [unrolled: 4-line block ×3, first 2 shown]
	;;#ASMSTART
	v_dot2_f32_f16 v50, v59, v55, v50
	;;#ASMEND
	s_waitcnt lgkmcnt(0)
	;;#ASMSTART
	v_dot2_f32_f16 v18, v56, v64, v18
	;;#ASMEND
	s_nop 0
	;;#ASMSTART
	v_dot2_f32_f16 v18, v57, v65, v18
	;;#ASMEND
	s_nop 0
	;;#ASMSTART
	v_dot2_f32_f16 v18, v58, v66, v18
	;;#ASMEND
	s_nop 0
	;;#ASMSTART
	v_dot2_f32_f16 v18, v59, v67, v18
	;;#ASMEND
	;;#ASMSTART
	v_dot2_f32_f16 v51, v60, v52, v51
	;;#ASMEND
	s_nop 0
	;;#ASMSTART
	v_dot2_f32_f16 v51, v61, v53, v51
	;;#ASMEND
	s_nop 0
	;;#ASMSTART
	v_dot2_f32_f16 v51, v62, v54, v51
	;;#ASMEND
	s_nop 0
	;;#ASMSTART
	v_dot2_f32_f16 v51, v63, v55, v51
	;;#ASMEND
	;; [unrolled: 15-line block ×3, first 2 shown]
	ds_read_b128 v[52:55], v22 offset:864
	ds_read_b128 v[56:59], v25 offset:96
	;; [unrolled: 1-line block ×4, first 2 shown]
	s_waitcnt lgkmcnt(2)
	;;#ASMSTART
	v_dot2_f32_f16 v50, v56, v52, v50
	;;#ASMEND
	s_nop 0
	;;#ASMSTART
	v_dot2_f32_f16 v50, v57, v53, v50
	;;#ASMEND
	s_nop 0
	;; [unrolled: 4-line block ×3, first 2 shown]
	;;#ASMSTART
	v_dot2_f32_f16 v50, v59, v55, v50
	;;#ASMEND
	s_waitcnt lgkmcnt(0)
	;;#ASMSTART
	v_dot2_f32_f16 v18, v56, v64, v18
	;;#ASMEND
	s_nop 0
	;;#ASMSTART
	v_dot2_f32_f16 v18, v57, v65, v18
	;;#ASMEND
	s_nop 0
	;;#ASMSTART
	v_dot2_f32_f16 v18, v58, v66, v18
	;;#ASMEND
	s_nop 0
	;;#ASMSTART
	v_dot2_f32_f16 v18, v59, v67, v18
	;;#ASMEND
	;;#ASMSTART
	v_dot2_f32_f16 v51, v60, v52, v51
	;;#ASMEND
	s_nop 0
	;;#ASMSTART
	v_dot2_f32_f16 v51, v61, v53, v51
	;;#ASMEND
	s_nop 0
	;;#ASMSTART
	v_dot2_f32_f16 v51, v62, v54, v51
	;;#ASMEND
	s_nop 0
	;;#ASMSTART
	v_dot2_f32_f16 v51, v63, v55, v51
	;;#ASMEND
	;; [unrolled: 15-line block ×3, first 2 shown]
	ds_read_b128 v[52:55], v22 offset:880
	ds_read_b128 v[56:59], v25 offset:112
	;; [unrolled: 1-line block ×4, first 2 shown]
	s_waitcnt lgkmcnt(2)
	;;#ASMSTART
	v_dot2_f32_f16 v50, v56, v52, v50
	;;#ASMEND
	s_nop 0
	;;#ASMSTART
	v_dot2_f32_f16 v50, v57, v53, v50
	;;#ASMEND
	s_nop 0
	;; [unrolled: 4-line block ×3, first 2 shown]
	;;#ASMSTART
	v_dot2_f32_f16 v50, v59, v55, v50
	;;#ASMEND
	s_waitcnt lgkmcnt(0)
	;;#ASMSTART
	v_dot2_f32_f16 v18, v56, v64, v18
	;;#ASMEND
	s_nop 0
	;;#ASMSTART
	v_dot2_f32_f16 v18, v57, v65, v18
	;;#ASMEND
	s_nop 0
	;;#ASMSTART
	v_dot2_f32_f16 v18, v58, v66, v18
	;;#ASMEND
	s_nop 0
	;;#ASMSTART
	v_dot2_f32_f16 v18, v59, v67, v18
	;;#ASMEND
	;;#ASMSTART
	v_dot2_f32_f16 v51, v60, v52, v51
	;;#ASMEND
	s_nop 0
	;;#ASMSTART
	v_dot2_f32_f16 v51, v61, v53, v51
	;;#ASMEND
	s_nop 0
	;;#ASMSTART
	v_dot2_f32_f16 v51, v62, v54, v51
	;;#ASMEND
	s_nop 0
	;;#ASMSTART
	v_dot2_f32_f16 v51, v63, v55, v51
	;;#ASMEND
	;; [unrolled: 15-line block ×3, first 2 shown]
	s_barrier
	global_load_dwordx4 v[52:55], v[0:1], off offset:896
	global_load_dwordx4 v[56:59], v[2:3], off offset:896
	s_waitcnt vmcnt(1)
	ds_write_b128 v23, v[52:55]
	s_waitcnt vmcnt(0)
	ds_write_b128 v24, v[56:59]
	s_waitcnt lgkmcnt(0)
	s_barrier
	ds_read_b128 v[0:3], v22 offset:896
	ds_read_b128 v[52:55], v25
	ds_read_b128 v[56:59], v25 offset:4608
	ds_read_b128 v[60:63], v22 offset:1920
	s_waitcnt lgkmcnt(2)
	;;#ASMSTART
	v_dot2_f32_f16 v50, v52, v0, v50
	;;#ASMEND
	s_nop 0
	;;#ASMSTART
	v_dot2_f32_f16 v50, v53, v1, v50
	;;#ASMEND
	s_nop 0
	;; [unrolled: 4-line block ×3, first 2 shown]
	;;#ASMSTART
	v_dot2_f32_f16 v50, v55, v3, v50
	;;#ASMEND
	s_waitcnt lgkmcnt(0)
	;;#ASMSTART
	v_dot2_f32_f16 v18, v52, v60, v18
	;;#ASMEND
	s_nop 0
	;;#ASMSTART
	v_dot2_f32_f16 v18, v53, v61, v18
	;;#ASMEND
	s_nop 0
	;;#ASMSTART
	v_dot2_f32_f16 v18, v54, v62, v18
	;;#ASMEND
	s_nop 0
	;;#ASMSTART
	v_dot2_f32_f16 v18, v55, v63, v18
	;;#ASMEND
	;;#ASMSTART
	v_dot2_f32_f16 v51, v56, v0, v51
	;;#ASMEND
	s_nop 0
	;;#ASMSTART
	v_dot2_f32_f16 v51, v57, v1, v51
	;;#ASMEND
	s_nop 0
	;;#ASMSTART
	v_dot2_f32_f16 v51, v58, v2, v51
	;;#ASMEND
	s_nop 0
	;;#ASMSTART
	v_dot2_f32_f16 v51, v59, v3, v51
	;;#ASMEND
	;;#ASMSTART
	v_dot2_f32_f16 v19, v56, v60, v19
	;;#ASMEND
	s_nop 0
	;;#ASMSTART
	v_dot2_f32_f16 v19, v57, v61, v19
	;;#ASMEND
	s_nop 0
	;;#ASMSTART
	v_dot2_f32_f16 v19, v58, v62, v19
	;;#ASMEND
	s_nop 0
	;;#ASMSTART
	v_dot2_f32_f16 v19, v59, v63, v19
	;;#ASMEND
	ds_read_b128 v[0:3], v22 offset:912
	ds_read_b128 v[52:55], v25 offset:16
	;; [unrolled: 1-line block ×4, first 2 shown]
	s_waitcnt lgkmcnt(2)
	;;#ASMSTART
	v_dot2_f32_f16 v50, v52, v0, v50
	;;#ASMEND
	s_nop 0
	;;#ASMSTART
	v_dot2_f32_f16 v50, v53, v1, v50
	;;#ASMEND
	s_nop 0
	;; [unrolled: 4-line block ×3, first 2 shown]
	;;#ASMSTART
	v_dot2_f32_f16 v50, v55, v3, v50
	;;#ASMEND
	s_waitcnt lgkmcnt(0)
	;;#ASMSTART
	v_dot2_f32_f16 v18, v52, v60, v18
	;;#ASMEND
	s_nop 0
	;;#ASMSTART
	v_dot2_f32_f16 v18, v53, v61, v18
	;;#ASMEND
	s_nop 0
	;;#ASMSTART
	v_dot2_f32_f16 v18, v54, v62, v18
	;;#ASMEND
	s_nop 0
	;;#ASMSTART
	v_dot2_f32_f16 v18, v55, v63, v18
	;;#ASMEND
	;;#ASMSTART
	v_dot2_f32_f16 v51, v56, v0, v51
	;;#ASMEND
	s_nop 0
	;;#ASMSTART
	v_dot2_f32_f16 v51, v57, v1, v51
	;;#ASMEND
	s_nop 0
	;;#ASMSTART
	v_dot2_f32_f16 v51, v58, v2, v51
	;;#ASMEND
	s_nop 0
	;;#ASMSTART
	v_dot2_f32_f16 v51, v59, v3, v51
	;;#ASMEND
	;; [unrolled: 15-line block ×3, first 2 shown]
	ds_read_b128 v[0:3], v22 offset:928
	ds_read_b128 v[52:55], v25 offset:32
	;; [unrolled: 1-line block ×4, first 2 shown]
	s_waitcnt lgkmcnt(2)
	;;#ASMSTART
	v_dot2_f32_f16 v50, v52, v0, v50
	;;#ASMEND
	s_nop 0
	;;#ASMSTART
	v_dot2_f32_f16 v50, v53, v1, v50
	;;#ASMEND
	s_nop 0
	;; [unrolled: 4-line block ×3, first 2 shown]
	;;#ASMSTART
	v_dot2_f32_f16 v50, v55, v3, v50
	;;#ASMEND
	s_waitcnt lgkmcnt(0)
	;;#ASMSTART
	v_dot2_f32_f16 v18, v52, v60, v18
	;;#ASMEND
	s_nop 0
	;;#ASMSTART
	v_dot2_f32_f16 v18, v53, v61, v18
	;;#ASMEND
	s_nop 0
	;;#ASMSTART
	v_dot2_f32_f16 v18, v54, v62, v18
	;;#ASMEND
	s_nop 0
	;;#ASMSTART
	v_dot2_f32_f16 v18, v55, v63, v18
	;;#ASMEND
	;;#ASMSTART
	v_dot2_f32_f16 v51, v56, v0, v51
	;;#ASMEND
	s_nop 0
	;;#ASMSTART
	v_dot2_f32_f16 v51, v57, v1, v51
	;;#ASMEND
	s_nop 0
	;;#ASMSTART
	v_dot2_f32_f16 v51, v58, v2, v51
	;;#ASMEND
	s_nop 0
	;;#ASMSTART
	v_dot2_f32_f16 v51, v59, v3, v51
	;;#ASMEND
	;;#ASMSTART
	v_dot2_f32_f16 v19, v56, v60, v19
	;;#ASMEND
	s_nop 0
	;;#ASMSTART
	v_dot2_f32_f16 v19, v57, v61, v19
	;;#ASMEND
	s_nop 0
	;;#ASMSTART
	v_dot2_f32_f16 v19, v58, v62, v19
	;;#ASMEND
	s_nop 0
	;;#ASMSTART
	v_dot2_f32_f16 v19, v59, v63, v19
	;;#ASMEND
	ds_read_b128 v[0:3], v22 offset:944
	ds_read_b128 v[52:55], v25 offset:48
	;; [unrolled: 1-line block ×4, first 2 shown]
	s_waitcnt lgkmcnt(2)
	;;#ASMSTART
	v_dot2_f32_f16 v50, v52, v0, v50
	;;#ASMEND
	s_nop 0
	;;#ASMSTART
	v_dot2_f32_f16 v50, v53, v1, v50
	;;#ASMEND
	s_nop 0
	;; [unrolled: 4-line block ×3, first 2 shown]
	;;#ASMSTART
	v_dot2_f32_f16 v50, v55, v3, v50
	;;#ASMEND
	s_waitcnt lgkmcnt(0)
	;;#ASMSTART
	v_dot2_f32_f16 v18, v52, v60, v18
	;;#ASMEND
	s_nop 0
	;;#ASMSTART
	v_dot2_f32_f16 v18, v53, v61, v18
	;;#ASMEND
	s_nop 0
	;;#ASMSTART
	v_dot2_f32_f16 v18, v54, v62, v18
	;;#ASMEND
	s_nop 0
	;;#ASMSTART
	v_dot2_f32_f16 v18, v55, v63, v18
	;;#ASMEND
	;;#ASMSTART
	v_dot2_f32_f16 v51, v56, v0, v51
	;;#ASMEND
	s_nop 0
	;;#ASMSTART
	v_dot2_f32_f16 v51, v57, v1, v51
	;;#ASMEND
	s_nop 0
	;;#ASMSTART
	v_dot2_f32_f16 v51, v58, v2, v51
	;;#ASMEND
	s_nop 0
	;;#ASMSTART
	v_dot2_f32_f16 v51, v59, v3, v51
	;;#ASMEND
	;;#ASMSTART
	v_dot2_f32_f16 v19, v56, v60, v19
	;;#ASMEND
	s_nop 0
	;;#ASMSTART
	v_dot2_f32_f16 v19, v57, v61, v19
	;;#ASMEND
	s_nop 0
	;;#ASMSTART
	v_dot2_f32_f16 v19, v58, v62, v19
	;;#ASMEND
	s_nop 0
	;;#ASMSTART
	v_dot2_f32_f16 v19, v59, v63, v19
	;;#ASMEND
	ds_read_b128 v[0:3], v22 offset:960
	ds_read_b128 v[52:55], v25 offset:64
	;; [unrolled: 1-line block ×4, first 2 shown]
	s_waitcnt lgkmcnt(2)
	;;#ASMSTART
	v_dot2_f32_f16 v50, v52, v0, v50
	;;#ASMEND
	s_nop 0
	;;#ASMSTART
	v_dot2_f32_f16 v50, v53, v1, v50
	;;#ASMEND
	s_nop 0
	;; [unrolled: 4-line block ×3, first 2 shown]
	;;#ASMSTART
	v_dot2_f32_f16 v50, v55, v3, v50
	;;#ASMEND
	s_waitcnt lgkmcnt(0)
	;;#ASMSTART
	v_dot2_f32_f16 v18, v52, v60, v18
	;;#ASMEND
	s_nop 0
	;;#ASMSTART
	v_dot2_f32_f16 v18, v53, v61, v18
	;;#ASMEND
	s_nop 0
	;;#ASMSTART
	v_dot2_f32_f16 v18, v54, v62, v18
	;;#ASMEND
	s_nop 0
	;;#ASMSTART
	v_dot2_f32_f16 v18, v55, v63, v18
	;;#ASMEND
	;;#ASMSTART
	v_dot2_f32_f16 v51, v56, v0, v51
	;;#ASMEND
	s_nop 0
	;;#ASMSTART
	v_dot2_f32_f16 v51, v57, v1, v51
	;;#ASMEND
	s_nop 0
	;;#ASMSTART
	v_dot2_f32_f16 v51, v58, v2, v51
	;;#ASMEND
	s_nop 0
	;;#ASMSTART
	v_dot2_f32_f16 v51, v59, v3, v51
	;;#ASMEND
	;; [unrolled: 15-line block ×3, first 2 shown]
	ds_read_b128 v[0:3], v22 offset:976
	ds_read_b128 v[52:55], v25 offset:80
	ds_read_b128 v[56:59], v25 offset:4688
	ds_read_b128 v[60:63], v22 offset:2000
	s_waitcnt lgkmcnt(2)
	;;#ASMSTART
	v_dot2_f32_f16 v50, v52, v0, v50
	;;#ASMEND
	s_nop 0
	;;#ASMSTART
	v_dot2_f32_f16 v50, v53, v1, v50
	;;#ASMEND
	s_nop 0
	;; [unrolled: 4-line block ×3, first 2 shown]
	;;#ASMSTART
	v_dot2_f32_f16 v50, v55, v3, v50
	;;#ASMEND
	s_waitcnt lgkmcnt(0)
	;;#ASMSTART
	v_dot2_f32_f16 v18, v52, v60, v18
	;;#ASMEND
	s_nop 0
	;;#ASMSTART
	v_dot2_f32_f16 v18, v53, v61, v18
	;;#ASMEND
	s_nop 0
	;;#ASMSTART
	v_dot2_f32_f16 v18, v54, v62, v18
	;;#ASMEND
	s_nop 0
	;;#ASMSTART
	v_dot2_f32_f16 v18, v55, v63, v18
	;;#ASMEND
	;;#ASMSTART
	v_dot2_f32_f16 v51, v56, v0, v51
	;;#ASMEND
	s_nop 0
	;;#ASMSTART
	v_dot2_f32_f16 v51, v57, v1, v51
	;;#ASMEND
	s_nop 0
	;;#ASMSTART
	v_dot2_f32_f16 v51, v58, v2, v51
	;;#ASMEND
	s_nop 0
	;;#ASMSTART
	v_dot2_f32_f16 v51, v59, v3, v51
	;;#ASMEND
	;; [unrolled: 15-line block ×3, first 2 shown]
	ds_read_b128 v[0:3], v22 offset:992
	ds_read_b128 v[52:55], v25 offset:96
	;; [unrolled: 1-line block ×4, first 2 shown]
	s_waitcnt lgkmcnt(2)
	;;#ASMSTART
	v_dot2_f32_f16 v50, v52, v0, v50
	;;#ASMEND
	s_nop 0
	;;#ASMSTART
	v_dot2_f32_f16 v50, v53, v1, v50
	;;#ASMEND
	s_nop 0
	;;#ASMSTART
	v_dot2_f32_f16 v50, v54, v2, v50
	;;#ASMEND
	s_nop 0
	;;#ASMSTART
	v_dot2_f32_f16 v50, v55, v3, v50
	;;#ASMEND
	s_waitcnt lgkmcnt(0)
	;;#ASMSTART
	v_dot2_f32_f16 v18, v52, v60, v18
	;;#ASMEND
	s_nop 0
	;;#ASMSTART
	v_dot2_f32_f16 v18, v53, v61, v18
	;;#ASMEND
	s_nop 0
	;;#ASMSTART
	v_dot2_f32_f16 v18, v54, v62, v18
	;;#ASMEND
	s_nop 0
	;;#ASMSTART
	v_dot2_f32_f16 v18, v55, v63, v18
	;;#ASMEND
	;;#ASMSTART
	v_dot2_f32_f16 v51, v56, v0, v51
	;;#ASMEND
	s_nop 0
	;;#ASMSTART
	v_dot2_f32_f16 v51, v57, v1, v51
	;;#ASMEND
	s_nop 0
	;;#ASMSTART
	v_dot2_f32_f16 v51, v58, v2, v51
	;;#ASMEND
	s_nop 0
	;;#ASMSTART
	v_dot2_f32_f16 v51, v59, v3, v51
	;;#ASMEND
	;; [unrolled: 15-line block ×3, first 2 shown]
	ds_read_b128 v[0:3], v22 offset:1008
	ds_read_b128 v[52:55], v25 offset:112
	ds_read_b128 v[56:59], v25 offset:4720
	ds_read_b128 v[60:63], v22 offset:2032
	s_waitcnt lgkmcnt(2)
	;;#ASMSTART
	v_dot2_f32_f16 v50, v52, v0, v50
	;;#ASMEND
	s_nop 0
	;;#ASMSTART
	v_dot2_f32_f16 v50, v53, v1, v50
	;;#ASMEND
	s_nop 0
	;; [unrolled: 4-line block ×3, first 2 shown]
	;;#ASMSTART
	v_dot2_f32_f16 v50, v55, v3, v50
	;;#ASMEND
	s_waitcnt lgkmcnt(0)
	;;#ASMSTART
	v_dot2_f32_f16 v18, v52, v60, v18
	;;#ASMEND
	s_nop 0
	;;#ASMSTART
	v_dot2_f32_f16 v18, v53, v61, v18
	;;#ASMEND
	v_cmp_nlt_f32_e64 s[6:7], |v50|, s8
	;;#ASMSTART
	v_dot2_f32_f16 v18, v54, v62, v18
	;;#ASMEND
	s_nop 0
	;;#ASMSTART
	v_dot2_f32_f16 v18, v55, v63, v18
	;;#ASMEND
	;;#ASMSTART
	v_dot2_f32_f16 v51, v56, v0, v51
	;;#ASMEND
	s_nop 0
	;;#ASMSTART
	v_dot2_f32_f16 v51, v57, v1, v51
	;;#ASMEND
	s_nop 0
	;; [unrolled: 4-line block ×3, first 2 shown]
	;;#ASMSTART
	v_dot2_f32_f16 v51, v59, v3, v51
	;;#ASMEND
	;;#ASMSTART
	v_dot2_f32_f16 v19, v56, v60, v19
	;;#ASMEND
                                        ; implicit-def: $vgpr3
	s_nop 0
	;;#ASMSTART
	v_dot2_f32_f16 v19, v57, v61, v19
	;;#ASMEND
	s_nop 0
	;;#ASMSTART
	v_dot2_f32_f16 v19, v58, v62, v19
	;;#ASMEND
	;; [unrolled: 4-line block ×3, first 2 shown]
	s_and_saveexec_b64 s[34:35], s[6:7]
	s_xor_b64 s[6:7], exec, s[34:35]
	s_cbranch_execz .LBB30_23
; %bb.22:                               ;   in Loop: Header=BB30_21 Depth=1
	v_add_f32_e64 v0, |v50|, |v50|
	v_mul_f32_e32 v1, 0x3fb8aa3b, v0
	v_rndne_f32_e32 v2, v1
	v_sub_f32_e32 v3, v1, v2
	v_fma_f32 v1, v0, s9, -v1
	v_fmac_f32_e32 v1, 0x32a5705f, v0
	v_add_f32_e32 v1, v3, v1
	v_cvt_i32_f32_e32 v2, v2
	v_exp_f32_e32 v1, v1
	v_cmp_ngt_f32_e32 vcc, s21, v0
	v_ldexp_f32 v1, v1, v2
	s_nop 0
	v_cndmask_b32_e32 v1, 0, v1, vcc
	v_cmp_nlt_f32_e32 vcc, s28, v0
	s_nop 1
	v_cndmask_b32_e32 v0, v31, v1, vcc
	v_add_f32_e32 v0, 1.0, v0
	v_rcp_f32_e32 v0, v0
	s_nop 0
	v_fma_f32 v3, v0, -2.0, 1.0
.LBB30_23:                              ;   in Loop: Header=BB30_21 Depth=1
	s_andn2_saveexec_b64 s[6:7], s[6:7]
; %bb.24:                               ;   in Loop: Header=BB30_21 Depth=1
	v_mul_f32_e32 v0, v50, v50
	v_fmamk_f32 v1, v0, 0xbbbac73d, v30
	v_fmaak_f32 v1, v0, v1, 0xbd5c1c4e
	v_fmaak_f32 v1, v0, v1, 0x3e088382
	;; [unrolled: 1-line block ×3, first 2 shown]
	v_mul_f32_e64 v1, |v50|, v1
	v_fma_f32 v3, v0, v1, |v50|
; %bb.25:                               ;   in Loop: Header=BB30_21 Depth=1
	s_or_b64 exec, exec, s[6:7]
	v_add_u32_e32 v0, s2, v14
	v_ashrrev_i32_e32 v1, 31, v0
	v_lshl_add_u64 v[0:1], v[0:1], 1, s[26:27]
	global_load_ushort v2, v[0:1], off
	v_cmp_nlt_f32_e64 s[6:7], |v51|, s8
                                        ; implicit-def: $vgpr52
	s_and_saveexec_b64 s[34:35], s[6:7]
	s_xor_b64 s[6:7], exec, s[34:35]
	s_cbranch_execz .LBB30_27
; %bb.26:                               ;   in Loop: Header=BB30_21 Depth=1
	v_add_f32_e64 v52, |v51|, |v51|
	v_mul_f32_e32 v53, 0x3fb8aa3b, v52
	v_rndne_f32_e32 v54, v53
	v_sub_f32_e32 v55, v53, v54
	v_fma_f32 v53, v52, s9, -v53
	v_fmac_f32_e32 v53, 0x32a5705f, v52
	v_add_f32_e32 v53, v55, v53
	v_cvt_i32_f32_e32 v54, v54
	v_exp_f32_e32 v53, v53
	v_cmp_ngt_f32_e32 vcc, s21, v52
	v_ldexp_f32 v53, v53, v54
	s_nop 0
	v_cndmask_b32_e32 v53, 0, v53, vcc
	v_cmp_nlt_f32_e32 vcc, s28, v52
	s_nop 1
	v_cndmask_b32_e32 v52, v31, v53, vcc
	v_add_f32_e32 v52, 1.0, v52
	v_rcp_f32_e32 v52, v52
	s_nop 0
	v_fma_f32 v52, v52, -2.0, 1.0
.LBB30_27:                              ;   in Loop: Header=BB30_21 Depth=1
	s_andn2_saveexec_b64 s[6:7], s[6:7]
; %bb.28:                               ;   in Loop: Header=BB30_21 Depth=1
	v_mul_f32_e32 v52, v51, v51
	v_fmamk_f32 v53, v52, 0xbbbac73d, v30
	v_fmaak_f32 v53, v52, v53, 0xbd5c1c4e
	v_fmaak_f32 v53, v52, v53, 0x3e088382
	v_fmaak_f32 v53, v52, v53, 0xbeaaaa99
	v_mul_f32_e64 v53, |v51|, v53
	v_fma_f32 v52, v52, v53, |v51|
; %bb.29:                               ;   in Loop: Header=BB30_21 Depth=1
	s_or_b64 exec, exec, s[6:7]
	global_load_ushort v60, v[0:1], off offset:64
	v_bfi_b32 v0, s29, v3, v50
	s_waitcnt vmcnt(1)
	v_fma_mix_f32 v1, s10, v0, v2 op_sel_hi:[0,0,1]
	v_and_b32_e32 v0, 0x60, v15
	v_add_u32_e32 v50, 32, v0
	v_xor_b32_e32 v55, 16, v15
	v_cmp_lt_i32_e32 vcc, v55, v50
	v_add_f32_e32 v3, 0x40051340, v1
	v_cmp_nlt_f32_e64 s[6:7], |v18|, s8
	v_cndmask_b32_e32 v0, v15, v55, vcc
	v_lshlrev_b32_e32 v58, 2, v0
	v_bfi_b32 v0, s29, v52, v51
                                        ; implicit-def: $vgpr63
	s_waitcnt vmcnt(0)
	v_fma_mix_f32 v0, s10, v0, v60 op_sel_hi:[0,0,1]
	v_add_f32_e32 v51, 0x40051340, v0
	v_max3_f32 v3, v49, v3, v51
	ds_bpermute_b32 v52, v58, v3
	v_xor_b32_e32 v51, 8, v15
	v_cmp_lt_i32_e32 vcc, v51, v50
	s_waitcnt lgkmcnt(0)
	v_max_f32_e32 v52, v52, v52
	v_cndmask_b32_e32 v53, v15, v51, vcc
	v_lshlrev_b32_e32 v59, 2, v53
	v_max_f32_e32 v3, v3, v52
	ds_bpermute_b32 v53, v59, v3
	v_xor_b32_e32 v52, 4, v15
	v_cmp_lt_i32_e32 vcc, v52, v50
	s_waitcnt lgkmcnt(0)
	v_max_f32_e32 v53, v53, v53
	v_cndmask_b32_e32 v54, v15, v52, vcc
	v_lshlrev_b32_e32 v57, 2, v54
	v_max_f32_e32 v3, v3, v53
	;; [unrolled: 8-line block ×4, first 2 shown]
	ds_bpermute_b32 v62, v3, v61
	s_and_saveexec_b64 s[34:35], s[6:7]
	s_xor_b64 s[6:7], exec, s[34:35]
	s_cbranch_execz .LBB30_31
; %bb.30:                               ;   in Loop: Header=BB30_21 Depth=1
	v_add_f32_e64 v63, |v18|, |v18|
	v_mul_f32_e32 v64, 0x3fb8aa3b, v63
	v_rndne_f32_e32 v65, v64
	v_sub_f32_e32 v66, v64, v65
	v_fma_f32 v64, v63, s9, -v64
	v_fmac_f32_e32 v64, 0x32a5705f, v63
	v_add_f32_e32 v64, v66, v64
	v_cvt_i32_f32_e32 v65, v65
	v_exp_f32_e32 v64, v64
	v_cmp_ngt_f32_e32 vcc, s21, v63
	v_ldexp_f32 v64, v64, v65
	s_nop 0
	v_cndmask_b32_e32 v64, 0, v64, vcc
	v_cmp_nlt_f32_e32 vcc, s28, v63
	s_nop 1
	v_cndmask_b32_e32 v63, v31, v64, vcc
	v_add_f32_e32 v63, 1.0, v63
	v_rcp_f32_e32 v63, v63
	s_nop 0
	v_fma_f32 v63, v63, -2.0, 1.0
.LBB30_31:                              ;   in Loop: Header=BB30_21 Depth=1
	s_andn2_saveexec_b64 s[6:7], s[6:7]
; %bb.32:                               ;   in Loop: Header=BB30_21 Depth=1
	v_mul_f32_e32 v63, v18, v18
	v_fmamk_f32 v64, v63, 0xbbbac73d, v30
	v_fmaak_f32 v64, v63, v64, 0xbd5c1c4e
	v_fmaak_f32 v64, v63, v64, 0x3e088382
	;; [unrolled: 1-line block ×3, first 2 shown]
	v_mul_f32_e64 v64, |v18|, v64
	v_fma_f32 v63, v63, v64, |v18|
; %bb.33:                               ;   in Loop: Header=BB30_21 Depth=1
	s_or_b64 exec, exec, s[6:7]
	v_cmp_nlt_f32_e64 s[6:7], |v19|, s8
                                        ; implicit-def: $vgpr64
	s_and_saveexec_b64 s[34:35], s[6:7]
	s_xor_b64 s[6:7], exec, s[34:35]
	s_cbranch_execz .LBB30_35
; %bb.34:                               ;   in Loop: Header=BB30_21 Depth=1
	v_add_f32_e64 v64, |v19|, |v19|
	v_mul_f32_e32 v65, 0x3fb8aa3b, v64
	v_rndne_f32_e32 v66, v65
	v_sub_f32_e32 v67, v65, v66
	v_fma_f32 v65, v64, s9, -v65
	v_fmac_f32_e32 v65, 0x32a5705f, v64
	v_add_f32_e32 v65, v67, v65
	v_cvt_i32_f32_e32 v66, v66
	v_exp_f32_e32 v65, v65
	v_cmp_ngt_f32_e32 vcc, s21, v64
	v_ldexp_f32 v65, v65, v66
	s_nop 0
	v_cndmask_b32_e32 v65, 0, v65, vcc
	v_cmp_nlt_f32_e32 vcc, s28, v64
	s_nop 1
	v_cndmask_b32_e32 v64, v31, v65, vcc
	v_add_f32_e32 v64, 1.0, v64
	v_rcp_f32_e32 v64, v64
	s_nop 0
	v_fma_f32 v64, v64, -2.0, 1.0
.LBB30_35:                              ;   in Loop: Header=BB30_21 Depth=1
	s_andn2_saveexec_b64 s[6:7], s[6:7]
; %bb.36:                               ;   in Loop: Header=BB30_21 Depth=1
	v_mul_f32_e32 v64, v19, v19
	v_fmamk_f32 v65, v64, 0xbbbac73d, v30
	v_fmaak_f32 v65, v64, v65, 0xbd5c1c4e
	v_fmaak_f32 v65, v64, v65, 0x3e088382
	;; [unrolled: 1-line block ×3, first 2 shown]
	v_mul_f32_e64 v65, |v19|, v65
	v_fma_f32 v64, v64, v65, |v19|
; %bb.37:                               ;   in Loop: Header=BB30_21 Depth=1
	s_or_b64 exec, exec, s[6:7]
	v_cvt_f32_f16_e32 v65, v2
	v_cvt_f32_f16_e32 v66, v60
	v_bfi_b32 v2, s29, v63, v18
	v_bfi_b32 v18, s29, v64, v19
	v_fmac_f32_e32 v65, s10, v2
	v_fmac_f32_e32 v66, s10, v18
	v_add_f32_e32 v2, 0x40051340, v65
	v_add_f32_e32 v18, 0x40051340, v66
	v_max3_f32 v2, v48, v2, v18
	ds_bpermute_b32 v18, v58, v2
	s_waitcnt lgkmcnt(1)
	v_max_f32_e32 v19, v62, v62
	s_mul_hi_i32 s7, s2, s11
	s_mul_i32 s6, s2, s11
	s_waitcnt lgkmcnt(0)
	v_max_f32_e32 v18, v18, v18
	v_max_f32_e32 v2, v2, v18
	ds_bpermute_b32 v58, v59, v2
	v_max_f32_e32 v18, v61, v61
	v_max_f32_e32 v18, v18, v19
	v_sub_f32_e32 v62, v1, v18
	v_mul_f32_e32 v19, 0x3fb8aa3b, v62
	s_waitcnt lgkmcnt(0)
	v_max_f32_e32 v1, v58, v58
	v_max_f32_e32 v1, v2, v1
	ds_bpermute_b32 v2, v57, v1
	v_fma_f32 v57, v62, s9, -v19
	v_rndne_f32_e32 v58, v19
	v_fmac_f32_e32 v57, 0x32a5705f, v62
	v_sub_f32_e32 v19, v19, v58
	s_waitcnt lgkmcnt(0)
	v_max_f32_e32 v2, v2, v2
	v_max_f32_e32 v1, v1, v2
	ds_bpermute_b32 v2, v56, v1
	v_add_f32_e32 v19, v19, v57
	v_cvt_i32_f32_e32 v56, v58
	v_exp_f32_e32 v19, v19
	v_sub_f32_e32 v64, v0, v18
	s_waitcnt lgkmcnt(0)
	v_max_f32_e32 v2, v2, v2
	v_max_f32_e32 v1, v1, v2
	ds_bpermute_b32 v2, v3, v1
	v_mul_f32_e32 v0, 0x3fb8aa3b, v64
	v_ldexp_f32 v3, v19, v56
	v_sub_f32_e32 v49, v49, v18
	v_cmp_ngt_f32_e32 vcc, s21, v62
	s_waitcnt lgkmcnt(0)
	v_max_f32_e32 v2, v2, v2
	v_max_f32_e32 v19, v1, v2
	v_fma_f32 v1, v64, s9, -v0
	v_rndne_f32_e32 v2, v0
	v_fmac_f32_e32 v1, 0x32a5705f, v64
	v_sub_f32_e32 v0, v0, v2
	v_add_f32_e32 v0, v0, v1
	v_exp_f32_e32 v67, v0
	v_mul_f32_e32 v0, 0x3fb8aa3b, v49
	v_fma_f32 v1, v49, s9, -v0
	v_rndne_f32_e32 v69, v0
	v_fmac_f32_e32 v1, 0x32a5705f, v49
	v_sub_f32_e32 v0, v0, v69
	v_add_f32_e32 v0, v0, v1
	v_lshl_add_u64 v[60:61], s[6:7], 2, v[16:17]
	s_barrier
	v_cndmask_b32_e32 v63, 0, v3, vcc
	v_cvt_i32_f32_e32 v68, v2
	v_exp_f32_e32 v70, v0
	global_load_dwordx4 v[0:3], v[60:61], off
	global_load_dwordx4 v[56:59], v[60:61], off offset:512
	v_cvt_i32_f32_e32 v61, v69
	v_cmp_nlt_f32_e32 vcc, s28, v62
	s_or_b32 s6, s2, 8
	s_mul_hi_i32 s7, s6, s11
	v_cndmask_b32_e32 v60, v31, v63, vcc
	v_ldexp_f32 v61, v70, v61
	v_cmp_ngt_f32_e32 vcc, s21, v49
	v_ldexp_f32 v63, v67, v68
	s_mul_i32 s6, s6, s11
	v_cndmask_b32_e32 v61, 0, v61, vcc
	v_cmp_nlt_f32_e32 vcc, s28, v49
	s_nop 1
	v_cndmask_b32_e32 v62, v31, v61, vcc
	v_cvt_f16_f32_e32 v49, v62
	v_cmp_ngt_f32_e32 vcc, s21, v64
	v_mul_u32_u24_e32 v67, 0x10001, v49
	v_pk_mul_f16 v72, v43, v67
	v_sub_f32_e32 v43, v65, v19
	v_pk_mul_f16 v71, v44, v67
	v_mul_f32_e32 v44, 0x3fb8aa3b, v43
	v_pk_mul_f16 v69, v46, v67
	v_pk_mul_f16 v70, v45, v67
	v_fma_f32 v45, v43, s9, -v44
	v_rndne_f32_e32 v46, v44
	v_fmac_f32_e32 v45, 0x32a5705f, v43
	v_sub_f32_e32 v44, v44, v46
	v_add_f32_e32 v44, v44, v45
	v_exp_f32_e32 v44, v44
	v_cvt_i32_f32_e32 v45, v46
	v_cndmask_b32_e32 v61, 0, v63, vcc
	v_cmp_nlt_f32_e32 vcc, s28, v64
	v_pk_mul_f16 v73, v42, v67
	v_ldexp_f32 v44, v44, v45
	v_cndmask_b32_e32 v64, v31, v61, vcc
	v_cmp_ngt_f32_e32 vcc, s21, v43
	v_sub_f32_e32 v42, v48, v19
	v_pk_mul_f16 v68, v47, v67
	v_cndmask_b32_e32 v44, 0, v44, vcc
	v_cmp_nlt_f32_e32 vcc, s28, v43
	v_sub_f32_e32 v43, v66, v19
	v_pk_mul_f16 v41, v41, v67
	v_cndmask_b32_e32 v61, v31, v44, vcc
	v_mul_f32_e32 v44, 0x3fb8aa3b, v43
	v_fma_f32 v45, v43, s9, -v44
	v_rndne_f32_e32 v46, v44
	v_fmac_f32_e32 v45, 0x32a5705f, v43
	v_sub_f32_e32 v44, v44, v46
	v_add_f32_e32 v44, v44, v45
	v_cvt_i32_f32_e32 v45, v46
	v_mul_f32_e32 v46, 0x3fb8aa3b, v42
	v_fma_f32 v47, v42, s9, -v46
	v_rndne_f32_e32 v48, v46
	v_fmac_f32_e32 v47, 0x32a5705f, v42
	v_sub_f32_e32 v46, v46, v48
	v_exp_f32_e32 v44, v44
	v_add_f32_e32 v46, v46, v47
	v_exp_f32_e32 v46, v46
	v_cvt_i32_f32_e32 v47, v48
	v_ldexp_f32 v44, v44, v45
	v_cmp_ngt_f32_e32 vcc, s21, v43
	v_ldexp_f32 v45, v46, v47
	s_nop 0
	v_cndmask_b32_e32 v44, 0, v44, vcc
	v_cmp_ngt_f32_e32 vcc, s21, v42
	s_nop 1
	v_cndmask_b32_e32 v45, 0, v45, vcc
	v_cmp_nlt_f32_e32 vcc, s28, v42
	s_nop 1
	v_cndmask_b32_e32 v63, v31, v45, vcc
	v_cvt_f16_f32_e32 v45, v63
	v_cmp_nlt_f32_e32 vcc, s28, v43
	s_nop 1
	v_cndmask_b32_e32 v65, v31, v44, vcc
	v_pk_add_f32 v[42:43], v[60:61], v[64:65]
	s_nop 0
	v_pk_fma_f32 v[6:7], v[6:7], v[62:63], v[42:43]
	v_mul_u32_u24_e32 v62, 0x10001, v45
	v_pk_mul_f16 v63, v34, v62
	v_pk_mul_f16 v66, v35, v62
	;; [unrolled: 1-line block ×3, first 2 shown]
	v_add_u32_e32 v33, v26, v21
	v_cvt_pk_f16_f32 v34, v60, v61
	v_cvt_pk_f16_f32 v35, v64, v65
	ds_write2_b32 v33, v34, v35 offset1:32
	s_waitcnt vmcnt(1)
	ds_write_b128 v27, v[0:3]
	s_waitcnt vmcnt(0)
	ds_write_b128 v28, v[56:59]
	s_waitcnt lgkmcnt(0)
	s_barrier
	ds_read_b128 v[42:45], v26
	v_pk_mul_f16 v56, v32, v62
	ds_read2_b64 v[32:35], v29 offset1:32
	ds_read2_b64 v[46:49], v29 offset0:64 offset1:96
	ds_read_b128 v[0:3], v26 offset:16
	v_pk_mul_f16 v39, v39, v62
	v_pk_mul_f16 v38, v38, v62
	s_waitcnt lgkmcnt(3)
	v_mul_u32_u24_sdwa v57, v42, s31 dst_sel:DWORD dst_unused:UNUSED_PAD src0_sel:WORD_0 src1_sel:DWORD
	v_mul_u32_u24_sdwa v42, v42, s31 dst_sel:DWORD dst_unused:UNUSED_PAD src0_sel:WORD_1 src1_sel:DWORD
	v_pk_mul_f16 v37, v37, v62
	s_waitcnt lgkmcnt(2)
	v_pk_mul_f16 v58, v32, v57
	v_pk_mul_f16 v32, v32, v42
	v_pk_fma_f16 v40, v40, v67, v58
	v_pk_fma_f16 v58, v36, v62, v32
	;; [unrolled: 1-line block ×8, first 2 shown]
	ds_read2_b64 v[32:35], v29 offset0:128 offset1:160
	ds_read2_b64 v[36:39], v29 offset0:192 offset1:224
	s_waitcnt lgkmcnt(3)
	v_pk_fma_f16 v67, v46, v57, v71
	v_pk_fma_f16 v46, v46, v42, v63
	;; [unrolled: 1-line block ×8, first 2 shown]
	v_mul_u32_u24_sdwa v49, v43, s31 dst_sel:DWORD dst_unused:UNUSED_PAD src0_sel:WORD_0 src1_sel:DWORD
	v_mul_u32_u24_sdwa v43, v43, s31 dst_sel:DWORD dst_unused:UNUSED_PAD src0_sel:WORD_1 src1_sel:DWORD
	s_waitcnt lgkmcnt(1)
	v_pk_fma_f16 v56, v32, v49, v40
	v_pk_fma_f16 v57, v32, v43, v58
	v_add_u32_e32 v32, 0x800, v29
	v_pk_fma_f16 v58, v33, v49, v59
	v_pk_fma_f16 v33, v33, v43, v60
	;; [unrolled: 1-line block ×6, first 2 shown]
	s_waitcnt lgkmcnt(0)
	v_pk_fma_f16 v64, v36, v49, v67
	v_pk_fma_f16 v46, v36, v43, v46
	;; [unrolled: 1-line block ×4, first 2 shown]
	ds_read2_b64 v[34:37], v32 offset1:32
	v_pk_fma_f16 v65, v38, v49, v66
	v_pk_fma_f16 v48, v38, v43, v48
	;; [unrolled: 1-line block ×4, first 2 shown]
	ds_read2_b64 v[38:41], v32 offset0:64 offset1:96
	v_mul_u32_u24_sdwa v43, v44, s31 dst_sel:DWORD dst_unused:UNUSED_PAD src0_sel:WORD_0 src1_sel:DWORD
	v_mul_u32_u24_sdwa v44, v44, s31 dst_sel:DWORD dst_unused:UNUSED_PAD src0_sel:WORD_1 src1_sel:DWORD
	s_waitcnt lgkmcnt(1)
	v_pk_fma_f16 v56, v34, v43, v56
	v_pk_fma_f16 v57, v34, v44, v57
	v_pk_fma_f16 v58, v35, v43, v58
	v_pk_fma_f16 v33, v35, v44, v33
	v_pk_fma_f16 v59, v36, v43, v59
	v_pk_fma_f16 v60, v36, v44, v60
	v_pk_fma_f16 v61, v37, v43, v61
	v_pk_fma_f16 v62, v37, v44, v62
	ds_read2_b64 v[34:37], v32 offset0:128 offset1:160
	s_waitcnt lgkmcnt(1)
	v_pk_fma_f16 v64, v38, v43, v64
	v_pk_fma_f16 v88, v38, v44, v46
	;; [unrolled: 1-line block ×8, first 2 shown]
	ds_read2_b64 v[38:41], v32 offset0:192 offset1:224
	v_mul_u32_u24_sdwa v95, v45, s31 dst_sel:DWORD dst_unused:UNUSED_PAD src0_sel:WORD_0 src1_sel:DWORD
	v_mul_u32_u24_sdwa v96, v45, s31 dst_sel:DWORD dst_unused:UNUSED_PAD src0_sel:WORD_1 src1_sel:DWORD
	s_waitcnt lgkmcnt(1)
	v_pk_fma_f16 v97, v34, v95, v56
	v_pk_fma_f16 v98, v34, v96, v57
	;; [unrolled: 1-line block ×8, first 2 shown]
	v_add_u32_e32 v34, 0x1000, v29
	v_add_u32_e32 v33, 0x1800, v29
	v_lshl_add_u64 v[36:37], s[6:7], 2, v[16:17]
	s_waitcnt lgkmcnt(0)
	v_pk_fma_f16 v104, v38, v95, v64
	ds_read2_b64 v[42:45], v34 offset1:32
	ds_read2_b64 v[46:49], v34 offset0:64 offset1:96
	ds_read2_b64 v[56:59], v34 offset0:128 offset1:160
	ds_read2_b64 v[60:63], v34 offset0:192 offset1:224
	ds_read2_b64 v[64:67], v33 offset1:32
	ds_read2_b64 v[68:71], v33 offset0:64 offset1:96
	ds_read2_b64 v[72:75], v33 offset0:128 offset1:160
	ds_read2_b64 v[76:79], v33 offset0:192 offset1:224
	s_waitcnt lgkmcnt(0)
	s_barrier
	global_load_dwordx4 v[80:83], v[36:37], off
	global_load_dwordx4 v[84:87], v[36:37], off offset:512
	v_pk_fma_f16 v36, v38, v96, v88
	v_pk_fma_f16 v37, v39, v95, v89
	;; [unrolled: 1-line block ×7, first 2 shown]
	v_mul_u32_u24_sdwa v89, v0, s31 dst_sel:DWORD dst_unused:UNUSED_PAD src0_sel:WORD_0 src1_sel:DWORD
	v_mul_u32_u24_sdwa v0, v0, s31 dst_sel:DWORD dst_unused:UNUSED_PAD src0_sel:WORD_1 src1_sel:DWORD
	v_pk_fma_f16 v90, v42, v89, v97
	v_pk_fma_f16 v42, v42, v0, v98
	v_pk_fma_f16 v91, v43, v89, v99
	v_pk_fma_f16 v35, v43, v0, v35
	v_pk_fma_f16 v43, v44, v89, v100
	v_pk_fma_f16 v44, v44, v0, v101
	v_pk_fma_f16 v92, v45, v89, v102
	v_pk_fma_f16 v45, v45, v0, v103
	v_pk_fma_f16 v36, v46, v0, v36
	v_pk_fma_f16 v37, v47, v89, v37
	v_pk_fma_f16 v38, v47, v0, v38
	v_pk_fma_f16 v39, v48, v89, v39
	v_pk_fma_f16 v40, v48, v0, v40
	v_pk_fma_f16 v0, v49, v0, v41
	v_mul_u32_u24_sdwa v41, v1, s31 dst_sel:DWORD dst_unused:UNUSED_PAD src0_sel:WORD_0 src1_sel:DWORD
	v_mul_u32_u24_sdwa v1, v1, s31 dst_sel:DWORD dst_unused:UNUSED_PAD src0_sel:WORD_1 src1_sel:DWORD
	v_pk_fma_f16 v42, v56, v1, v42
	v_pk_fma_f16 v35, v57, v1, v35
	;; [unrolled: 1-line block ×10, first 2 shown]
	v_mul_u32_u24_sdwa v1, v2, s31 dst_sel:DWORD dst_unused:UNUSED_PAD src0_sel:WORD_0 src1_sel:DWORD
	v_mul_u32_u24_sdwa v2, v2, s31 dst_sel:DWORD dst_unused:UNUSED_PAD src0_sel:WORD_1 src1_sel:DWORD
	v_pk_fma_f16 v93, v46, v89, v104
	v_pk_fma_f16 v46, v49, v89, v88
	;; [unrolled: 1-line block ×14, first 2 shown]
	v_mul_u32_u24_sdwa v2, v3, s31 dst_sel:DWORD dst_unused:UNUSED_PAD src0_sel:WORD_0 src1_sel:DWORD
	v_mul_u32_u24_sdwa v3, v3, s31 dst_sel:DWORD dst_unused:UNUSED_PAD src0_sel:WORD_1 src1_sel:DWORD
	v_pk_fma_f16 v43, v58, v41, v43
	v_pk_fma_f16 v49, v59, v41, v92
	;; [unrolled: 1-line block ×10, first 2 shown]
	s_waitcnt vmcnt(1)
	ds_write_b128 v27, v[80:83]
	s_waitcnt vmcnt(0)
	ds_write_b128 v28, v[84:87]
	s_waitcnt lgkmcnt(0)
	s_barrier
	ds_read_b128 v[36:39], v26 offset:32
	v_pk_fma_f16 v43, v66, v1, v43
	v_pk_fma_f16 v48, v67, v1, v49
	;; [unrolled: 1-line block ×16, first 2 shown]
	ds_read2_b64 v[40:43], v29 offset1:32
	ds_read2_b64 v[44:47], v29 offset0:64 offset1:96
	ds_read_b128 v[0:3], v26 offset:48
	s_waitcnt lgkmcnt(3)
	v_mul_u32_u24_sdwa v69, v36, s31 dst_sel:DWORD dst_unused:UNUSED_PAD src0_sel:WORD_0 src1_sel:DWORD
	v_mul_u32_u24_sdwa v36, v36, s31 dst_sel:DWORD dst_unused:UNUSED_PAD src0_sel:WORD_1 src1_sel:DWORD
	s_waitcnt lgkmcnt(2)
	v_pk_fma_f16 v56, v40, v69, v56
	v_pk_fma_f16 v57, v40, v36, v57
	v_pk_fma_f16 v58, v41, v69, v58
	v_pk_fma_f16 v35, v41, v36, v35
	v_pk_fma_f16 v59, v42, v69, v59
	v_pk_fma_f16 v60, v42, v36, v60
	v_pk_fma_f16 v48, v43, v69, v48
	v_pk_fma_f16 v61, v43, v36, v61
	s_waitcnt lgkmcnt(1)
	v_pk_fma_f16 v49, v44, v69, v49
	v_pk_fma_f16 v62, v44, v36, v62
	;; [unrolled: 1-line block ×7, first 2 shown]
	ds_read2_b64 v[40:43], v29 offset0:128 offset1:160
	v_pk_fma_f16 v36, v47, v36, v68
	ds_read2_b64 v[44:47], v29 offset0:192 offset1:224
	v_mul_u32_u24_sdwa v68, v37, s31 dst_sel:DWORD dst_unused:UNUSED_PAD src0_sel:WORD_0 src1_sel:DWORD
	v_mul_u32_u24_sdwa v37, v37, s31 dst_sel:DWORD dst_unused:UNUSED_PAD src0_sel:WORD_1 src1_sel:DWORD
	s_waitcnt lgkmcnt(1)
	v_pk_fma_f16 v56, v40, v68, v56
	v_pk_fma_f16 v57, v40, v37, v57
	;; [unrolled: 1-line block ×8, first 2 shown]
	s_waitcnt lgkmcnt(0)
	v_pk_fma_f16 v49, v44, v68, v49
	v_pk_fma_f16 v62, v44, v37, v62
	;; [unrolled: 1-line block ×7, first 2 shown]
	ds_read2_b64 v[40:43], v32 offset1:32
	v_pk_fma_f16 v36, v47, v37, v36
	ds_read2_b64 v[44:47], v32 offset0:64 offset1:96
	v_mul_u32_u24_sdwa v37, v38, s31 dst_sel:DWORD dst_unused:UNUSED_PAD src0_sel:WORD_0 src1_sel:DWORD
	v_mul_u32_u24_sdwa v38, v38, s31 dst_sel:DWORD dst_unused:UNUSED_PAD src0_sel:WORD_1 src1_sel:DWORD
	s_waitcnt lgkmcnt(1)
	v_pk_fma_f16 v56, v40, v37, v56
	v_pk_fma_f16 v57, v40, v38, v57
	;; [unrolled: 1-line block ×8, first 2 shown]
	s_waitcnt lgkmcnt(0)
	v_pk_fma_f16 v49, v44, v37, v49
	v_pk_fma_f16 v88, v44, v38, v62
	;; [unrolled: 1-line block ×7, first 2 shown]
	ds_read2_b64 v[40:43], v32 offset0:128 offset1:160
	v_pk_fma_f16 v94, v47, v38, v36
	ds_read2_b64 v[44:47], v32 offset0:192 offset1:224
	s_or_b32 s6, s2, 16
	v_mul_u32_u24_sdwa v95, v39, s31 dst_sel:DWORD dst_unused:UNUSED_PAD src0_sel:WORD_0 src1_sel:DWORD
	s_mul_hi_i32 s7, s6, s11
	s_mul_i32 s6, s6, s11
	v_mul_u32_u24_sdwa v96, v39, s31 dst_sel:DWORD dst_unused:UNUSED_PAD src0_sel:WORD_1 src1_sel:DWORD
	s_waitcnt lgkmcnt(1)
	v_pk_fma_f16 v102, v43, v95, v48
	s_waitcnt lgkmcnt(0)
	v_pk_fma_f16 v104, v44, v95, v49
	v_lshl_add_u64 v[48:49], s[6:7], 2, v[16:17]
	v_pk_fma_f16 v97, v40, v95, v56
	v_pk_fma_f16 v98, v40, v96, v57
	;; [unrolled: 1-line block ×7, first 2 shown]
	ds_read2_b64 v[36:39], v34 offset1:32
	ds_read2_b64 v[40:43], v34 offset0:64 offset1:96
	ds_read2_b64 v[56:59], v34 offset0:128 offset1:160
	;; [unrolled: 1-line block ×3, first 2 shown]
	ds_read2_b64 v[64:67], v33 offset1:32
	ds_read2_b64 v[68:71], v33 offset0:64 offset1:96
	ds_read2_b64 v[72:75], v33 offset0:128 offset1:160
	;; [unrolled: 1-line block ×3, first 2 shown]
	s_waitcnt lgkmcnt(0)
	s_barrier
	global_load_dwordx4 v[80:83], v[48:49], off
	global_load_dwordx4 v[84:87], v[48:49], off offset:512
	v_pk_fma_f16 v44, v44, v96, v88
	v_pk_fma_f16 v48, v45, v95, v89
	v_pk_fma_f16 v45, v45, v96, v90
	v_pk_fma_f16 v49, v46, v95, v91
	v_pk_fma_f16 v46, v46, v96, v92
	v_pk_fma_f16 v88, v47, v95, v93
	v_pk_fma_f16 v47, v47, v96, v94
	v_mul_u32_u24_sdwa v89, v0, s31 dst_sel:DWORD dst_unused:UNUSED_PAD src0_sel:WORD_0 src1_sel:DWORD
	v_mul_u32_u24_sdwa v0, v0, s31 dst_sel:DWORD dst_unused:UNUSED_PAD src0_sel:WORD_1 src1_sel:DWORD
	v_pk_fma_f16 v90, v36, v89, v97
	v_pk_fma_f16 v36, v36, v0, v98
	;; [unrolled: 1-line block ×16, first 2 shown]
	v_mul_u32_u24_sdwa v43, v1, s31 dst_sel:DWORD dst_unused:UNUSED_PAD src0_sel:WORD_0 src1_sel:DWORD
	v_mul_u32_u24_sdwa v1, v1, s31 dst_sel:DWORD dst_unused:UNUSED_PAD src0_sel:WORD_1 src1_sel:DWORD
	v_pk_fma_f16 v36, v56, v1, v36
	v_pk_fma_f16 v35, v57, v1, v35
	v_pk_fma_f16 v37, v58, v43, v37
	v_pk_fma_f16 v38, v58, v1, v38
	v_pk_fma_f16 v39, v59, v1, v39
	v_pk_fma_f16 v40, v60, v1, v40
	v_pk_fma_f16 v41, v61, v1, v41
	v_pk_fma_f16 v42, v62, v1, v42
	v_pk_fma_f16 v0, v63, v1, v0
	v_mul_u32_u24_sdwa v1, v2, s31 dst_sel:DWORD dst_unused:UNUSED_PAD src0_sel:WORD_0 src1_sel:DWORD
	v_mul_u32_u24_sdwa v2, v2, s31 dst_sel:DWORD dst_unused:UNUSED_PAD src0_sel:WORD_1 src1_sel:DWORD
	v_pk_fma_f16 v36, v64, v2, v36
	v_pk_fma_f16 v35, v65, v2, v35
	v_pk_fma_f16 v37, v66, v1, v37
	v_pk_fma_f16 v38, v66, v2, v38
	v_pk_fma_f16 v39, v67, v2, v39
	v_pk_fma_f16 v40, v68, v2, v40
	v_pk_fma_f16 v41, v69, v2, v41
	v_pk_fma_f16 v42, v70, v2, v42
	v_pk_fma_f16 v0, v71, v2, v0
	;; [unrolled: 11-line block ×3, first 2 shown]
	v_pk_fma_f16 v60, v74, v3, v38
	v_pk_fma_f16 v61, v75, v3, v39
	s_waitcnt vmcnt(1)
	ds_write_b128 v27, v[80:83]
	s_waitcnt vmcnt(0)
	ds_write_b128 v28, v[84:87]
	s_waitcnt lgkmcnt(0)
	s_barrier
	ds_read_b128 v[36:39], v26 offset:64
	v_pk_fma_f16 v46, v64, v1, v47
	v_pk_fma_f16 v47, v65, v1, v48
	;; [unrolled: 1-line block ×19, first 2 shown]
	ds_read2_b64 v[40:43], v29 offset1:32
	ds_read2_b64 v[44:47], v29 offset0:64 offset1:96
	ds_read_b128 v[0:3], v26 offset:80
	s_waitcnt lgkmcnt(3)
	v_mul_u32_u24_sdwa v69, v36, s31 dst_sel:DWORD dst_unused:UNUSED_PAD src0_sel:WORD_0 src1_sel:DWORD
	v_mul_u32_u24_sdwa v36, v36, s31 dst_sel:DWORD dst_unused:UNUSED_PAD src0_sel:WORD_1 src1_sel:DWORD
	s_waitcnt lgkmcnt(2)
	v_pk_fma_f16 v56, v40, v69, v56
	v_pk_fma_f16 v57, v40, v36, v57
	;; [unrolled: 1-line block ×8, first 2 shown]
	s_waitcnt lgkmcnt(1)
	v_pk_fma_f16 v49, v44, v69, v49
	v_pk_fma_f16 v62, v44, v36, v62
	;; [unrolled: 1-line block ×7, first 2 shown]
	ds_read2_b64 v[40:43], v29 offset0:128 offset1:160
	v_pk_fma_f16 v36, v47, v36, v68
	ds_read2_b64 v[44:47], v29 offset0:192 offset1:224
	v_mul_u32_u24_sdwa v68, v37, s31 dst_sel:DWORD dst_unused:UNUSED_PAD src0_sel:WORD_0 src1_sel:DWORD
	v_mul_u32_u24_sdwa v37, v37, s31 dst_sel:DWORD dst_unused:UNUSED_PAD src0_sel:WORD_1 src1_sel:DWORD
	s_waitcnt lgkmcnt(1)
	v_pk_fma_f16 v56, v40, v68, v56
	v_pk_fma_f16 v57, v40, v37, v57
	;; [unrolled: 1-line block ×8, first 2 shown]
	s_waitcnt lgkmcnt(0)
	v_pk_fma_f16 v49, v44, v68, v49
	v_pk_fma_f16 v62, v44, v37, v62
	;; [unrolled: 1-line block ×7, first 2 shown]
	ds_read2_b64 v[40:43], v32 offset1:32
	v_pk_fma_f16 v36, v47, v37, v36
	ds_read2_b64 v[44:47], v32 offset0:64 offset1:96
	v_mul_u32_u24_sdwa v37, v38, s31 dst_sel:DWORD dst_unused:UNUSED_PAD src0_sel:WORD_0 src1_sel:DWORD
	v_mul_u32_u24_sdwa v38, v38, s31 dst_sel:DWORD dst_unused:UNUSED_PAD src0_sel:WORD_1 src1_sel:DWORD
	s_waitcnt lgkmcnt(1)
	v_pk_fma_f16 v56, v40, v37, v56
	v_pk_fma_f16 v57, v40, v38, v57
	v_pk_fma_f16 v58, v41, v37, v58
	v_pk_fma_f16 v35, v41, v38, v35
	v_pk_fma_f16 v59, v42, v37, v59
	v_pk_fma_f16 v60, v42, v38, v60
	v_pk_fma_f16 v48, v43, v37, v48
	v_pk_fma_f16 v61, v43, v38, v61
	s_waitcnt lgkmcnt(0)
	v_pk_fma_f16 v49, v44, v37, v49
	v_pk_fma_f16 v88, v44, v38, v62
	;; [unrolled: 1-line block ×7, first 2 shown]
	ds_read2_b64 v[40:43], v32 offset0:128 offset1:160
	v_pk_fma_f16 v94, v47, v38, v36
	ds_read2_b64 v[44:47], v32 offset0:192 offset1:224
	s_or_b32 s6, s2, 24
	v_mul_u32_u24_sdwa v95, v39, s31 dst_sel:DWORD dst_unused:UNUSED_PAD src0_sel:WORD_0 src1_sel:DWORD
	s_mul_hi_i32 s7, s6, s11
	s_mul_i32 s6, s6, s11
	v_mul_u32_u24_sdwa v96, v39, s31 dst_sel:DWORD dst_unused:UNUSED_PAD src0_sel:WORD_1 src1_sel:DWORD
	s_waitcnt lgkmcnt(1)
	v_pk_fma_f16 v102, v43, v95, v48
	s_waitcnt lgkmcnt(0)
	v_pk_fma_f16 v104, v44, v95, v49
	v_lshl_add_u64 v[48:49], s[6:7], 2, v[16:17]
	v_pk_fma_f16 v97, v40, v95, v56
	v_pk_fma_f16 v98, v40, v96, v57
	;; [unrolled: 1-line block ×7, first 2 shown]
	ds_read2_b64 v[36:39], v34 offset1:32
	ds_read2_b64 v[40:43], v34 offset0:64 offset1:96
	ds_read2_b64 v[56:59], v34 offset0:128 offset1:160
	;; [unrolled: 1-line block ×3, first 2 shown]
	ds_read2_b64 v[64:67], v33 offset1:32
	ds_read2_b64 v[68:71], v33 offset0:64 offset1:96
	ds_read2_b64 v[72:75], v33 offset0:128 offset1:160
	;; [unrolled: 1-line block ×3, first 2 shown]
	s_waitcnt lgkmcnt(0)
	s_barrier
	global_load_dwordx4 v[80:83], v[48:49], off
	global_load_dwordx4 v[84:87], v[48:49], off offset:512
	v_pk_fma_f16 v44, v44, v96, v88
	v_pk_fma_f16 v48, v45, v95, v89
	;; [unrolled: 1-line block ×7, first 2 shown]
	v_mul_u32_u24_sdwa v89, v0, s31 dst_sel:DWORD dst_unused:UNUSED_PAD src0_sel:WORD_0 src1_sel:DWORD
	v_mul_u32_u24_sdwa v0, v0, s31 dst_sel:DWORD dst_unused:UNUSED_PAD src0_sel:WORD_1 src1_sel:DWORD
	v_pk_fma_f16 v90, v36, v89, v97
	v_pk_fma_f16 v36, v36, v0, v98
	;; [unrolled: 1-line block ×16, first 2 shown]
	v_mul_u32_u24_sdwa v43, v1, s31 dst_sel:DWORD dst_unused:UNUSED_PAD src0_sel:WORD_0 src1_sel:DWORD
	v_mul_u32_u24_sdwa v1, v1, s31 dst_sel:DWORD dst_unused:UNUSED_PAD src0_sel:WORD_1 src1_sel:DWORD
	v_pk_fma_f16 v36, v56, v1, v36
	v_pk_fma_f16 v35, v57, v1, v35
	v_pk_fma_f16 v37, v58, v43, v37
	v_pk_fma_f16 v38, v58, v1, v38
	v_pk_fma_f16 v39, v59, v1, v39
	v_pk_fma_f16 v40, v60, v1, v40
	v_pk_fma_f16 v41, v61, v1, v41
	v_pk_fma_f16 v42, v62, v1, v42
	v_pk_fma_f16 v0, v63, v1, v0
	v_mul_u32_u24_sdwa v1, v2, s31 dst_sel:DWORD dst_unused:UNUSED_PAD src0_sel:WORD_0 src1_sel:DWORD
	v_mul_u32_u24_sdwa v2, v2, s31 dst_sel:DWORD dst_unused:UNUSED_PAD src0_sel:WORD_1 src1_sel:DWORD
	v_pk_fma_f16 v36, v64, v2, v36
	v_pk_fma_f16 v35, v65, v2, v35
	v_pk_fma_f16 v37, v66, v1, v37
	v_pk_fma_f16 v38, v66, v2, v38
	v_pk_fma_f16 v39, v67, v2, v39
	v_pk_fma_f16 v40, v68, v2, v40
	v_pk_fma_f16 v41, v69, v2, v41
	v_pk_fma_f16 v42, v70, v2, v42
	v_pk_fma_f16 v0, v71, v2, v0
	;; [unrolled: 11-line block ×3, first 2 shown]
	v_pk_fma_f16 v60, v74, v3, v38
	v_pk_fma_f16 v61, v75, v3, v39
	s_waitcnt vmcnt(1)
	ds_write_b128 v27, v[80:83]
	s_waitcnt vmcnt(0)
	ds_write_b128 v28, v[84:87]
	s_waitcnt lgkmcnt(0)
	s_barrier
	ds_read_b128 v[36:39], v26 offset:96
	v_pk_fma_f16 v46, v64, v1, v47
	v_pk_fma_f16 v47, v65, v1, v48
	v_pk_fma_f16 v48, v67, v1, v49
	v_pk_fma_f16 v49, v68, v1, v56
	v_pk_fma_f16 v44, v69, v1, v44
	v_pk_fma_f16 v45, v70, v1, v45
	v_pk_fma_f16 v1, v71, v1, v43
	v_pk_fma_f16 v56, v72, v2, v46
	v_pk_fma_f16 v58, v73, v2, v47
	v_pk_fma_f16 v35, v73, v3, v35
	v_pk_fma_f16 v48, v75, v2, v48
	v_pk_fma_f16 v49, v76, v2, v49
	v_pk_fma_f16 v62, v76, v3, v40
	v_pk_fma_f16 v63, v77, v2, v44
	v_pk_fma_f16 v64, v77, v3, v41
	v_pk_fma_f16 v65, v78, v2, v45
	v_pk_fma_f16 v66, v78, v3, v42
	v_pk_fma_f16 v67, v79, v2, v1
	v_pk_fma_f16 v68, v79, v3, v0
	ds_read2_b64 v[40:43], v29 offset1:32
	ds_read2_b64 v[44:47], v29 offset0:64 offset1:96
	ds_read_b128 v[0:3], v26 offset:112
	s_waitcnt lgkmcnt(3)
	v_mul_u32_u24_sdwa v69, v36, s31 dst_sel:DWORD dst_unused:UNUSED_PAD src0_sel:WORD_0 src1_sel:DWORD
	v_mul_u32_u24_sdwa v36, v36, s31 dst_sel:DWORD dst_unused:UNUSED_PAD src0_sel:WORD_1 src1_sel:DWORD
	s_waitcnt lgkmcnt(2)
	v_pk_fma_f16 v56, v40, v69, v56
	v_pk_fma_f16 v57, v40, v36, v57
	;; [unrolled: 1-line block ×8, first 2 shown]
	s_waitcnt lgkmcnt(1)
	v_pk_fma_f16 v49, v44, v69, v49
	v_pk_fma_f16 v62, v44, v36, v62
	;; [unrolled: 1-line block ×7, first 2 shown]
	ds_read2_b64 v[40:43], v29 offset0:128 offset1:160
	v_pk_fma_f16 v36, v47, v36, v68
	ds_read2_b64 v[44:47], v29 offset0:192 offset1:224
	v_mul_u32_u24_sdwa v68, v37, s31 dst_sel:DWORD dst_unused:UNUSED_PAD src0_sel:WORD_0 src1_sel:DWORD
	v_mul_u32_u24_sdwa v37, v37, s31 dst_sel:DWORD dst_unused:UNUSED_PAD src0_sel:WORD_1 src1_sel:DWORD
	s_waitcnt lgkmcnt(1)
	v_pk_fma_f16 v56, v40, v68, v56
	v_pk_fma_f16 v57, v40, v37, v57
	;; [unrolled: 1-line block ×8, first 2 shown]
	s_waitcnt lgkmcnt(0)
	v_pk_fma_f16 v49, v44, v68, v49
	v_pk_fma_f16 v62, v44, v37, v62
	;; [unrolled: 1-line block ×7, first 2 shown]
	ds_read2_b64 v[40:43], v32 offset1:32
	v_pk_fma_f16 v36, v47, v37, v36
	ds_read2_b64 v[44:47], v32 offset0:64 offset1:96
	v_mul_u32_u24_sdwa v37, v38, s31 dst_sel:DWORD dst_unused:UNUSED_PAD src0_sel:WORD_0 src1_sel:DWORD
	v_mul_u32_u24_sdwa v38, v38, s31 dst_sel:DWORD dst_unused:UNUSED_PAD src0_sel:WORD_1 src1_sel:DWORD
	s_waitcnt lgkmcnt(1)
	v_pk_fma_f16 v56, v40, v37, v56
	v_pk_fma_f16 v57, v40, v38, v57
	;; [unrolled: 1-line block ×8, first 2 shown]
	s_waitcnt lgkmcnt(0)
	v_pk_fma_f16 v49, v44, v37, v49
	v_pk_fma_f16 v88, v44, v38, v62
	;; [unrolled: 1-line block ×7, first 2 shown]
	ds_read2_b64 v[40:43], v32 offset0:128 offset1:160
	v_pk_fma_f16 v94, v47, v38, v36
	ds_read2_b64 v[44:47], v32 offset0:192 offset1:224
	s_or_b32 s6, s2, 32
	v_mul_u32_u24_sdwa v95, v39, s31 dst_sel:DWORD dst_unused:UNUSED_PAD src0_sel:WORD_0 src1_sel:DWORD
	s_mul_hi_i32 s7, s6, s11
	s_mul_i32 s6, s6, s11
	v_mul_u32_u24_sdwa v96, v39, s31 dst_sel:DWORD dst_unused:UNUSED_PAD src0_sel:WORD_1 src1_sel:DWORD
	s_waitcnt lgkmcnt(1)
	v_pk_fma_f16 v102, v43, v95, v48
	s_waitcnt lgkmcnt(0)
	v_pk_fma_f16 v104, v44, v95, v49
	v_lshl_add_u64 v[48:49], s[6:7], 2, v[16:17]
	v_pk_fma_f16 v97, v40, v95, v56
	v_pk_fma_f16 v98, v40, v96, v57
	;; [unrolled: 1-line block ×7, first 2 shown]
	ds_read2_b64 v[36:39], v34 offset1:32
	ds_read2_b64 v[40:43], v34 offset0:64 offset1:96
	ds_read2_b64 v[56:59], v34 offset0:128 offset1:160
	;; [unrolled: 1-line block ×3, first 2 shown]
	ds_read2_b64 v[64:67], v33 offset1:32
	ds_read2_b64 v[68:71], v33 offset0:64 offset1:96
	ds_read2_b64 v[72:75], v33 offset0:128 offset1:160
	;; [unrolled: 1-line block ×3, first 2 shown]
	s_waitcnt lgkmcnt(0)
	s_barrier
	global_load_dwordx4 v[80:83], v[48:49], off
	global_load_dwordx4 v[84:87], v[48:49], off offset:512
	v_pk_fma_f16 v44, v44, v96, v88
	v_pk_fma_f16 v48, v45, v95, v89
	v_pk_fma_f16 v45, v45, v96, v90
	v_pk_fma_f16 v49, v46, v95, v91
	v_pk_fma_f16 v46, v46, v96, v92
	v_pk_fma_f16 v88, v47, v95, v93
	v_pk_fma_f16 v47, v47, v96, v94
	v_mul_u32_u24_sdwa v89, v0, s31 dst_sel:DWORD dst_unused:UNUSED_PAD src0_sel:WORD_0 src1_sel:DWORD
	v_mul_u32_u24_sdwa v0, v0, s31 dst_sel:DWORD dst_unused:UNUSED_PAD src0_sel:WORD_1 src1_sel:DWORD
	v_pk_fma_f16 v90, v36, v89, v97
	v_pk_fma_f16 v36, v36, v0, v98
	;; [unrolled: 1-line block ×16, first 2 shown]
	v_mul_u32_u24_sdwa v43, v1, s31 dst_sel:DWORD dst_unused:UNUSED_PAD src0_sel:WORD_0 src1_sel:DWORD
	v_mul_u32_u24_sdwa v1, v1, s31 dst_sel:DWORD dst_unused:UNUSED_PAD src0_sel:WORD_1 src1_sel:DWORD
	v_pk_fma_f16 v36, v56, v1, v36
	v_pk_fma_f16 v35, v57, v1, v35
	v_pk_fma_f16 v37, v58, v43, v37
	v_pk_fma_f16 v38, v58, v1, v38
	v_pk_fma_f16 v39, v59, v1, v39
	v_pk_fma_f16 v40, v60, v1, v40
	v_pk_fma_f16 v41, v61, v1, v41
	v_pk_fma_f16 v42, v62, v1, v42
	v_pk_fma_f16 v0, v63, v1, v0
	v_mul_u32_u24_sdwa v1, v2, s31 dst_sel:DWORD dst_unused:UNUSED_PAD src0_sel:WORD_0 src1_sel:DWORD
	v_mul_u32_u24_sdwa v2, v2, s31 dst_sel:DWORD dst_unused:UNUSED_PAD src0_sel:WORD_1 src1_sel:DWORD
	v_pk_fma_f16 v36, v64, v2, v36
	v_pk_fma_f16 v35, v65, v2, v35
	v_pk_fma_f16 v37, v66, v1, v37
	v_pk_fma_f16 v38, v66, v2, v38
	v_pk_fma_f16 v39, v67, v2, v39
	v_pk_fma_f16 v40, v68, v2, v40
	v_pk_fma_f16 v41, v69, v2, v41
	v_pk_fma_f16 v42, v70, v2, v42
	v_pk_fma_f16 v0, v71, v2, v0
	;; [unrolled: 11-line block ×3, first 2 shown]
	v_pk_fma_f16 v60, v74, v3, v38
	v_pk_fma_f16 v61, v75, v3, v39
	s_waitcnt vmcnt(1)
	ds_write_b128 v27, v[80:83]
	s_waitcnt vmcnt(0)
	ds_write_b128 v28, v[84:87]
	s_waitcnt lgkmcnt(0)
	s_barrier
	ds_read_b128 v[36:39], v26 offset:128
	v_pk_fma_f16 v46, v64, v1, v47
	v_pk_fma_f16 v47, v65, v1, v48
	;; [unrolled: 1-line block ×19, first 2 shown]
	ds_read2_b64 v[40:43], v29 offset1:32
	ds_read2_b64 v[44:47], v29 offset0:64 offset1:96
	ds_read_b128 v[0:3], v26 offset:144
	s_waitcnt lgkmcnt(3)
	v_mul_u32_u24_sdwa v69, v36, s31 dst_sel:DWORD dst_unused:UNUSED_PAD src0_sel:WORD_0 src1_sel:DWORD
	v_mul_u32_u24_sdwa v36, v36, s31 dst_sel:DWORD dst_unused:UNUSED_PAD src0_sel:WORD_1 src1_sel:DWORD
	s_waitcnt lgkmcnt(2)
	v_pk_fma_f16 v56, v40, v69, v56
	v_pk_fma_f16 v57, v40, v36, v57
	;; [unrolled: 1-line block ×8, first 2 shown]
	s_waitcnt lgkmcnt(1)
	v_pk_fma_f16 v49, v44, v69, v49
	v_pk_fma_f16 v62, v44, v36, v62
	;; [unrolled: 1-line block ×7, first 2 shown]
	ds_read2_b64 v[40:43], v29 offset0:128 offset1:160
	v_pk_fma_f16 v36, v47, v36, v68
	ds_read2_b64 v[44:47], v29 offset0:192 offset1:224
	v_mul_u32_u24_sdwa v68, v37, s31 dst_sel:DWORD dst_unused:UNUSED_PAD src0_sel:WORD_0 src1_sel:DWORD
	v_mul_u32_u24_sdwa v37, v37, s31 dst_sel:DWORD dst_unused:UNUSED_PAD src0_sel:WORD_1 src1_sel:DWORD
	s_waitcnt lgkmcnt(1)
	v_pk_fma_f16 v56, v40, v68, v56
	v_pk_fma_f16 v57, v40, v37, v57
	;; [unrolled: 1-line block ×8, first 2 shown]
	s_waitcnt lgkmcnt(0)
	v_pk_fma_f16 v49, v44, v68, v49
	v_pk_fma_f16 v62, v44, v37, v62
	;; [unrolled: 1-line block ×7, first 2 shown]
	ds_read2_b64 v[40:43], v32 offset1:32
	v_pk_fma_f16 v36, v47, v37, v36
	ds_read2_b64 v[44:47], v32 offset0:64 offset1:96
	v_mul_u32_u24_sdwa v37, v38, s31 dst_sel:DWORD dst_unused:UNUSED_PAD src0_sel:WORD_0 src1_sel:DWORD
	v_mul_u32_u24_sdwa v38, v38, s31 dst_sel:DWORD dst_unused:UNUSED_PAD src0_sel:WORD_1 src1_sel:DWORD
	s_waitcnt lgkmcnt(1)
	v_pk_fma_f16 v56, v40, v37, v56
	v_pk_fma_f16 v57, v40, v38, v57
	v_pk_fma_f16 v58, v41, v37, v58
	v_pk_fma_f16 v35, v41, v38, v35
	v_pk_fma_f16 v59, v42, v37, v59
	v_pk_fma_f16 v60, v42, v38, v60
	v_pk_fma_f16 v48, v43, v37, v48
	v_pk_fma_f16 v61, v43, v38, v61
	s_waitcnt lgkmcnt(0)
	v_pk_fma_f16 v49, v44, v37, v49
	v_pk_fma_f16 v88, v44, v38, v62
	;; [unrolled: 1-line block ×7, first 2 shown]
	ds_read2_b64 v[40:43], v32 offset0:128 offset1:160
	v_pk_fma_f16 v94, v47, v38, v36
	ds_read2_b64 v[44:47], v32 offset0:192 offset1:224
	s_or_b32 s6, s2, 40
	v_mul_u32_u24_sdwa v95, v39, s31 dst_sel:DWORD dst_unused:UNUSED_PAD src0_sel:WORD_0 src1_sel:DWORD
	s_mul_hi_i32 s7, s6, s11
	s_mul_i32 s6, s6, s11
	v_mul_u32_u24_sdwa v96, v39, s31 dst_sel:DWORD dst_unused:UNUSED_PAD src0_sel:WORD_1 src1_sel:DWORD
	s_waitcnt lgkmcnt(1)
	v_pk_fma_f16 v102, v43, v95, v48
	s_waitcnt lgkmcnt(0)
	v_pk_fma_f16 v104, v44, v95, v49
	v_lshl_add_u64 v[48:49], s[6:7], 2, v[16:17]
	v_pk_fma_f16 v97, v40, v95, v56
	v_pk_fma_f16 v98, v40, v96, v57
	;; [unrolled: 1-line block ×7, first 2 shown]
	ds_read2_b64 v[36:39], v34 offset1:32
	ds_read2_b64 v[40:43], v34 offset0:64 offset1:96
	ds_read2_b64 v[56:59], v34 offset0:128 offset1:160
	;; [unrolled: 1-line block ×3, first 2 shown]
	ds_read2_b64 v[64:67], v33 offset1:32
	ds_read2_b64 v[68:71], v33 offset0:64 offset1:96
	ds_read2_b64 v[72:75], v33 offset0:128 offset1:160
	;; [unrolled: 1-line block ×3, first 2 shown]
	s_waitcnt lgkmcnt(0)
	s_barrier
	global_load_dwordx4 v[80:83], v[48:49], off
	global_load_dwordx4 v[84:87], v[48:49], off offset:512
	v_pk_fma_f16 v44, v44, v96, v88
	v_pk_fma_f16 v48, v45, v95, v89
	;; [unrolled: 1-line block ×7, first 2 shown]
	v_mul_u32_u24_sdwa v89, v0, s31 dst_sel:DWORD dst_unused:UNUSED_PAD src0_sel:WORD_0 src1_sel:DWORD
	v_mul_u32_u24_sdwa v0, v0, s31 dst_sel:DWORD dst_unused:UNUSED_PAD src0_sel:WORD_1 src1_sel:DWORD
	v_pk_fma_f16 v90, v36, v89, v97
	v_pk_fma_f16 v36, v36, v0, v98
	;; [unrolled: 1-line block ×16, first 2 shown]
	v_mul_u32_u24_sdwa v43, v1, s31 dst_sel:DWORD dst_unused:UNUSED_PAD src0_sel:WORD_0 src1_sel:DWORD
	v_mul_u32_u24_sdwa v1, v1, s31 dst_sel:DWORD dst_unused:UNUSED_PAD src0_sel:WORD_1 src1_sel:DWORD
	v_pk_fma_f16 v36, v56, v1, v36
	v_pk_fma_f16 v35, v57, v1, v35
	v_pk_fma_f16 v37, v58, v43, v37
	v_pk_fma_f16 v38, v58, v1, v38
	v_pk_fma_f16 v39, v59, v1, v39
	v_pk_fma_f16 v40, v60, v1, v40
	v_pk_fma_f16 v41, v61, v1, v41
	v_pk_fma_f16 v42, v62, v1, v42
	v_pk_fma_f16 v0, v63, v1, v0
	v_mul_u32_u24_sdwa v1, v2, s31 dst_sel:DWORD dst_unused:UNUSED_PAD src0_sel:WORD_0 src1_sel:DWORD
	v_mul_u32_u24_sdwa v2, v2, s31 dst_sel:DWORD dst_unused:UNUSED_PAD src0_sel:WORD_1 src1_sel:DWORD
	v_pk_fma_f16 v36, v64, v2, v36
	v_pk_fma_f16 v35, v65, v2, v35
	v_pk_fma_f16 v37, v66, v1, v37
	v_pk_fma_f16 v38, v66, v2, v38
	v_pk_fma_f16 v39, v67, v2, v39
	v_pk_fma_f16 v40, v68, v2, v40
	v_pk_fma_f16 v41, v69, v2, v41
	v_pk_fma_f16 v42, v70, v2, v42
	v_pk_fma_f16 v0, v71, v2, v0
	;; [unrolled: 11-line block ×3, first 2 shown]
	v_pk_fma_f16 v60, v74, v3, v38
	v_pk_fma_f16 v61, v75, v3, v39
	s_waitcnt vmcnt(1)
	ds_write_b128 v27, v[80:83]
	s_waitcnt vmcnt(0)
	ds_write_b128 v28, v[84:87]
	s_waitcnt lgkmcnt(0)
	s_barrier
	ds_read_b128 v[36:39], v26 offset:160
	v_pk_fma_f16 v46, v64, v1, v47
	v_pk_fma_f16 v47, v65, v1, v48
	v_pk_fma_f16 v48, v67, v1, v49
	v_pk_fma_f16 v49, v68, v1, v56
	v_pk_fma_f16 v44, v69, v1, v44
	v_pk_fma_f16 v45, v70, v1, v45
	v_pk_fma_f16 v1, v71, v1, v43
	v_pk_fma_f16 v56, v72, v2, v46
	v_pk_fma_f16 v58, v73, v2, v47
	v_pk_fma_f16 v35, v73, v3, v35
	v_pk_fma_f16 v48, v75, v2, v48
	v_pk_fma_f16 v49, v76, v2, v49
	v_pk_fma_f16 v62, v76, v3, v40
	v_pk_fma_f16 v63, v77, v2, v44
	v_pk_fma_f16 v64, v77, v3, v41
	v_pk_fma_f16 v65, v78, v2, v45
	v_pk_fma_f16 v66, v78, v3, v42
	v_pk_fma_f16 v67, v79, v2, v1
	v_pk_fma_f16 v68, v79, v3, v0
	ds_read2_b64 v[40:43], v29 offset1:32
	ds_read2_b64 v[44:47], v29 offset0:64 offset1:96
	ds_read_b128 v[0:3], v26 offset:176
	s_waitcnt lgkmcnt(3)
	v_mul_u32_u24_sdwa v69, v36, s31 dst_sel:DWORD dst_unused:UNUSED_PAD src0_sel:WORD_0 src1_sel:DWORD
	v_mul_u32_u24_sdwa v36, v36, s31 dst_sel:DWORD dst_unused:UNUSED_PAD src0_sel:WORD_1 src1_sel:DWORD
	s_waitcnt lgkmcnt(2)
	v_pk_fma_f16 v56, v40, v69, v56
	v_pk_fma_f16 v57, v40, v36, v57
	;; [unrolled: 1-line block ×8, first 2 shown]
	s_waitcnt lgkmcnt(1)
	v_pk_fma_f16 v49, v44, v69, v49
	v_pk_fma_f16 v62, v44, v36, v62
	;; [unrolled: 1-line block ×7, first 2 shown]
	ds_read2_b64 v[40:43], v29 offset0:128 offset1:160
	v_pk_fma_f16 v36, v47, v36, v68
	ds_read2_b64 v[44:47], v29 offset0:192 offset1:224
	v_mul_u32_u24_sdwa v68, v37, s31 dst_sel:DWORD dst_unused:UNUSED_PAD src0_sel:WORD_0 src1_sel:DWORD
	v_mul_u32_u24_sdwa v37, v37, s31 dst_sel:DWORD dst_unused:UNUSED_PAD src0_sel:WORD_1 src1_sel:DWORD
	s_waitcnt lgkmcnt(1)
	v_pk_fma_f16 v56, v40, v68, v56
	v_pk_fma_f16 v57, v40, v37, v57
	v_pk_fma_f16 v58, v41, v68, v58
	v_pk_fma_f16 v35, v41, v37, v35
	v_pk_fma_f16 v59, v42, v68, v59
	v_pk_fma_f16 v60, v42, v37, v60
	v_pk_fma_f16 v48, v43, v68, v48
	v_pk_fma_f16 v61, v43, v37, v61
	s_waitcnt lgkmcnt(0)
	v_pk_fma_f16 v49, v44, v68, v49
	v_pk_fma_f16 v62, v44, v37, v62
	;; [unrolled: 1-line block ×7, first 2 shown]
	ds_read2_b64 v[40:43], v32 offset1:32
	v_pk_fma_f16 v36, v47, v37, v36
	ds_read2_b64 v[44:47], v32 offset0:64 offset1:96
	v_mul_u32_u24_sdwa v37, v38, s31 dst_sel:DWORD dst_unused:UNUSED_PAD src0_sel:WORD_0 src1_sel:DWORD
	v_mul_u32_u24_sdwa v38, v38, s31 dst_sel:DWORD dst_unused:UNUSED_PAD src0_sel:WORD_1 src1_sel:DWORD
	s_waitcnt lgkmcnt(1)
	v_pk_fma_f16 v56, v40, v37, v56
	v_pk_fma_f16 v57, v40, v38, v57
	;; [unrolled: 1-line block ×8, first 2 shown]
	s_waitcnt lgkmcnt(0)
	v_pk_fma_f16 v49, v44, v37, v49
	v_pk_fma_f16 v88, v44, v38, v62
	;; [unrolled: 1-line block ×7, first 2 shown]
	ds_read2_b64 v[40:43], v32 offset0:128 offset1:160
	v_pk_fma_f16 v94, v47, v38, v36
	ds_read2_b64 v[44:47], v32 offset0:192 offset1:224
	s_or_b32 s6, s2, 48
	v_mul_u32_u24_sdwa v95, v39, s31 dst_sel:DWORD dst_unused:UNUSED_PAD src0_sel:WORD_0 src1_sel:DWORD
	s_mul_hi_i32 s7, s6, s11
	s_mul_i32 s6, s6, s11
	v_mul_u32_u24_sdwa v96, v39, s31 dst_sel:DWORD dst_unused:UNUSED_PAD src0_sel:WORD_1 src1_sel:DWORD
	s_waitcnt lgkmcnt(1)
	v_pk_fma_f16 v102, v43, v95, v48
	s_waitcnt lgkmcnt(0)
	v_pk_fma_f16 v104, v44, v95, v49
	v_lshl_add_u64 v[48:49], s[6:7], 2, v[16:17]
	v_pk_fma_f16 v97, v40, v95, v56
	v_pk_fma_f16 v98, v40, v96, v57
	;; [unrolled: 1-line block ×7, first 2 shown]
	ds_read2_b64 v[36:39], v34 offset1:32
	ds_read2_b64 v[40:43], v34 offset0:64 offset1:96
	ds_read2_b64 v[56:59], v34 offset0:128 offset1:160
	ds_read2_b64 v[60:63], v34 offset0:192 offset1:224
	ds_read2_b64 v[64:67], v33 offset1:32
	ds_read2_b64 v[68:71], v33 offset0:64 offset1:96
	ds_read2_b64 v[72:75], v33 offset0:128 offset1:160
	;; [unrolled: 1-line block ×3, first 2 shown]
	s_waitcnt lgkmcnt(0)
	s_barrier
	global_load_dwordx4 v[80:83], v[48:49], off
	global_load_dwordx4 v[84:87], v[48:49], off offset:512
	v_pk_fma_f16 v44, v44, v96, v88
	v_pk_fma_f16 v48, v45, v95, v89
	;; [unrolled: 1-line block ×7, first 2 shown]
	v_mul_u32_u24_sdwa v89, v0, s31 dst_sel:DWORD dst_unused:UNUSED_PAD src0_sel:WORD_0 src1_sel:DWORD
	v_mul_u32_u24_sdwa v0, v0, s31 dst_sel:DWORD dst_unused:UNUSED_PAD src0_sel:WORD_1 src1_sel:DWORD
	v_pk_fma_f16 v90, v36, v89, v97
	v_pk_fma_f16 v36, v36, v0, v98
	;; [unrolled: 1-line block ×16, first 2 shown]
	v_mul_u32_u24_sdwa v43, v1, s31 dst_sel:DWORD dst_unused:UNUSED_PAD src0_sel:WORD_0 src1_sel:DWORD
	v_mul_u32_u24_sdwa v1, v1, s31 dst_sel:DWORD dst_unused:UNUSED_PAD src0_sel:WORD_1 src1_sel:DWORD
	v_pk_fma_f16 v36, v56, v1, v36
	v_pk_fma_f16 v35, v57, v1, v35
	v_pk_fma_f16 v37, v58, v43, v37
	v_pk_fma_f16 v38, v58, v1, v38
	v_pk_fma_f16 v39, v59, v1, v39
	v_pk_fma_f16 v40, v60, v1, v40
	v_pk_fma_f16 v41, v61, v1, v41
	v_pk_fma_f16 v42, v62, v1, v42
	v_pk_fma_f16 v0, v63, v1, v0
	v_mul_u32_u24_sdwa v1, v2, s31 dst_sel:DWORD dst_unused:UNUSED_PAD src0_sel:WORD_0 src1_sel:DWORD
	v_mul_u32_u24_sdwa v2, v2, s31 dst_sel:DWORD dst_unused:UNUSED_PAD src0_sel:WORD_1 src1_sel:DWORD
	v_pk_fma_f16 v36, v64, v2, v36
	v_pk_fma_f16 v35, v65, v2, v35
	v_pk_fma_f16 v37, v66, v1, v37
	v_pk_fma_f16 v38, v66, v2, v38
	v_pk_fma_f16 v39, v67, v2, v39
	v_pk_fma_f16 v40, v68, v2, v40
	v_pk_fma_f16 v41, v69, v2, v41
	v_pk_fma_f16 v42, v70, v2, v42
	v_pk_fma_f16 v0, v71, v2, v0
	v_mul_u32_u24_sdwa v2, v3, s31 dst_sel:DWORD dst_unused:UNUSED_PAD src0_sel:WORD_0 src1_sel:DWORD
	v_mul_u32_u24_sdwa v3, v3, s31 dst_sel:DWORD dst_unused:UNUSED_PAD src0_sel:WORD_1 src1_sel:DWORD
	v_pk_fma_f16 v47, v56, v43, v90
	v_pk_fma_f16 v48, v57, v43, v91
	v_pk_fma_f16 v49, v59, v43, v92
	v_pk_fma_f16 v56, v60, v43, v93
	v_pk_fma_f16 v44, v61, v43, v44
	v_pk_fma_f16 v45, v62, v43, v45
	v_pk_fma_f16 v43, v63, v43, v46
	v_pk_fma_f16 v57, v72, v3, v36
	v_pk_fma_f16 v59, v74, v2, v37
	v_pk_fma_f16 v60, v74, v3, v38
	v_pk_fma_f16 v61, v75, v3, v39
	s_waitcnt vmcnt(1)
	ds_write_b128 v27, v[80:83]
	s_waitcnt vmcnt(0)
	ds_write_b128 v28, v[84:87]
	s_waitcnt lgkmcnt(0)
	s_barrier
	ds_read_b128 v[36:39], v26 offset:192
	v_pk_fma_f16 v46, v64, v1, v47
	v_pk_fma_f16 v47, v65, v1, v48
	v_pk_fma_f16 v48, v67, v1, v49
	v_pk_fma_f16 v49, v68, v1, v56
	v_pk_fma_f16 v44, v69, v1, v44
	v_pk_fma_f16 v45, v70, v1, v45
	v_pk_fma_f16 v1, v71, v1, v43
	v_pk_fma_f16 v56, v72, v2, v46
	v_pk_fma_f16 v58, v73, v2, v47
	v_pk_fma_f16 v35, v73, v3, v35
	v_pk_fma_f16 v48, v75, v2, v48
	v_pk_fma_f16 v49, v76, v2, v49
	v_pk_fma_f16 v62, v76, v3, v40
	v_pk_fma_f16 v63, v77, v2, v44
	v_pk_fma_f16 v64, v77, v3, v41
	v_pk_fma_f16 v65, v78, v2, v45
	v_pk_fma_f16 v66, v78, v3, v42
	v_pk_fma_f16 v67, v79, v2, v1
	v_pk_fma_f16 v68, v79, v3, v0
	ds_read2_b64 v[40:43], v29 offset1:32
	ds_read2_b64 v[44:47], v29 offset0:64 offset1:96
	ds_read_b128 v[0:3], v26 offset:208
	s_waitcnt lgkmcnt(3)
	v_mul_u32_u24_sdwa v69, v36, s31 dst_sel:DWORD dst_unused:UNUSED_PAD src0_sel:WORD_0 src1_sel:DWORD
	v_mul_u32_u24_sdwa v36, v36, s31 dst_sel:DWORD dst_unused:UNUSED_PAD src0_sel:WORD_1 src1_sel:DWORD
	s_waitcnt lgkmcnt(2)
	v_pk_fma_f16 v56, v40, v69, v56
	v_pk_fma_f16 v57, v40, v36, v57
	;; [unrolled: 1-line block ×8, first 2 shown]
	s_waitcnt lgkmcnt(1)
	v_pk_fma_f16 v49, v44, v69, v49
	v_pk_fma_f16 v62, v44, v36, v62
	v_pk_fma_f16 v63, v45, v69, v63
	v_pk_fma_f16 v64, v45, v36, v64
	v_pk_fma_f16 v65, v46, v69, v65
	v_pk_fma_f16 v66, v46, v36, v66
	v_pk_fma_f16 v67, v47, v69, v67
	ds_read2_b64 v[40:43], v29 offset0:128 offset1:160
	v_pk_fma_f16 v36, v47, v36, v68
	ds_read2_b64 v[44:47], v29 offset0:192 offset1:224
	v_mul_u32_u24_sdwa v68, v37, s31 dst_sel:DWORD dst_unused:UNUSED_PAD src0_sel:WORD_0 src1_sel:DWORD
	v_mul_u32_u24_sdwa v37, v37, s31 dst_sel:DWORD dst_unused:UNUSED_PAD src0_sel:WORD_1 src1_sel:DWORD
	s_waitcnt lgkmcnt(1)
	v_pk_fma_f16 v56, v40, v68, v56
	v_pk_fma_f16 v57, v40, v37, v57
	;; [unrolled: 1-line block ×8, first 2 shown]
	s_waitcnt lgkmcnt(0)
	v_pk_fma_f16 v49, v44, v68, v49
	v_pk_fma_f16 v62, v44, v37, v62
	;; [unrolled: 1-line block ×7, first 2 shown]
	ds_read2_b64 v[40:43], v32 offset1:32
	v_pk_fma_f16 v36, v47, v37, v36
	ds_read2_b64 v[44:47], v32 offset0:64 offset1:96
	v_mul_u32_u24_sdwa v37, v38, s31 dst_sel:DWORD dst_unused:UNUSED_PAD src0_sel:WORD_0 src1_sel:DWORD
	v_mul_u32_u24_sdwa v38, v38, s31 dst_sel:DWORD dst_unused:UNUSED_PAD src0_sel:WORD_1 src1_sel:DWORD
	s_waitcnt lgkmcnt(1)
	v_pk_fma_f16 v56, v40, v37, v56
	v_pk_fma_f16 v57, v40, v38, v57
	;; [unrolled: 1-line block ×8, first 2 shown]
	s_waitcnt lgkmcnt(0)
	v_pk_fma_f16 v49, v44, v37, v49
	v_pk_fma_f16 v88, v44, v38, v62
	;; [unrolled: 1-line block ×7, first 2 shown]
	ds_read2_b64 v[40:43], v32 offset0:128 offset1:160
	v_pk_fma_f16 v94, v47, v38, v36
	ds_read2_b64 v[44:47], v32 offset0:192 offset1:224
	s_or_b32 s6, s2, 56
	v_mul_u32_u24_sdwa v95, v39, s31 dst_sel:DWORD dst_unused:UNUSED_PAD src0_sel:WORD_0 src1_sel:DWORD
	s_mul_hi_i32 s7, s6, s11
	s_mul_i32 s6, s6, s11
	v_mul_u32_u24_sdwa v96, v39, s31 dst_sel:DWORD dst_unused:UNUSED_PAD src0_sel:WORD_1 src1_sel:DWORD
	s_waitcnt lgkmcnt(1)
	v_pk_fma_f16 v102, v43, v95, v48
	s_waitcnt lgkmcnt(0)
	v_pk_fma_f16 v104, v44, v95, v49
	v_lshl_add_u64 v[48:49], s[6:7], 2, v[16:17]
	v_pk_fma_f16 v97, v40, v95, v56
	v_pk_fma_f16 v98, v40, v96, v57
	v_pk_fma_f16 v99, v41, v95, v58
	v_pk_fma_f16 v35, v41, v96, v35
	v_pk_fma_f16 v100, v42, v95, v59
	v_pk_fma_f16 v101, v42, v96, v60
	v_pk_fma_f16 v103, v43, v96, v61
	ds_read2_b64 v[36:39], v34 offset1:32
	ds_read2_b64 v[40:43], v34 offset0:64 offset1:96
	ds_read2_b64 v[56:59], v34 offset0:128 offset1:160
	;; [unrolled: 1-line block ×3, first 2 shown]
	ds_read2_b64 v[64:67], v33 offset1:32
	ds_read2_b64 v[68:71], v33 offset0:64 offset1:96
	ds_read2_b64 v[72:75], v33 offset0:128 offset1:160
	;; [unrolled: 1-line block ×3, first 2 shown]
	s_waitcnt lgkmcnt(0)
	s_barrier
	global_load_dwordx4 v[80:83], v[48:49], off
	global_load_dwordx4 v[84:87], v[48:49], off offset:512
	v_pk_fma_f16 v44, v44, v96, v88
	v_pk_fma_f16 v48, v45, v95, v89
	v_pk_fma_f16 v45, v45, v96, v90
	v_pk_fma_f16 v49, v46, v95, v91
	v_pk_fma_f16 v46, v46, v96, v92
	v_pk_fma_f16 v88, v47, v95, v93
	v_pk_fma_f16 v47, v47, v96, v94
	v_mul_u32_u24_sdwa v89, v0, s31 dst_sel:DWORD dst_unused:UNUSED_PAD src0_sel:WORD_0 src1_sel:DWORD
	v_mul_u32_u24_sdwa v0, v0, s31 dst_sel:DWORD dst_unused:UNUSED_PAD src0_sel:WORD_1 src1_sel:DWORD
	v_pk_fma_f16 v90, v36, v89, v97
	v_pk_fma_f16 v36, v36, v0, v98
	v_pk_fma_f16 v91, v37, v89, v99
	v_pk_fma_f16 v35, v37, v0, v35
	v_pk_fma_f16 v37, v38, v89, v100
	v_pk_fma_f16 v38, v38, v0, v101
	v_pk_fma_f16 v92, v39, v89, v102
	v_pk_fma_f16 v39, v39, v0, v103
	v_pk_fma_f16 v93, v40, v89, v104
	v_pk_fma_f16 v40, v40, v0, v44
	v_pk_fma_f16 v44, v41, v89, v48
	v_pk_fma_f16 v41, v41, v0, v45
	v_pk_fma_f16 v45, v42, v89, v49
	v_pk_fma_f16 v42, v42, v0, v46
	v_pk_fma_f16 v46, v43, v89, v88
	v_pk_fma_f16 v0, v43, v0, v47
	v_mul_u32_u24_sdwa v43, v1, s31 dst_sel:DWORD dst_unused:UNUSED_PAD src0_sel:WORD_0 src1_sel:DWORD
	v_mul_u32_u24_sdwa v1, v1, s31 dst_sel:DWORD dst_unused:UNUSED_PAD src0_sel:WORD_1 src1_sel:DWORD
	v_pk_fma_f16 v47, v56, v43, v90
	v_pk_fma_f16 v36, v56, v1, v36
	v_pk_fma_f16 v48, v57, v43, v91
	v_pk_fma_f16 v35, v57, v1, v35
	v_pk_fma_f16 v37, v58, v43, v37
	v_pk_fma_f16 v38, v58, v1, v38
	v_pk_fma_f16 v49, v59, v43, v92
	v_pk_fma_f16 v39, v59, v1, v39
	v_pk_fma_f16 v56, v60, v43, v93
	v_pk_fma_f16 v40, v60, v1, v40
	v_pk_fma_f16 v44, v61, v43, v44
	v_pk_fma_f16 v41, v61, v1, v41
	v_pk_fma_f16 v45, v62, v43, v45
	v_pk_fma_f16 v42, v62, v1, v42
	v_pk_fma_f16 v43, v63, v43, v46
	v_pk_fma_f16 v0, v63, v1, v0
	v_mul_u32_u24_sdwa v1, v2, s31 dst_sel:DWORD dst_unused:UNUSED_PAD src0_sel:WORD_0 src1_sel:DWORD
	v_mul_u32_u24_sdwa v2, v2, s31 dst_sel:DWORD dst_unused:UNUSED_PAD src0_sel:WORD_1 src1_sel:DWORD
	v_pk_fma_f16 v46, v64, v1, v47
	v_pk_fma_f16 v47, v65, v1, v48
	v_pk_fma_f16 v37, v66, v1, v37
	v_pk_fma_f16 v48, v67, v1, v49
	v_pk_fma_f16 v49, v68, v1, v56
	v_pk_fma_f16 v44, v69, v1, v44
	v_pk_fma_f16 v45, v70, v1, v45
	v_pk_fma_f16 v1, v71, v1, v43
	v_pk_fma_f16 v43, v71, v2, v0
	v_mul_u32_u24_sdwa v0, v3, s31 dst_sel:DWORD dst_unused:UNUSED_PAD src0_sel:WORD_0 src1_sel:DWORD
	v_pk_fma_f16 v36, v64, v2, v36
	v_pk_fma_f16 v35, v65, v2, v35
	v_pk_fma_f16 v38, v66, v2, v38
	v_pk_fma_f16 v39, v67, v2, v39
	v_pk_fma_f16 v40, v68, v2, v40
	v_pk_fma_f16 v41, v69, v2, v41
	v_pk_fma_f16 v42, v70, v2, v42
	v_mul_u32_u24_sdwa v56, v3, s31 dst_sel:DWORD dst_unused:UNUSED_PAD src0_sel:WORD_1 src1_sel:DWORD
	v_pk_fma_f16 v57, v72, v0, v46
	v_pk_fma_f16 v59, v73, v0, v47
	;; [unrolled: 1-line block ×8, first 2 shown]
	s_waitcnt vmcnt(1)
	ds_write_b128 v27, v[80:83]
	s_waitcnt vmcnt(0)
	ds_write_b128 v28, v[84:87]
	s_waitcnt lgkmcnt(0)
	s_barrier
	ds_read_b128 v[0:3], v26 offset:224
	v_pk_fma_f16 v58, v72, v56, v36
	v_pk_fma_f16 v35, v73, v56, v35
	;; [unrolled: 1-line block ×8, first 2 shown]
	ds_read2_b64 v[36:39], v29 offset1:32
	ds_read2_b64 v[40:43], v29 offset0:64 offset1:96
	ds_read_b128 v[44:47], v26 offset:240
	s_waitcnt lgkmcnt(3)
	v_mul_u32_u24_sdwa v69, v0, s31 dst_sel:DWORD dst_unused:UNUSED_PAD src0_sel:WORD_0 src1_sel:DWORD
	v_mul_u32_u24_sdwa v0, v0, s31 dst_sel:DWORD dst_unused:UNUSED_PAD src0_sel:WORD_1 src1_sel:DWORD
	s_waitcnt lgkmcnt(2)
	v_pk_fma_f16 v57, v36, v69, v57
	v_pk_fma_f16 v58, v36, v0, v58
	;; [unrolled: 1-line block ×8, first 2 shown]
	s_waitcnt lgkmcnt(1)
	v_pk_fma_f16 v49, v40, v69, v49
	v_pk_fma_f16 v63, v40, v0, v63
	;; [unrolled: 1-line block ×7, first 2 shown]
	ds_read2_b64 v[36:39], v29 offset0:128 offset1:160
	v_pk_fma_f16 v0, v43, v0, v56
	ds_read2_b64 v[40:43], v29 offset0:192 offset1:224
	v_mul_u32_u24_sdwa v56, v1, s31 dst_sel:DWORD dst_unused:UNUSED_PAD src0_sel:WORD_0 src1_sel:DWORD
	v_mul_u32_u24_sdwa v1, v1, s31 dst_sel:DWORD dst_unused:UNUSED_PAD src0_sel:WORD_1 src1_sel:DWORD
	s_waitcnt lgkmcnt(1)
	v_pk_fma_f16 v57, v36, v56, v57
	v_pk_fma_f16 v58, v36, v1, v58
	;; [unrolled: 1-line block ×8, first 2 shown]
	s_waitcnt lgkmcnt(0)
	v_pk_fma_f16 v49, v40, v56, v49
	v_pk_fma_f16 v63, v40, v1, v63
	;; [unrolled: 1-line block ×7, first 2 shown]
	ds_read2_b64 v[36:39], v32 offset1:32
	v_pk_fma_f16 v0, v43, v1, v0
	ds_read2_b64 v[40:43], v32 offset0:64 offset1:96
	v_mul_u32_u24_sdwa v1, v2, s31 dst_sel:DWORD dst_unused:UNUSED_PAD src0_sel:WORD_0 src1_sel:DWORD
	v_mul_u32_u24_sdwa v2, v2, s31 dst_sel:DWORD dst_unused:UNUSED_PAD src0_sel:WORD_1 src1_sel:DWORD
	s_waitcnt lgkmcnt(1)
	v_pk_fma_f16 v57, v36, v1, v57
	v_pk_fma_f16 v58, v36, v2, v58
	;; [unrolled: 1-line block ×8, first 2 shown]
	s_waitcnt lgkmcnt(0)
	v_pk_fma_f16 v49, v40, v1, v49
	v_pk_fma_f16 v63, v40, v2, v63
	;; [unrolled: 1-line block ×7, first 2 shown]
	ds_read2_b64 v[36:39], v32 offset0:128 offset1:160
	v_pk_fma_f16 v56, v43, v2, v0
	ds_read2_b64 v[40:43], v32 offset0:192 offset1:224
	v_mul_u32_u24_sdwa v0, v3, s31 dst_sel:DWORD dst_unused:UNUSED_PAD src0_sel:WORD_0 src1_sel:DWORD
	v_mul_u32_u24_sdwa v32, v3, s31 dst_sel:DWORD dst_unused:UNUSED_PAD src0_sel:WORD_1 src1_sel:DWORD
	s_waitcnt lgkmcnt(1)
	v_pk_fma_f16 v57, v36, v0, v57
	v_pk_fma_f16 v59, v37, v0, v59
	;; [unrolled: 1-line block ×4, first 2 shown]
	s_waitcnt lgkmcnt(0)
	v_pk_fma_f16 v49, v40, v0, v49
	v_pk_fma_f16 v40, v40, v32, v63
	;; [unrolled: 1-line block ×6, first 2 shown]
	ds_read2_b64 v[0:3], v34 offset1:32
	v_pk_fma_f16 v58, v36, v32, v58
	v_pk_fma_f16 v35, v37, v32, v35
	;; [unrolled: 1-line block ×6, first 2 shown]
	ds_read2_b64 v[36:39], v34 offset0:64 offset1:96
	v_mul_u32_u24_sdwa v43, v44, s31 dst_sel:DWORD dst_unused:UNUSED_PAD src0_sel:WORD_0 src1_sel:DWORD
	v_mul_u32_u24_sdwa v44, v44, s31 dst_sel:DWORD dst_unused:UNUSED_PAD src0_sel:WORD_1 src1_sel:DWORD
	s_waitcnt lgkmcnt(1)
	v_pk_fma_f16 v56, v0, v43, v57
	v_pk_fma_f16 v57, v0, v44, v58
	;; [unrolled: 1-line block ×8, first 2 shown]
	ds_read2_b64 v[0:3], v34 offset0:128 offset1:160
	s_waitcnt lgkmcnt(1)
	v_pk_fma_f16 v49, v36, v43, v49
	v_pk_fma_f16 v40, v36, v44, v40
	v_pk_fma_f16 v63, v37, v43, v63
	v_pk_fma_f16 v41, v37, v44, v41
	v_pk_fma_f16 v64, v38, v43, v64
	v_pk_fma_f16 v38, v38, v44, v42
	v_pk_fma_f16 v42, v39, v43, v65
	v_pk_fma_f16 v32, v39, v44, v32
	ds_read2_b64 v[34:37], v34 offset0:192 offset1:224
	v_mul_u32_u24_sdwa v39, v45, s31 dst_sel:DWORD dst_unused:UNUSED_PAD src0_sel:WORD_0 src1_sel:DWORD
	v_mul_u32_u24_sdwa v43, v45, s31 dst_sel:DWORD dst_unused:UNUSED_PAD src0_sel:WORD_1 src1_sel:DWORD
	s_waitcnt lgkmcnt(1)
	v_pk_fma_f16 v44, v0, v39, v56
	v_pk_fma_f16 v45, v0, v43, v57
	;; [unrolled: 1-line block ×8, first 2 shown]
	ds_read2_b64 v[0:3], v33 offset1:32
	s_waitcnt lgkmcnt(1)
	v_pk_fma_f16 v49, v34, v39, v49
	v_pk_fma_f16 v40, v34, v43, v40
	;; [unrolled: 1-line block ×8, first 2 shown]
	v_mul_u32_u24_sdwa v42, v46, s31 dst_sel:DWORD dst_unused:UNUSED_PAD src0_sel:WORD_0 src1_sel:DWORD
	v_mul_u32_u24_sdwa v43, v46, s31 dst_sel:DWORD dst_unused:UNUSED_PAD src0_sel:WORD_1 src1_sel:DWORD
	ds_read2_b64 v[34:37], v33 offset0:64 offset1:96
	s_waitcnt lgkmcnt(1)
	v_pk_fma_f16 v44, v0, v42, v44
	v_pk_fma_f16 v45, v0, v43, v45
	;; [unrolled: 1-line block ×8, first 2 shown]
	ds_read2_b64 v[0:3], v33 offset0:128 offset1:160
	ds_read2_b64 v[56:59], v33 offset0:192 offset1:224
	s_waitcnt lgkmcnt(0)
	s_barrier
	s_load_dword s6, s[4:5], 0x4
	v_pk_fma_f16 v49, v34, v42, v49
	v_pk_fma_f16 v34, v34, v43, v40
	;; [unrolled: 1-line block ×4, first 2 shown]
	s_waitcnt lgkmcnt(0)
	s_lshl_b32 s6, s6, 6
	v_pk_fma_f16 v41, v36, v42, v62
	v_pk_fma_f16 v62, v36, v43, v38
	;; [unrolled: 1-line block ×4, first 2 shown]
	v_mul_u32_u24_sdwa v67, v47, s31 dst_sel:DWORD dst_unused:UNUSED_PAD src0_sel:WORD_0 src1_sel:DWORD
	v_mul_u32_u24_sdwa v68, v47, s31 dst_sel:DWORD dst_unused:UNUSED_PAD src0_sel:WORD_1 src1_sel:DWORD
	s_add_i32 s2, s6, s2
	v_pk_fma_f16 v40, v0, v67, v44
	v_pk_fma_f16 v36, v0, v68, v45
	;; [unrolled: 1-line block ×15, first 2 shown]
	s_cmp_ge_i32 s2, s24
	v_pk_fma_f16 v32, v59, v68, v32
	s_cbranch_scc1 .LBB30_7
; %bb.38:                               ;   in Loop: Header=BB30_21 Depth=1
	v_mov_b32_e32 v49, v18
	v_mov_b32_e32 v48, v19
	s_branch .LBB30_21
	.section	.rodata,"a",@progbits
	.p2align	6, 0x0
	.amdhsa_kernel _ZL15flash_attn_tileILi512ELi512ELi4ELi4ELb1EEvPKcS1_S1_S1_S1_PKiPfP15HIP_vector_typeIfLj2EEffffjfiS5_IjLj3EEiiiiiiiiiiiliiliiiiil
		.amdhsa_group_segment_fixed_size 27648
		.amdhsa_private_segment_fixed_size 0
		.amdhsa_kernarg_size 464
		.amdhsa_user_sgpr_count 2
		.amdhsa_user_sgpr_dispatch_ptr 0
		.amdhsa_user_sgpr_queue_ptr 0
		.amdhsa_user_sgpr_kernarg_segment_ptr 1
		.amdhsa_user_sgpr_dispatch_id 0
		.amdhsa_user_sgpr_kernarg_preload_length 0
		.amdhsa_user_sgpr_kernarg_preload_offset 0
		.amdhsa_user_sgpr_private_segment_size 0
		.amdhsa_uses_dynamic_stack 0
		.amdhsa_enable_private_segment 0
		.amdhsa_system_sgpr_workgroup_id_x 1
		.amdhsa_system_sgpr_workgroup_id_y 1
		.amdhsa_system_sgpr_workgroup_id_z 1
		.amdhsa_system_sgpr_workgroup_info 0
		.amdhsa_system_vgpr_workitem_id 1
		.amdhsa_next_free_vgpr 105
		.amdhsa_next_free_sgpr 96
		.amdhsa_accum_offset 108
		.amdhsa_reserve_vcc 1
		.amdhsa_float_round_mode_32 0
		.amdhsa_float_round_mode_16_64 0
		.amdhsa_float_denorm_mode_32 3
		.amdhsa_float_denorm_mode_16_64 3
		.amdhsa_dx10_clamp 1
		.amdhsa_ieee_mode 1
		.amdhsa_fp16_overflow 0
		.amdhsa_tg_split 0
		.amdhsa_exception_fp_ieee_invalid_op 0
		.amdhsa_exception_fp_denorm_src 0
		.amdhsa_exception_fp_ieee_div_zero 0
		.amdhsa_exception_fp_ieee_overflow 0
		.amdhsa_exception_fp_ieee_underflow 0
		.amdhsa_exception_fp_ieee_inexact 0
		.amdhsa_exception_int_div_zero 0
	.end_amdhsa_kernel
	.section	.text._ZL15flash_attn_tileILi512ELi512ELi4ELi4ELb1EEvPKcS1_S1_S1_S1_PKiPfP15HIP_vector_typeIfLj2EEffffjfiS5_IjLj3EEiiiiiiiiiiiliiliiiiil,"axG",@progbits,_ZL15flash_attn_tileILi512ELi512ELi4ELi4ELb1EEvPKcS1_S1_S1_S1_PKiPfP15HIP_vector_typeIfLj2EEffffjfiS5_IjLj3EEiiiiiiiiiiiliiliiiiil,comdat
.Lfunc_end30:
	.size	_ZL15flash_attn_tileILi512ELi512ELi4ELi4ELb1EEvPKcS1_S1_S1_S1_PKiPfP15HIP_vector_typeIfLj2EEffffjfiS5_IjLj3EEiiiiiiiiiiiliiliiiiil, .Lfunc_end30-_ZL15flash_attn_tileILi512ELi512ELi4ELi4ELb1EEvPKcS1_S1_S1_S1_PKiPfP15HIP_vector_typeIfLj2EEffffjfiS5_IjLj3EEiiiiiiiiiiiliiliiiiil
                                        ; -- End function
	.set _ZL15flash_attn_tileILi512ELi512ELi4ELi4ELb1EEvPKcS1_S1_S1_S1_PKiPfP15HIP_vector_typeIfLj2EEffffjfiS5_IjLj3EEiiiiiiiiiiiliiliiiiil.num_vgpr, 105
	.set _ZL15flash_attn_tileILi512ELi512ELi4ELi4ELb1EEvPKcS1_S1_S1_S1_PKiPfP15HIP_vector_typeIfLj2EEffffjfiS5_IjLj3EEiiiiiiiiiiiliiliiiiil.num_agpr, 0
	.set _ZL15flash_attn_tileILi512ELi512ELi4ELi4ELb1EEvPKcS1_S1_S1_S1_PKiPfP15HIP_vector_typeIfLj2EEffffjfiS5_IjLj3EEiiiiiiiiiiiliiliiiiil.numbered_sgpr, 40
	.set _ZL15flash_attn_tileILi512ELi512ELi4ELi4ELb1EEvPKcS1_S1_S1_S1_PKiPfP15HIP_vector_typeIfLj2EEffffjfiS5_IjLj3EEiiiiiiiiiiiliiliiiiil.num_named_barrier, 0
	.set _ZL15flash_attn_tileILi512ELi512ELi4ELi4ELb1EEvPKcS1_S1_S1_S1_PKiPfP15HIP_vector_typeIfLj2EEffffjfiS5_IjLj3EEiiiiiiiiiiiliiliiiiil.private_seg_size, 0
	.set _ZL15flash_attn_tileILi512ELi512ELi4ELi4ELb1EEvPKcS1_S1_S1_S1_PKiPfP15HIP_vector_typeIfLj2EEffffjfiS5_IjLj3EEiiiiiiiiiiiliiliiiiil.uses_vcc, 1
	.set _ZL15flash_attn_tileILi512ELi512ELi4ELi4ELb1EEvPKcS1_S1_S1_S1_PKiPfP15HIP_vector_typeIfLj2EEffffjfiS5_IjLj3EEiiiiiiiiiiiliiliiiiil.uses_flat_scratch, 0
	.set _ZL15flash_attn_tileILi512ELi512ELi4ELi4ELb1EEvPKcS1_S1_S1_S1_PKiPfP15HIP_vector_typeIfLj2EEffffjfiS5_IjLj3EEiiiiiiiiiiiliiliiiiil.has_dyn_sized_stack, 0
	.set _ZL15flash_attn_tileILi512ELi512ELi4ELi4ELb1EEvPKcS1_S1_S1_S1_PKiPfP15HIP_vector_typeIfLj2EEffffjfiS5_IjLj3EEiiiiiiiiiiiliiliiiiil.has_recursion, 0
	.set _ZL15flash_attn_tileILi512ELi512ELi4ELi4ELb1EEvPKcS1_S1_S1_S1_PKiPfP15HIP_vector_typeIfLj2EEffffjfiS5_IjLj3EEiiiiiiiiiiiliiliiiiil.has_indirect_call, 0
	.section	.AMDGPU.csdata,"",@progbits
; Kernel info:
; codeLenInByte = 39624
; TotalNumSgprs: 46
; NumVgprs: 105
; NumAgprs: 0
; TotalNumVgprs: 105
; ScratchSize: 0
; MemoryBound: 0
; FloatMode: 240
; IeeeMode: 1
; LDSByteSize: 27648 bytes/workgroup (compile time only)
; SGPRBlocks: 12
; VGPRBlocks: 13
; NumSGPRsForWavesPerEU: 102
; NumVGPRsForWavesPerEU: 105
; AccumOffset: 108
; Occupancy: 4
; WaveLimiterHint : 1
; COMPUTE_PGM_RSRC2:SCRATCH_EN: 0
; COMPUTE_PGM_RSRC2:USER_SGPR: 2
; COMPUTE_PGM_RSRC2:TRAP_HANDLER: 0
; COMPUTE_PGM_RSRC2:TGID_X_EN: 1
; COMPUTE_PGM_RSRC2:TGID_Y_EN: 1
; COMPUTE_PGM_RSRC2:TGID_Z_EN: 1
; COMPUTE_PGM_RSRC2:TIDIG_COMP_CNT: 1
; COMPUTE_PGM_RSRC3_GFX90A:ACCUM_OFFSET: 26
; COMPUTE_PGM_RSRC3_GFX90A:TG_SPLIT: 0
	.section	.text._ZL15flash_attn_tileILi512ELi512ELi2ELi4ELb1EEvPKcS1_S1_S1_S1_PKiPfP15HIP_vector_typeIfLj2EEffffjfiS5_IjLj3EEiiiiiiiiiiiliiliiiiil,"axG",@progbits,_ZL15flash_attn_tileILi512ELi512ELi2ELi4ELb1EEvPKcS1_S1_S1_S1_PKiPfP15HIP_vector_typeIfLj2EEffffjfiS5_IjLj3EEiiiiiiiiiiiliiliiiiil,comdat
	.globl	_ZL15flash_attn_tileILi512ELi512ELi2ELi4ELb1EEvPKcS1_S1_S1_S1_PKiPfP15HIP_vector_typeIfLj2EEffffjfiS5_IjLj3EEiiiiiiiiiiiliiliiiiil ; -- Begin function _ZL15flash_attn_tileILi512ELi512ELi2ELi4ELb1EEvPKcS1_S1_S1_S1_PKiPfP15HIP_vector_typeIfLj2EEffffjfiS5_IjLj3EEiiiiiiiiiiiliiliiiiil
	.p2align	8
	.type	_ZL15flash_attn_tileILi512ELi512ELi2ELi4ELb1EEvPKcS1_S1_S1_S1_PKiPfP15HIP_vector_typeIfLj2EEffffjfiS5_IjLj3EEiiiiiiiiiiiliiliiiiil,@function
_ZL15flash_attn_tileILi512ELi512ELi2ELi4ELb1EEvPKcS1_S1_S1_S1_PKiPfP15HIP_vector_typeIfLj2EEffffjfiS5_IjLj3EEiiiiiiiiiiiliiliiiiil: ; @_ZL15flash_attn_tileILi512ELi512ELi2ELi4ELb1EEvPKcS1_S1_S1_S1_PKiPfP15HIP_vector_typeIfLj2EEffffjfiS5_IjLj3EEiiiiiiiiiiiliiliiiiil
; %bb.0:
	s_load_dwordx4 s[20:23], s[0:1], 0x5c
	s_load_dwordx2 s[28:29], s[0:1], 0x80
	s_load_dwordx2 s[34:35], s[0:1], 0xb8
	s_mov_b64 s[30:31], 0
	s_waitcnt lgkmcnt(0)
	s_ashr_i32 s5, s23, 31
	s_lshr_b32 s5, s5, 30
	s_add_i32 s5, s23, s5
	s_ashr_i32 s5, s5, 2
	v_cvt_f32_u32_e32 v1, s5
	s_sub_i32 s6, 0, s5
	v_rcp_iflag_f32_e32 v1, v1
	s_nop 0
	v_mul_f32_e32 v1, 0x4f7ffffe, v1
	v_cvt_u32_f32_e32 v1, v1
	s_nop 0
	v_readfirstlane_b32 s7, v1
	s_mul_i32 s6, s6, s7
	s_mul_hi_u32 s6, s7, s6
	s_add_i32 s7, s7, s6
	s_mul_hi_u32 s6, s4, s7
	s_mul_i32 s7, s6, s5
	s_sub_i32 s7, s4, s7
	s_add_i32 s8, s6, 1
	s_sub_i32 s9, s7, s5
	s_cmp_ge_u32 s7, s5
	s_cselect_b32 s6, s8, s6
	s_cselect_b32 s7, s9, s7
	s_add_i32 s8, s6, 1
	s_cmp_ge_u32 s7, s5
	s_cselect_b32 s33, s8, s6
	s_abs_i32 s5, s29
	v_cvt_f32_u32_e32 v1, s5
	s_lshl_b32 s4, s4, 2
	s_mul_i32 s8, s33, s23
	s_xor_b32 s6, s23, s29
	v_rcp_iflag_f32_e32 v1, v1
	s_sub_i32 s9, 0, s5
	s_sub_i32 s29, s4, s8
	s_abs_i32 s7, s23
	v_mul_f32_e32 v1, 0x4f7ffffe, v1
	v_cvt_u32_f32_e32 v1, v1
	s_ashr_i32 s6, s6, 31
	v_readfirstlane_b32 s4, v1
	s_mul_i32 s9, s9, s4
	s_mul_hi_u32 s8, s4, s9
	s_add_i32 s4, s4, s8
	s_mul_hi_u32 s4, s7, s4
	s_mul_i32 s8, s4, s5
	s_sub_i32 s7, s7, s8
	s_add_i32 s9, s4, 1
	s_sub_i32 s8, s7, s5
	s_cmp_ge_u32 s7, s5
	s_cselect_b32 s4, s9, s4
	s_cselect_b32 s7, s8, s7
	s_add_i32 s8, s4, 1
	s_cmp_ge_u32 s7, s5
	s_cselect_b32 s4, s8, s4
	s_xor_b32 s4, s4, s6
	s_sub_i32 s37, s4, s6
	s_abs_i32 s36, s37
	v_cvt_f32_u32_e32 v1, s36
	s_load_dwordx16 s[4:19], s[0:1], 0x0
	v_rcp_iflag_f32_e32 v1, v1
	s_waitcnt lgkmcnt(0)
	s_cmp_eq_u64 s[10:11], 0
	v_mul_f32_e32 v1, 0x4f7ffffe, v1
	v_cvt_u32_f32_e32 v1, v1
	s_nop 0
	v_readfirstlane_b32 s38, v1
	s_cbranch_scc1 .LBB31_2
; %bb.1:
	s_abs_i32 s26, s34
	v_cvt_f32_u32_e32 v1, s26
	s_sub_i32 s31, 0, s26
	s_abs_i32 s30, s33
	s_ashr_i32 s27, s33, 31
	v_rcp_iflag_f32_e32 v1, v1
	s_load_dwordx2 s[24:25], s[0:1], 0xc8
	v_mul_f32_e32 v1, 0x4f7ffffe, v1
	v_cvt_u32_f32_e32 v1, v1
	s_nop 0
	v_readfirstlane_b32 s34, v1
	s_mul_i32 s31, s31, s34
	s_mul_hi_u32 s31, s34, s31
	s_add_i32 s34, s34, s31
	s_mul_hi_u32 s31, s30, s34
	s_mul_i32 s31, s31, s26
	s_sub_i32 s30, s30, s31
	s_sub_i32 s31, s30, s26
	s_cmp_ge_u32 s30, s26
	s_cselect_b32 s30, s31, s30
	s_sub_i32 s31, s30, s26
	s_cmp_ge_u32 s30, s26
	s_cselect_b32 s26, s31, s30
	s_xor_b32 s26, s26, s27
	s_sub_i32 s26, s26, s27
	s_ashr_i32 s27, s26, 31
	s_waitcnt lgkmcnt(0)
	s_mul_hi_u32 s30, s24, s26
	s_mul_i32 s27, s24, s27
	s_mul_i32 s25, s25, s26
	s_add_i32 s27, s30, s27
	s_add_i32 s27, s27, s25
	s_mul_i32 s24, s24, s26
	s_add_u32 s30, s10, s24
	s_addc_u32 s31, s11, s27
.LBB31_2:
	s_load_dwordx4 s[24:27], s[0:1], 0x70
	v_lshrrev_b32_e32 v1, 10, v0
	v_bfe_u32 v1, v1, 2, 8
	v_lshl_add_u32 v16, s2, 1, v1
	v_bfe_u32 v3, v0, 10, 2
	s_waitcnt lgkmcnt(0)
	s_mul_i32 s10, s33, s26
	s_ashr_i32 s26, s10, 31
	s_mul_i32 s11, s29, s25
	s_add_u32 s4, s4, s10
	s_addc_u32 s5, s5, s26
	s_ashr_i32 s10, s11, 31
	s_add_u32 s4, s4, s11
	s_addc_u32 s5, s5, s10
	s_ashr_i32 s11, s25, 31
	s_mov_b32 s10, s25
	s_lshr_b64 s[26:27], s[10:11], 2
	v_mul_hi_u32 v1, s20, v16
	s_lshr_b32 s25, s11, 2
	v_mad_u64_u32 v[4:5], s[10:11], s26, v3, 0
	v_add_u32_e32 v1, v16, v1
	v_mov_b32_e32 v2, v5
	v_lshrrev_b32_e32 v1, s21, v1
	v_mad_u64_u32 v[6:7], s[10:11], s25, v3, v[2:3]
	v_mul_lo_u32 v1, v1, s22
	s_ashr_i32 s25, s24, 31
	v_sub_u32_e32 v8, v16, v1
	s_lshr_b64 s[10:11], s[24:25], 2
	v_mov_b32_e32 v5, v6
	v_mad_u64_u32 v[6:7], s[10:11], s10, v8, 0
	v_mov_b32_e32 v2, v7
	s_lshr_b32 s10, s25, 2
	v_mad_u64_u32 v[10:11], s[10:11], s10, v8, v[2:3]
	v_mov_b32_e32 v7, v10
	v_and_b32_e32 v2, 0x3ff, v0
	v_lshl_add_u64 v[4:5], v[4:5], 2, s[4:5]
	v_mov_b32_e32 v11, 0
	v_lshl_add_u64 v[4:5], v[6:7], 2, v[4:5]
	v_lshlrev_b32_e32 v10, 4, v2
	v_lshl_add_u64 v[10:11], v[4:5], 0, v[10:11]
	global_load_dwordx4 v[4:7], v[10:11], off
	global_load_dwordx4 v[12:15], v[10:11], off offset:512
	global_load_dwordx4 v[20:23], v[10:11], off offset:1024
	;; [unrolled: 1-line block ×3, first 2 shown]
	s_load_dword s4, s[0:1], 0x40
	v_bfe_u32 v10, v0, 10, 10
	v_lshlrev_b32_e32 v11, 10, v10
	v_lshlrev_b32_e32 v18, 3, v2
	v_add_u32_e32 v19, 0x2400, v11
	v_add_u32_e32 v9, v19, v18
	s_cmp_eq_u64 s[14:15], 0
	s_waitcnt vmcnt(3) lgkmcnt(0)
	v_fma_mixlo_f16 v0, s4, v4, 0
	v_fma_mixlo_f16 v1, s4, v5, 0
	;; [unrolled: 1-line block ×4, first 2 shown]
	s_waitcnt vmcnt(2)
	v_fma_mixlo_f16 v6, s4, v12, 0
	v_fma_mixlo_f16 v7, s4, v13, 0
	;; [unrolled: 1-line block ×4, first 2 shown]
	s_waitcnt vmcnt(1)
	v_fma_mixlo_f16 v14, s4, v20, 0
	v_fma_mixlo_f16 v15, s4, v21, 0
	;; [unrolled: 1-line block ×3, first 2 shown]
	s_waitcnt vmcnt(0)
	v_fma_mixlo_f16 v21, s4, v24, 0
	v_fma_mixlo_f16 v22, s4, v25, 0
	v_lshlrev_b32_e32 v1, 16, v1
	v_and_b32_e32 v0, 0xffff, v0
	v_lshlrev_b32_e32 v5, 16, v5
	v_and_b32_e32 v4, 0xffff, v4
	v_lshlrev_b32_e32 v7, 16, v7
	v_and_b32_e32 v6, 0xffff, v6
	v_fma_mixlo_f16 v20, s4, v23, 0
	v_fma_mixlo_f16 v23, s4, v26, 0
	;; [unrolled: 1-line block ×3, first 2 shown]
	v_lshlrev_b32_e32 v13, 16, v13
	v_and_b32_e32 v12, 0xffff, v12
	v_lshlrev_b32_e32 v15, 16, v15
	v_and_b32_e32 v14, 0xffff, v14
	;; [unrolled: 2-line block ×3, first 2 shown]
	v_or_b32_e32 v0, v1, v0
	v_or3_b32 v1, v5, v4, 0
	v_or_b32_e32 v4, v7, v6
	v_lshlrev_b32_e32 v20, 16, v20
	v_and_b32_e32 v17, 0xffff, v17
	v_lshlrev_b32_e32 v24, 16, v24
	v_and_b32_e32 v23, 0xffff, v23
	v_or3_b32 v5, v13, v12, 0
	v_or_b32_e32 v6, v15, v14
	v_or_b32_e32 v12, v22, v21
	v_or3_b32 v0, 0, 0, v0
	v_or3_b32 v4, 0, 0, v4
	;; [unrolled: 1-line block ×6, first 2 shown]
	ds_write2_b64 v9, v[0:1], v[4:5] offset1:32
	ds_write2_b64 v9, v[6:7], v[12:13] offset0:64 offset1:96
	s_waitcnt lgkmcnt(0)
	s_barrier
	s_cbranch_scc1 .LBB31_4
; %bb.3:
	s_load_dword s4, s[0:1], 0xd0
	s_mov_b32 s5, 0
	s_waitcnt lgkmcnt(0)
	s_mul_i32 s4, s4, s33
	s_add_i32 s4, s4, s2
	s_lshl_b64 s[4:5], s[4:5], 2
	s_add_u32 s4, s14, s4
	s_addc_u32 s5, s15, s5
	s_load_dword s28, s[4:5], 0x0
.LBB31_4:
	s_lshl_b32 s2, s3, 6
	v_lshlrev_b32_e32 v17, 2, v2
	s_waitcnt lgkmcnt(0)
	s_cmp_lt_i32 s2, s28
	v_mbcnt_lo_u32_b32 v12, -1, 0
	s_cbranch_scc1 .LBB31_10
; %bb.5:
	v_mbcnt_hi_u32_b32 v9, -1, v12
	v_and_b32_e32 v0, 0x60, v9
	v_add_u32_e32 v15, 32, v0
	v_xor_b32_e32 v14, 16, v9
	v_xor_b32_e32 v13, 8, v9
	;; [unrolled: 1-line block ×5, first 2 shown]
	s_cbranch_execz .LBB31_11
; %bb.6:
	v_mov_b32_e32 v35, 0
	v_mov_b32_e32 v42, 0
	;; [unrolled: 1-line block ×10, first 2 shown]
.LBB31_7:
	v_cmp_lt_i32_e32 vcc, v14, v15
	s_cmp_lg_u64 s[12:13], 0
	s_cselect_b64 s[4:5], -1, 0
	v_cndmask_b32_e32 v0, v9, v14, vcc
	v_lshlrev_b32_e32 v0, 2, v0
	ds_bpermute_b32 v0, v0, v42
	v_cmp_lt_i32_e32 vcc, v13, v15
	s_cmp_eq_u32 s3, 0
	s_cselect_b64 s[6:7], -1, 0
	v_cndmask_b32_e32 v1, v9, v13, vcc
	v_lshlrev_b32_e32 v1, 2, v1
	s_waitcnt lgkmcnt(0)
	v_add_f32_e32 v0, v42, v0
	ds_bpermute_b32 v1, v1, v0
	v_cmp_lt_i32_e32 vcc, v39, v15
	s_and_b64 s[4:5], s[6:7], s[4:5]
	s_waitcnt lgkmcnt(0)
	v_add_f32_e32 v0, v0, v1
	v_cndmask_b32_e32 v4, v9, v39, vcc
	v_lshlrev_b32_e32 v4, 2, v4
	ds_bpermute_b32 v1, v4, v0
	v_cmp_lt_i32_e32 vcc, v40, v15
	s_waitcnt lgkmcnt(0)
	v_add_f32_e32 v0, v0, v1
	v_cndmask_b32_e32 v4, v9, v40, vcc
	v_lshlrev_b32_e32 v4, 2, v4
	ds_bpermute_b32 v1, v4, v0
	v_cmp_lt_i32_e32 vcc, v41, v15
	s_waitcnt lgkmcnt(0)
	v_add_f32_e32 v0, v0, v1
	v_cndmask_b32_e32 v4, v9, v41, vcc
	v_lshlrev_b32_e32 v4, 2, v4
	ds_bpermute_b32 v1, v4, v0
	s_and_b64 vcc, exec, s[4:5]
	s_waitcnt lgkmcnt(0)
	v_add_f32_e32 v13, v0, v1
	s_cbranch_vccz .LBB31_22
; %bb.8:
	v_add_u32_e32 v0, s29, v3
	v_ashrrev_i32_e32 v1, 31, v0
	v_lshl_add_u64 v[0:1], v[0:1], 2, s[12:13]
	global_load_dword v1, v[0:1], off
	v_max_f32_e32 v0, v12, v12
	s_mov_b32 s2, 0x3fb8aa3b
	s_mov_b32 s4, 0xc2ce8ed0
	s_waitcnt vmcnt(0)
	v_max_f32_e32 v4, v1, v1
	v_max_f32_e32 v0, v0, v4
	v_sub_f32_e32 v4, v12, v0
	v_sub_f32_e32 v1, v1, v0
	v_mul_f32_e32 v5, 0x3fb8aa3b, v4
	v_mul_f32_e32 v6, 0x3fb8aa3b, v1
	v_fma_f32 v7, v4, s2, -v5
	v_rndne_f32_e32 v8, v5
	v_fma_f32 v9, v1, s2, -v6
	v_rndne_f32_e32 v10, v6
	v_fmac_f32_e32 v7, 0x32a5705f, v4
	v_sub_f32_e32 v5, v5, v8
	v_fmac_f32_e32 v9, 0x32a5705f, v1
	v_sub_f32_e32 v6, v6, v10
	v_add_f32_e32 v5, v5, v7
	v_cvt_i32_f32_e32 v8, v8
	v_add_f32_e32 v6, v6, v9
	v_exp_f32_e32 v5, v5
	v_cvt_i32_f32_e32 v10, v10
	v_exp_f32_e32 v6, v6
	v_cmp_ngt_f32_e32 vcc, s4, v4
	v_ldexp_f32 v5, v5, v8
	s_mov_b32 s2, 0x42b17218
	v_ldexp_f32 v6, v6, v10
	v_cndmask_b32_e32 v5, 0, v5, vcc
	v_cmp_ngt_f32_e32 vcc, s4, v1
	v_mov_b32_e32 v7, 0x7f800000
	s_nop 0
	v_cndmask_b32_e32 v6, 0, v6, vcc
	v_cmp_nlt_f32_e32 vcc, s2, v4
	s_nop 1
	v_cndmask_b32_e32 v4, v7, v5, vcc
	v_cvt_f16_f32_e32 v5, v4
	v_cmp_nlt_f32_e32 vcc, s2, v1
	s_nop 1
	v_cndmask_b32_e32 v1, v7, v6, vcc
	v_fmac_f32_e32 v1, v13, v4
	v_mul_u32_u24_e32 v4, 0x10001, v5
	v_pk_mul_f16 v35, v35, v4
	v_pk_mul_f16 v34, v34, v4
	v_pk_mul_f16 v36, v36, v4
	v_pk_mul_f16 v37, v37, v4
	v_pk_mul_f16 v33, v33, v4
	v_pk_mul_f16 v32, v32, v4
	v_pk_mul_f16 v31, v31, v4
	v_pk_mul_f16 v30, v30, v4
	v_mov_b64_e32 v[12:13], v[0:1]
	v_cmp_gt_i32_e32 vcc, s22, v16
	s_and_saveexec_b64 s[4:5], vcc
	s_cbranch_execnz .LBB31_23
.LBB31_9:
	s_endpgm
.LBB31_10:
                                        ; implicit-def: $vgpr9
                                        ; implicit-def: $vgpr15
                                        ; implicit-def: $vgpr14
                                        ; implicit-def: $vgpr13
                                        ; implicit-def: $vgpr39
                                        ; implicit-def: $vgpr40
                                        ; implicit-def: $vgpr41
.LBB31_11:
	s_sub_i32 s4, 0, s36
	s_mul_i32 s4, s4, s38
	s_mul_hi_u32 s4, s38, s4
	s_add_i32 s38, s38, s4
	s_load_dwordx4 s[24:27], s[0:1], 0x98
	s_load_dword s10, s[0:1], 0x54
	s_load_dwordx2 s[4:5], s[0:1], 0x8c
	s_ashr_i32 s34, s37, 31
	s_abs_i32 s15, s29
	s_waitcnt lgkmcnt(0)
	s_ashr_i32 s11, s26, 2
	s_ashr_i32 s26, s35, 1
	;; [unrolled: 1-line block ×4, first 2 shown]
	s_mul_hi_u32 s35, s24, s33
	s_mul_i32 s37, s24, s4
	s_add_i32 s35, s35, s37
	s_mul_i32 s25, s25, s33
	s_mul_hi_u32 s20, s15, s38
	s_ashr_i32 s21, s29, 31
	s_add_i32 s35, s35, s25
	s_mul_i32 s24, s24, s33
	s_add_u32 s6, s6, s24
	s_mul_i32 s24, s20, s36
	s_addc_u32 s7, s7, s35
	s_sub_i32 s15, s15, s24
	s_xor_b32 s21, s21, s34
	s_add_i32 s24, s20, 1
	s_sub_i32 s25, s15, s36
	s_cmp_ge_u32 s15, s36
	s_cselect_b32 s20, s24, s20
	s_cselect_b32 s15, s25, s15
	s_add_i32 s24, s20, 1
	s_cmp_ge_u32 s15, s36
	s_load_dwordx2 s[38:39], s[0:1], 0xa8
	s_cselect_b32 s15, s24, s20
	s_xor_b32 s15, s15, s21
	s_sub_i32 s21, s15, s21
	s_mul_i32 s5, s21, s5
	s_ashr_i32 s20, s5, 31
	s_add_u32 s15, s6, s5
	s_waitcnt lgkmcnt(0)
	s_mul_hi_u32 s5, s38, s33
	s_mul_i32 s4, s38, s4
	s_addc_u32 s20, s7, s20
	s_add_i32 s4, s5, s4
	s_mul_i32 s5, s39, s33
	s_add_i32 s4, s4, s5
	s_mul_i32 s5, s38, s33
	s_add_u32 s5, s8, s5
	s_mul_i32 s21, s21, s27
	s_addc_u32 s6, s9, s4
	s_ashr_i32 s7, s21, 31
	s_add_u32 s4, s5, s21
	v_lshrrev_b32_e32 v0, 3, v2
	v_and_b32_e32 v14, 28, v17
	s_addc_u32 s5, s6, s7
	v_lshl_add_u32 v0, v10, 2, v0
	v_lshlrev_b32_e32 v4, 2, v14
	s_movk_i32 s6, 0x90
	v_mad_u32_u24 v20, v0, s6, v4
	v_mul_lo_u32 v4, s14, v0
	v_mov_b32_e32 v0, 0x4400
	v_lshl_add_u32 v23, v10, 7, v0
	v_lshlrev_b32_e32 v0, 2, v17
	v_mul_lo_u32 v10, s11, v10
	v_mad_u64_u32 v[8:9], s[6:7], v8, s26, v[2:3]
	v_add_u32_e32 v25, v11, v0
	v_ashrrev_i32_e32 v11, 31, v10
	v_mov_b32_e32 v1, 0
	v_lshl_add_u32 v6, s14, 5, v4
	v_lshl_add_u64 v[10:11], v[10:11], 2, s[4:5]
	s_add_u32 s4, s0, 0xd0
                                        ; implicit-def: $vgpr9
                                        ; implicit-def: $vgpr9
	;; [unrolled: 1-line block ×3, first 2 shown]
	v_ashrrev_i32_e32 v5, 31, v4
	v_add_u32_e32 v21, 0x1200, v20
	v_ashrrev_i32_e32 v7, 31, v6
	v_mul_u32_u24_e32 v22, 0x90, v2
	v_lshl_add_u32 v24, v2, 1, v23
	v_add_u32_e32 v26, 0x200, v25
	s_addc_u32 s5, s1, 0
	v_lshl_add_u64 v[10:11], v[10:11], 0, v[0:1]
	v_mov_b32_e32 v38, 0xfeffffff
	v_lshlrev_b32_e32 v0, 2, v14
	s_mov_b32 s8, 0x3f200000
	s_mov_b32 s9, 0x3fb8aa3b
	;; [unrolled: 1-line block ×4, first 2 shown]
	v_mov_b32_e32 v27, 0x3ca908c9
	s_brev_b32 s25, -2
	s_mov_b32 s26, 0x10001
	v_mov_b32_e32 v28, 0x7f800000
	v_mbcnt_hi_u32_b32 v9, -1, v12
	v_mov_b32_e32 v30, v1
	v_mov_b32_e32 v31, v1
	;; [unrolled: 1-line block ×9, first 2 shown]
.LBB31_12:                              ; =>This Inner Loop Header: Depth=1
	s_mul_hi_i32 s7, s2, s14
	s_mul_i32 s6, s2, s14
	s_lshl_b64 s[6:7], s[6:7], 2
	s_add_u32 s6, s15, s6
	s_addc_u32 s7, s20, s7
	v_lshl_add_u64 v[12:13], v[4:5], 2, s[6:7]
	v_lshl_add_u64 v[12:13], v[12:13], 0, v[0:1]
	;; [unrolled: 1-line block ×4, first 2 shown]
	global_load_dwordx4 v[40:43], v[12:13], off
	global_load_dwordx4 v[44:47], v[14:15], off
	v_mov_b32_e32 v39, 0
	s_waitcnt vmcnt(1)
	ds_write_b128 v20, v[40:43]
	s_waitcnt vmcnt(0)
	ds_write_b128 v21, v[44:47]
	s_waitcnt lgkmcnt(0)
	s_barrier
	ds_read_b128 v[42:45], v22
	ds_read_b128 v[46:49], v19
	ds_read_b128 v[50:53], v22 offset:4608
	s_waitcnt lgkmcnt(1)
	;;#ASMSTART
	v_dot2_f32_f16 v39, v42, v46, v39
	;;#ASMEND
	s_nop 0
	;;#ASMSTART
	v_dot2_f32_f16 v39, v43, v47, v39
	;;#ASMEND
	v_mov_b32_e32 v40, 0
	;;#ASMSTART
	v_dot2_f32_f16 v39, v44, v48, v39
	;;#ASMEND
	s_nop 0
	;;#ASMSTART
	v_dot2_f32_f16 v39, v45, v49, v39
	;;#ASMEND
	s_waitcnt lgkmcnt(0)
	;;#ASMSTART
	v_dot2_f32_f16 v40, v50, v46, v40
	;;#ASMEND
	s_nop 0
	;;#ASMSTART
	v_dot2_f32_f16 v40, v51, v47, v40
	;;#ASMEND
	s_nop 0
	;;#ASMSTART
	v_dot2_f32_f16 v40, v52, v48, v40
	;;#ASMEND
	s_nop 0
	;;#ASMSTART
	v_dot2_f32_f16 v40, v53, v49, v40
	;;#ASMEND
	ds_read_b128 v[42:45], v22 offset:16
	ds_read_b128 v[46:49], v19 offset:16
	ds_read_b128 v[50:53], v22 offset:4624
	s_waitcnt lgkmcnt(1)
	;;#ASMSTART
	v_dot2_f32_f16 v39, v42, v46, v39
	;;#ASMEND
	s_nop 0
	;;#ASMSTART
	v_dot2_f32_f16 v39, v43, v47, v39
	;;#ASMEND
	s_nop 0
	;;#ASMSTART
	v_dot2_f32_f16 v39, v44, v48, v39
	;;#ASMEND
	s_nop 0
	;;#ASMSTART
	v_dot2_f32_f16 v39, v45, v49, v39
	;;#ASMEND
	s_waitcnt lgkmcnt(0)
	;;#ASMSTART
	v_dot2_f32_f16 v40, v50, v46, v40
	;;#ASMEND
	s_nop 0
	;;#ASMSTART
	v_dot2_f32_f16 v40, v51, v47, v40
	;;#ASMEND
	s_nop 0
	;;#ASMSTART
	v_dot2_f32_f16 v40, v52, v48, v40
	;;#ASMEND
	s_nop 0
	;;#ASMSTART
	v_dot2_f32_f16 v40, v53, v49, v40
	;;#ASMEND
	ds_read_b128 v[42:45], v22 offset:32
	ds_read_b128 v[46:49], v19 offset:32
	ds_read_b128 v[50:53], v22 offset:4640
	s_waitcnt lgkmcnt(1)
	;;#ASMSTART
	v_dot2_f32_f16 v39, v42, v46, v39
	;;#ASMEND
	s_nop 0
	;;#ASMSTART
	v_dot2_f32_f16 v39, v43, v47, v39
	;;#ASMEND
	s_nop 0
	;; [unrolled: 35-line block ×7, first 2 shown]
	;;#ASMSTART
	v_dot2_f32_f16 v39, v44, v48, v39
	;;#ASMEND
	s_nop 0
	;;#ASMSTART
	v_dot2_f32_f16 v39, v45, v49, v39
	;;#ASMEND
	s_waitcnt lgkmcnt(0)
	;;#ASMSTART
	v_dot2_f32_f16 v40, v50, v46, v40
	;;#ASMEND
	s_nop 0
	;;#ASMSTART
	v_dot2_f32_f16 v40, v51, v47, v40
	;;#ASMEND
	s_nop 0
	;; [unrolled: 4-line block ×3, first 2 shown]
	;;#ASMSTART
	v_dot2_f32_f16 v40, v53, v49, v40
	;;#ASMEND
	s_barrier
	global_load_dwordx4 v[42:45], v[12:13], off offset:128
	global_load_dwordx4 v[46:49], v[14:15], off offset:128
	s_waitcnt vmcnt(1)
	ds_write_b128 v20, v[42:45]
	s_waitcnt vmcnt(0)
	ds_write_b128 v21, v[46:49]
	s_waitcnt lgkmcnt(0)
	s_barrier
	ds_read_b128 v[42:45], v22
	ds_read_b128 v[46:49], v19 offset:128
	ds_read_b128 v[50:53], v22 offset:4608
	s_waitcnt lgkmcnt(1)
	;;#ASMSTART
	v_dot2_f32_f16 v39, v42, v46, v39
	;;#ASMEND
	s_nop 0
	;;#ASMSTART
	v_dot2_f32_f16 v39, v43, v47, v39
	;;#ASMEND
	s_nop 0
	;;#ASMSTART
	v_dot2_f32_f16 v39, v44, v48, v39
	;;#ASMEND
	s_nop 0
	;;#ASMSTART
	v_dot2_f32_f16 v39, v45, v49, v39
	;;#ASMEND
	s_waitcnt lgkmcnt(0)
	;;#ASMSTART
	v_dot2_f32_f16 v40, v50, v46, v40
	;;#ASMEND
	s_nop 0
	;;#ASMSTART
	v_dot2_f32_f16 v40, v51, v47, v40
	;;#ASMEND
	s_nop 0
	;;#ASMSTART
	v_dot2_f32_f16 v40, v52, v48, v40
	;;#ASMEND
	s_nop 0
	;;#ASMSTART
	v_dot2_f32_f16 v40, v53, v49, v40
	;;#ASMEND
	ds_read_b128 v[42:45], v22 offset:16
	ds_read_b128 v[46:49], v19 offset:144
	ds_read_b128 v[50:53], v22 offset:4624
	s_waitcnt lgkmcnt(1)
	;;#ASMSTART
	v_dot2_f32_f16 v39, v42, v46, v39
	;;#ASMEND
	s_nop 0
	;;#ASMSTART
	v_dot2_f32_f16 v39, v43, v47, v39
	;;#ASMEND
	s_nop 0
	;;#ASMSTART
	v_dot2_f32_f16 v39, v44, v48, v39
	;;#ASMEND
	s_nop 0
	;;#ASMSTART
	v_dot2_f32_f16 v39, v45, v49, v39
	;;#ASMEND
	s_waitcnt lgkmcnt(0)
	;;#ASMSTART
	v_dot2_f32_f16 v40, v50, v46, v40
	;;#ASMEND
	s_nop 0
	;;#ASMSTART
	v_dot2_f32_f16 v40, v51, v47, v40
	;;#ASMEND
	s_nop 0
	;;#ASMSTART
	v_dot2_f32_f16 v40, v52, v48, v40
	;;#ASMEND
	s_nop 0
	;;#ASMSTART
	v_dot2_f32_f16 v40, v53, v49, v40
	;;#ASMEND
	ds_read_b128 v[42:45], v22 offset:32
	;; [unrolled: 35-line block ×7, first 2 shown]
	ds_read_b128 v[46:49], v19 offset:240
	ds_read_b128 v[50:53], v22 offset:4720
	s_waitcnt lgkmcnt(1)
	;;#ASMSTART
	v_dot2_f32_f16 v39, v42, v46, v39
	;;#ASMEND
	s_nop 0
	;;#ASMSTART
	v_dot2_f32_f16 v39, v43, v47, v39
	;;#ASMEND
	s_nop 0
	;; [unrolled: 4-line block ×3, first 2 shown]
	;;#ASMSTART
	v_dot2_f32_f16 v39, v45, v49, v39
	;;#ASMEND
	s_waitcnt lgkmcnt(0)
	;;#ASMSTART
	v_dot2_f32_f16 v40, v50, v46, v40
	;;#ASMEND
	s_nop 0
	;;#ASMSTART
	v_dot2_f32_f16 v40, v51, v47, v40
	;;#ASMEND
	s_nop 0
	;; [unrolled: 4-line block ×3, first 2 shown]
	;;#ASMSTART
	v_dot2_f32_f16 v40, v53, v49, v40
	;;#ASMEND
	s_barrier
	global_load_dwordx4 v[42:45], v[12:13], off offset:256
	global_load_dwordx4 v[46:49], v[14:15], off offset:256
	s_waitcnt vmcnt(1)
	ds_write_b128 v20, v[42:45]
	s_waitcnt vmcnt(0)
	ds_write_b128 v21, v[46:49]
	s_waitcnt lgkmcnt(0)
	s_barrier
	ds_read_b128 v[42:45], v22
	ds_read_b128 v[46:49], v19 offset:256
	ds_read_b128 v[50:53], v22 offset:4608
	s_waitcnt lgkmcnt(1)
	;;#ASMSTART
	v_dot2_f32_f16 v39, v42, v46, v39
	;;#ASMEND
	s_nop 0
	;;#ASMSTART
	v_dot2_f32_f16 v39, v43, v47, v39
	;;#ASMEND
	s_nop 0
	;;#ASMSTART
	v_dot2_f32_f16 v39, v44, v48, v39
	;;#ASMEND
	s_nop 0
	;;#ASMSTART
	v_dot2_f32_f16 v39, v45, v49, v39
	;;#ASMEND
	s_waitcnt lgkmcnt(0)
	;;#ASMSTART
	v_dot2_f32_f16 v40, v50, v46, v40
	;;#ASMEND
	s_nop 0
	;;#ASMSTART
	v_dot2_f32_f16 v40, v51, v47, v40
	;;#ASMEND
	s_nop 0
	;;#ASMSTART
	v_dot2_f32_f16 v40, v52, v48, v40
	;;#ASMEND
	s_nop 0
	;;#ASMSTART
	v_dot2_f32_f16 v40, v53, v49, v40
	;;#ASMEND
	ds_read_b128 v[42:45], v22 offset:16
	ds_read_b128 v[46:49], v19 offset:272
	ds_read_b128 v[50:53], v22 offset:4624
	s_waitcnt lgkmcnt(1)
	;;#ASMSTART
	v_dot2_f32_f16 v39, v42, v46, v39
	;;#ASMEND
	s_nop 0
	;;#ASMSTART
	v_dot2_f32_f16 v39, v43, v47, v39
	;;#ASMEND
	s_nop 0
	;;#ASMSTART
	v_dot2_f32_f16 v39, v44, v48, v39
	;;#ASMEND
	s_nop 0
	;;#ASMSTART
	v_dot2_f32_f16 v39, v45, v49, v39
	;;#ASMEND
	s_waitcnt lgkmcnt(0)
	;;#ASMSTART
	v_dot2_f32_f16 v40, v50, v46, v40
	;;#ASMEND
	s_nop 0
	;;#ASMSTART
	v_dot2_f32_f16 v40, v51, v47, v40
	;;#ASMEND
	s_nop 0
	;;#ASMSTART
	v_dot2_f32_f16 v40, v52, v48, v40
	;;#ASMEND
	s_nop 0
	;;#ASMSTART
	v_dot2_f32_f16 v40, v53, v49, v40
	;;#ASMEND
	ds_read_b128 v[42:45], v22 offset:32
	;; [unrolled: 35-line block ×7, first 2 shown]
	ds_read_b128 v[46:49], v19 offset:368
	ds_read_b128 v[50:53], v22 offset:4720
	s_waitcnt lgkmcnt(1)
	;;#ASMSTART
	v_dot2_f32_f16 v39, v42, v46, v39
	;;#ASMEND
	s_nop 0
	;;#ASMSTART
	v_dot2_f32_f16 v39, v43, v47, v39
	;;#ASMEND
	s_nop 0
	;;#ASMSTART
	v_dot2_f32_f16 v39, v44, v48, v39
	;;#ASMEND
	s_nop 0
	;;#ASMSTART
	v_dot2_f32_f16 v39, v45, v49, v39
	;;#ASMEND
	s_waitcnt lgkmcnt(0)
	;;#ASMSTART
	v_dot2_f32_f16 v40, v50, v46, v40
	;;#ASMEND
	s_nop 0
	;;#ASMSTART
	v_dot2_f32_f16 v40, v51, v47, v40
	;;#ASMEND
	s_nop 0
	;; [unrolled: 4-line block ×3, first 2 shown]
	;;#ASMSTART
	v_dot2_f32_f16 v40, v53, v49, v40
	;;#ASMEND
	s_barrier
	global_load_dwordx4 v[42:45], v[12:13], off offset:384
	global_load_dwordx4 v[46:49], v[14:15], off offset:384
	s_waitcnt vmcnt(1)
	ds_write_b128 v20, v[42:45]
	s_waitcnt vmcnt(0)
	ds_write_b128 v21, v[46:49]
	s_waitcnt lgkmcnt(0)
	s_barrier
	ds_read_b128 v[42:45], v22
	ds_read_b128 v[46:49], v19 offset:384
	ds_read_b128 v[50:53], v22 offset:4608
	s_waitcnt lgkmcnt(1)
	;;#ASMSTART
	v_dot2_f32_f16 v39, v42, v46, v39
	;;#ASMEND
	s_nop 0
	;;#ASMSTART
	v_dot2_f32_f16 v39, v43, v47, v39
	;;#ASMEND
	s_nop 0
	;;#ASMSTART
	v_dot2_f32_f16 v39, v44, v48, v39
	;;#ASMEND
	s_nop 0
	;;#ASMSTART
	v_dot2_f32_f16 v39, v45, v49, v39
	;;#ASMEND
	s_waitcnt lgkmcnt(0)
	;;#ASMSTART
	v_dot2_f32_f16 v40, v50, v46, v40
	;;#ASMEND
	s_nop 0
	;;#ASMSTART
	v_dot2_f32_f16 v40, v51, v47, v40
	;;#ASMEND
	s_nop 0
	;;#ASMSTART
	v_dot2_f32_f16 v40, v52, v48, v40
	;;#ASMEND
	s_nop 0
	;;#ASMSTART
	v_dot2_f32_f16 v40, v53, v49, v40
	;;#ASMEND
	ds_read_b128 v[42:45], v22 offset:16
	ds_read_b128 v[46:49], v19 offset:400
	ds_read_b128 v[50:53], v22 offset:4624
	s_waitcnt lgkmcnt(1)
	;;#ASMSTART
	v_dot2_f32_f16 v39, v42, v46, v39
	;;#ASMEND
	s_nop 0
	;;#ASMSTART
	v_dot2_f32_f16 v39, v43, v47, v39
	;;#ASMEND
	s_nop 0
	;;#ASMSTART
	v_dot2_f32_f16 v39, v44, v48, v39
	;;#ASMEND
	s_nop 0
	;;#ASMSTART
	v_dot2_f32_f16 v39, v45, v49, v39
	;;#ASMEND
	s_waitcnt lgkmcnt(0)
	;;#ASMSTART
	v_dot2_f32_f16 v40, v50, v46, v40
	;;#ASMEND
	s_nop 0
	;;#ASMSTART
	v_dot2_f32_f16 v40, v51, v47, v40
	;;#ASMEND
	s_nop 0
	;;#ASMSTART
	v_dot2_f32_f16 v40, v52, v48, v40
	;;#ASMEND
	s_nop 0
	;;#ASMSTART
	v_dot2_f32_f16 v40, v53, v49, v40
	;;#ASMEND
	ds_read_b128 v[42:45], v22 offset:32
	;; [unrolled: 35-line block ×7, first 2 shown]
	ds_read_b128 v[46:49], v19 offset:496
	ds_read_b128 v[50:53], v22 offset:4720
	s_waitcnt lgkmcnt(1)
	;;#ASMSTART
	v_dot2_f32_f16 v39, v42, v46, v39
	;;#ASMEND
	s_nop 0
	;;#ASMSTART
	v_dot2_f32_f16 v39, v43, v47, v39
	;;#ASMEND
	s_nop 0
	;; [unrolled: 4-line block ×3, first 2 shown]
	;;#ASMSTART
	v_dot2_f32_f16 v39, v45, v49, v39
	;;#ASMEND
	s_waitcnt lgkmcnt(0)
	;;#ASMSTART
	v_dot2_f32_f16 v40, v50, v46, v40
	;;#ASMEND
	s_nop 0
	;;#ASMSTART
	v_dot2_f32_f16 v40, v51, v47, v40
	;;#ASMEND
	s_nop 0
	;; [unrolled: 4-line block ×3, first 2 shown]
	;;#ASMSTART
	v_dot2_f32_f16 v40, v53, v49, v40
	;;#ASMEND
	s_barrier
	global_load_dwordx4 v[42:45], v[12:13], off offset:512
	global_load_dwordx4 v[46:49], v[14:15], off offset:512
	s_waitcnt vmcnt(1)
	ds_write_b128 v20, v[42:45]
	s_waitcnt vmcnt(0)
	ds_write_b128 v21, v[46:49]
	s_waitcnt lgkmcnt(0)
	s_barrier
	ds_read_b128 v[42:45], v22
	ds_read_b128 v[46:49], v19 offset:512
	ds_read_b128 v[50:53], v22 offset:4608
	s_waitcnt lgkmcnt(1)
	;;#ASMSTART
	v_dot2_f32_f16 v39, v42, v46, v39
	;;#ASMEND
	s_nop 0
	;;#ASMSTART
	v_dot2_f32_f16 v39, v43, v47, v39
	;;#ASMEND
	s_nop 0
	;;#ASMSTART
	v_dot2_f32_f16 v39, v44, v48, v39
	;;#ASMEND
	s_nop 0
	;;#ASMSTART
	v_dot2_f32_f16 v39, v45, v49, v39
	;;#ASMEND
	s_waitcnt lgkmcnt(0)
	;;#ASMSTART
	v_dot2_f32_f16 v40, v50, v46, v40
	;;#ASMEND
	s_nop 0
	;;#ASMSTART
	v_dot2_f32_f16 v40, v51, v47, v40
	;;#ASMEND
	s_nop 0
	;;#ASMSTART
	v_dot2_f32_f16 v40, v52, v48, v40
	;;#ASMEND
	s_nop 0
	;;#ASMSTART
	v_dot2_f32_f16 v40, v53, v49, v40
	;;#ASMEND
	ds_read_b128 v[42:45], v22 offset:16
	ds_read_b128 v[46:49], v19 offset:528
	ds_read_b128 v[50:53], v22 offset:4624
	s_waitcnt lgkmcnt(1)
	;;#ASMSTART
	v_dot2_f32_f16 v39, v42, v46, v39
	;;#ASMEND
	s_nop 0
	;;#ASMSTART
	v_dot2_f32_f16 v39, v43, v47, v39
	;;#ASMEND
	s_nop 0
	;;#ASMSTART
	v_dot2_f32_f16 v39, v44, v48, v39
	;;#ASMEND
	s_nop 0
	;;#ASMSTART
	v_dot2_f32_f16 v39, v45, v49, v39
	;;#ASMEND
	s_waitcnt lgkmcnt(0)
	;;#ASMSTART
	v_dot2_f32_f16 v40, v50, v46, v40
	;;#ASMEND
	s_nop 0
	;;#ASMSTART
	v_dot2_f32_f16 v40, v51, v47, v40
	;;#ASMEND
	s_nop 0
	;;#ASMSTART
	v_dot2_f32_f16 v40, v52, v48, v40
	;;#ASMEND
	s_nop 0
	;;#ASMSTART
	v_dot2_f32_f16 v40, v53, v49, v40
	;;#ASMEND
	ds_read_b128 v[42:45], v22 offset:32
	;; [unrolled: 35-line block ×7, first 2 shown]
	ds_read_b128 v[46:49], v19 offset:624
	ds_read_b128 v[50:53], v22 offset:4720
	s_waitcnt lgkmcnt(1)
	;;#ASMSTART
	v_dot2_f32_f16 v39, v42, v46, v39
	;;#ASMEND
	s_nop 0
	;;#ASMSTART
	v_dot2_f32_f16 v39, v43, v47, v39
	;;#ASMEND
	s_nop 0
	;; [unrolled: 4-line block ×3, first 2 shown]
	;;#ASMSTART
	v_dot2_f32_f16 v39, v45, v49, v39
	;;#ASMEND
	s_waitcnt lgkmcnt(0)
	;;#ASMSTART
	v_dot2_f32_f16 v40, v50, v46, v40
	;;#ASMEND
	s_nop 0
	;;#ASMSTART
	v_dot2_f32_f16 v40, v51, v47, v40
	;;#ASMEND
	s_nop 0
	;; [unrolled: 4-line block ×3, first 2 shown]
	;;#ASMSTART
	v_dot2_f32_f16 v40, v53, v49, v40
	;;#ASMEND
	s_barrier
	global_load_dwordx4 v[42:45], v[12:13], off offset:640
	global_load_dwordx4 v[46:49], v[14:15], off offset:640
	s_waitcnt vmcnt(1)
	ds_write_b128 v20, v[42:45]
	s_waitcnt vmcnt(0)
	ds_write_b128 v21, v[46:49]
	s_waitcnt lgkmcnt(0)
	s_barrier
	ds_read_b128 v[42:45], v22
	ds_read_b128 v[46:49], v19 offset:640
	ds_read_b128 v[50:53], v22 offset:4608
	s_waitcnt lgkmcnt(1)
	;;#ASMSTART
	v_dot2_f32_f16 v39, v42, v46, v39
	;;#ASMEND
	s_nop 0
	;;#ASMSTART
	v_dot2_f32_f16 v39, v43, v47, v39
	;;#ASMEND
	s_nop 0
	;;#ASMSTART
	v_dot2_f32_f16 v39, v44, v48, v39
	;;#ASMEND
	s_nop 0
	;;#ASMSTART
	v_dot2_f32_f16 v39, v45, v49, v39
	;;#ASMEND
	s_waitcnt lgkmcnt(0)
	;;#ASMSTART
	v_dot2_f32_f16 v40, v50, v46, v40
	;;#ASMEND
	s_nop 0
	;;#ASMSTART
	v_dot2_f32_f16 v40, v51, v47, v40
	;;#ASMEND
	s_nop 0
	;;#ASMSTART
	v_dot2_f32_f16 v40, v52, v48, v40
	;;#ASMEND
	s_nop 0
	;;#ASMSTART
	v_dot2_f32_f16 v40, v53, v49, v40
	;;#ASMEND
	ds_read_b128 v[42:45], v22 offset:16
	ds_read_b128 v[46:49], v19 offset:656
	ds_read_b128 v[50:53], v22 offset:4624
	s_waitcnt lgkmcnt(1)
	;;#ASMSTART
	v_dot2_f32_f16 v39, v42, v46, v39
	;;#ASMEND
	s_nop 0
	;;#ASMSTART
	v_dot2_f32_f16 v39, v43, v47, v39
	;;#ASMEND
	s_nop 0
	;;#ASMSTART
	v_dot2_f32_f16 v39, v44, v48, v39
	;;#ASMEND
	s_nop 0
	;;#ASMSTART
	v_dot2_f32_f16 v39, v45, v49, v39
	;;#ASMEND
	s_waitcnt lgkmcnt(0)
	;;#ASMSTART
	v_dot2_f32_f16 v40, v50, v46, v40
	;;#ASMEND
	s_nop 0
	;;#ASMSTART
	v_dot2_f32_f16 v40, v51, v47, v40
	;;#ASMEND
	s_nop 0
	;;#ASMSTART
	v_dot2_f32_f16 v40, v52, v48, v40
	;;#ASMEND
	s_nop 0
	;;#ASMSTART
	v_dot2_f32_f16 v40, v53, v49, v40
	;;#ASMEND
	ds_read_b128 v[42:45], v22 offset:32
	;; [unrolled: 35-line block ×7, first 2 shown]
	ds_read_b128 v[46:49], v19 offset:752
	ds_read_b128 v[50:53], v22 offset:4720
	s_waitcnt lgkmcnt(1)
	;;#ASMSTART
	v_dot2_f32_f16 v39, v42, v46, v39
	;;#ASMEND
	s_nop 0
	;;#ASMSTART
	v_dot2_f32_f16 v39, v43, v47, v39
	;;#ASMEND
	s_nop 0
	;; [unrolled: 4-line block ×3, first 2 shown]
	;;#ASMSTART
	v_dot2_f32_f16 v39, v45, v49, v39
	;;#ASMEND
	s_waitcnt lgkmcnt(0)
	;;#ASMSTART
	v_dot2_f32_f16 v40, v50, v46, v40
	;;#ASMEND
	s_nop 0
	;;#ASMSTART
	v_dot2_f32_f16 v40, v51, v47, v40
	;;#ASMEND
	s_nop 0
	;; [unrolled: 4-line block ×3, first 2 shown]
	;;#ASMSTART
	v_dot2_f32_f16 v40, v53, v49, v40
	;;#ASMEND
	s_barrier
	global_load_dwordx4 v[42:45], v[12:13], off offset:768
	global_load_dwordx4 v[46:49], v[14:15], off offset:768
	s_waitcnt vmcnt(1)
	ds_write_b128 v20, v[42:45]
	s_waitcnt vmcnt(0)
	ds_write_b128 v21, v[46:49]
	s_waitcnt lgkmcnt(0)
	s_barrier
	ds_read_b128 v[42:45], v22
	ds_read_b128 v[46:49], v19 offset:768
	ds_read_b128 v[50:53], v22 offset:4608
	s_waitcnt lgkmcnt(1)
	;;#ASMSTART
	v_dot2_f32_f16 v39, v42, v46, v39
	;;#ASMEND
	s_nop 0
	;;#ASMSTART
	v_dot2_f32_f16 v39, v43, v47, v39
	;;#ASMEND
	s_nop 0
	;;#ASMSTART
	v_dot2_f32_f16 v39, v44, v48, v39
	;;#ASMEND
	s_nop 0
	;;#ASMSTART
	v_dot2_f32_f16 v39, v45, v49, v39
	;;#ASMEND
	s_waitcnt lgkmcnt(0)
	;;#ASMSTART
	v_dot2_f32_f16 v40, v50, v46, v40
	;;#ASMEND
	s_nop 0
	;;#ASMSTART
	v_dot2_f32_f16 v40, v51, v47, v40
	;;#ASMEND
	s_nop 0
	;;#ASMSTART
	v_dot2_f32_f16 v40, v52, v48, v40
	;;#ASMEND
	s_nop 0
	;;#ASMSTART
	v_dot2_f32_f16 v40, v53, v49, v40
	;;#ASMEND
	ds_read_b128 v[42:45], v22 offset:16
	ds_read_b128 v[46:49], v19 offset:784
	ds_read_b128 v[50:53], v22 offset:4624
	s_waitcnt lgkmcnt(1)
	;;#ASMSTART
	v_dot2_f32_f16 v39, v42, v46, v39
	;;#ASMEND
	s_nop 0
	;;#ASMSTART
	v_dot2_f32_f16 v39, v43, v47, v39
	;;#ASMEND
	s_nop 0
	;;#ASMSTART
	v_dot2_f32_f16 v39, v44, v48, v39
	;;#ASMEND
	s_nop 0
	;;#ASMSTART
	v_dot2_f32_f16 v39, v45, v49, v39
	;;#ASMEND
	s_waitcnt lgkmcnt(0)
	;;#ASMSTART
	v_dot2_f32_f16 v40, v50, v46, v40
	;;#ASMEND
	s_nop 0
	;;#ASMSTART
	v_dot2_f32_f16 v40, v51, v47, v40
	;;#ASMEND
	s_nop 0
	;;#ASMSTART
	v_dot2_f32_f16 v40, v52, v48, v40
	;;#ASMEND
	s_nop 0
	;;#ASMSTART
	v_dot2_f32_f16 v40, v53, v49, v40
	;;#ASMEND
	ds_read_b128 v[42:45], v22 offset:32
	;; [unrolled: 35-line block ×7, first 2 shown]
	ds_read_b128 v[46:49], v19 offset:880
	ds_read_b128 v[50:53], v22 offset:4720
	s_waitcnt lgkmcnt(1)
	;;#ASMSTART
	v_dot2_f32_f16 v39, v42, v46, v39
	;;#ASMEND
	s_nop 0
	;;#ASMSTART
	v_dot2_f32_f16 v39, v43, v47, v39
	;;#ASMEND
	s_nop 0
	;; [unrolled: 4-line block ×3, first 2 shown]
	;;#ASMSTART
	v_dot2_f32_f16 v39, v45, v49, v39
	;;#ASMEND
	s_waitcnt lgkmcnt(0)
	;;#ASMSTART
	v_dot2_f32_f16 v40, v50, v46, v40
	;;#ASMEND
	s_nop 0
	;;#ASMSTART
	v_dot2_f32_f16 v40, v51, v47, v40
	;;#ASMEND
	s_nop 0
	;; [unrolled: 4-line block ×3, first 2 shown]
	;;#ASMSTART
	v_dot2_f32_f16 v40, v53, v49, v40
	;;#ASMEND
	s_barrier
	global_load_dwordx4 v[42:45], v[12:13], off offset:896
	global_load_dwordx4 v[46:49], v[14:15], off offset:896
	s_waitcnt vmcnt(1)
	ds_write_b128 v20, v[42:45]
	s_waitcnt vmcnt(0)
	ds_write_b128 v21, v[46:49]
	s_waitcnt lgkmcnt(0)
	s_barrier
	ds_read_b128 v[12:15], v22
	ds_read_b128 v[42:45], v19 offset:896
	ds_read_b128 v[46:49], v22 offset:4608
	s_waitcnt lgkmcnt(1)
	;;#ASMSTART
	v_dot2_f32_f16 v39, v12, v42, v39
	;;#ASMEND
	s_nop 0
	;;#ASMSTART
	v_dot2_f32_f16 v39, v13, v43, v39
	;;#ASMEND
	s_nop 0
	;;#ASMSTART
	v_dot2_f32_f16 v39, v14, v44, v39
	;;#ASMEND
	s_nop 0
	;;#ASMSTART
	v_dot2_f32_f16 v39, v15, v45, v39
	;;#ASMEND
	s_waitcnt lgkmcnt(0)
	;;#ASMSTART
	v_dot2_f32_f16 v40, v46, v42, v40
	;;#ASMEND
	s_nop 0
	;;#ASMSTART
	v_dot2_f32_f16 v40, v47, v43, v40
	;;#ASMEND
	s_nop 0
	;;#ASMSTART
	v_dot2_f32_f16 v40, v48, v44, v40
	;;#ASMEND
	s_nop 0
	;;#ASMSTART
	v_dot2_f32_f16 v40, v49, v45, v40
	;;#ASMEND
	ds_read_b128 v[12:15], v22 offset:16
	ds_read_b128 v[42:45], v19 offset:912
	ds_read_b128 v[46:49], v22 offset:4624
	s_waitcnt lgkmcnt(1)
	;;#ASMSTART
	v_dot2_f32_f16 v39, v12, v42, v39
	;;#ASMEND
	s_nop 0
	;;#ASMSTART
	v_dot2_f32_f16 v39, v13, v43, v39
	;;#ASMEND
	s_nop 0
	;;#ASMSTART
	v_dot2_f32_f16 v39, v14, v44, v39
	;;#ASMEND
	s_nop 0
	;;#ASMSTART
	v_dot2_f32_f16 v39, v15, v45, v39
	;;#ASMEND
	s_waitcnt lgkmcnt(0)
	;;#ASMSTART
	v_dot2_f32_f16 v40, v46, v42, v40
	;;#ASMEND
	s_nop 0
	;;#ASMSTART
	v_dot2_f32_f16 v40, v47, v43, v40
	;;#ASMEND
	s_nop 0
	;;#ASMSTART
	v_dot2_f32_f16 v40, v48, v44, v40
	;;#ASMEND
	s_nop 0
	;;#ASMSTART
	v_dot2_f32_f16 v40, v49, v45, v40
	;;#ASMEND
	ds_read_b128 v[12:15], v22 offset:32
	ds_read_b128 v[42:45], v19 offset:928
	ds_read_b128 v[46:49], v22 offset:4640
	s_waitcnt lgkmcnt(1)
	;;#ASMSTART
	v_dot2_f32_f16 v39, v12, v42, v39
	;;#ASMEND
	s_nop 0
	;;#ASMSTART
	v_dot2_f32_f16 v39, v13, v43, v39
	;;#ASMEND
	s_nop 0
	;;#ASMSTART
	v_dot2_f32_f16 v39, v14, v44, v39
	;;#ASMEND
	s_nop 0
	;;#ASMSTART
	v_dot2_f32_f16 v39, v15, v45, v39
	;;#ASMEND
	s_waitcnt lgkmcnt(0)
	;;#ASMSTART
	v_dot2_f32_f16 v40, v46, v42, v40
	;;#ASMEND
	s_nop 0
	;;#ASMSTART
	v_dot2_f32_f16 v40, v47, v43, v40
	;;#ASMEND
	s_nop 0
	;;#ASMSTART
	v_dot2_f32_f16 v40, v48, v44, v40
	;;#ASMEND
	s_nop 0
	;;#ASMSTART
	v_dot2_f32_f16 v40, v49, v45, v40
	;;#ASMEND
	ds_read_b128 v[12:15], v22 offset:48
	ds_read_b128 v[42:45], v19 offset:944
	ds_read_b128 v[46:49], v22 offset:4656
	s_waitcnt lgkmcnt(1)
	;;#ASMSTART
	v_dot2_f32_f16 v39, v12, v42, v39
	;;#ASMEND
	s_nop 0
	;;#ASMSTART
	v_dot2_f32_f16 v39, v13, v43, v39
	;;#ASMEND
	s_nop 0
	;;#ASMSTART
	v_dot2_f32_f16 v39, v14, v44, v39
	;;#ASMEND
	s_nop 0
	;;#ASMSTART
	v_dot2_f32_f16 v39, v15, v45, v39
	;;#ASMEND
	s_waitcnt lgkmcnt(0)
	;;#ASMSTART
	v_dot2_f32_f16 v40, v46, v42, v40
	;;#ASMEND
	s_nop 0
	;;#ASMSTART
	v_dot2_f32_f16 v40, v47, v43, v40
	;;#ASMEND
	s_nop 0
	;;#ASMSTART
	v_dot2_f32_f16 v40, v48, v44, v40
	;;#ASMEND
	s_nop 0
	;;#ASMSTART
	v_dot2_f32_f16 v40, v49, v45, v40
	;;#ASMEND
	ds_read_b128 v[12:15], v22 offset:64
	ds_read_b128 v[42:45], v19 offset:960
	ds_read_b128 v[46:49], v22 offset:4672
	s_waitcnt lgkmcnt(1)
	;;#ASMSTART
	v_dot2_f32_f16 v39, v12, v42, v39
	;;#ASMEND
	s_nop 0
	;;#ASMSTART
	v_dot2_f32_f16 v39, v13, v43, v39
	;;#ASMEND
	s_nop 0
	;;#ASMSTART
	v_dot2_f32_f16 v39, v14, v44, v39
	;;#ASMEND
	s_nop 0
	;;#ASMSTART
	v_dot2_f32_f16 v39, v15, v45, v39
	;;#ASMEND
	s_waitcnt lgkmcnt(0)
	;;#ASMSTART
	v_dot2_f32_f16 v40, v46, v42, v40
	;;#ASMEND
	s_nop 0
	;;#ASMSTART
	v_dot2_f32_f16 v40, v47, v43, v40
	;;#ASMEND
	s_nop 0
	;;#ASMSTART
	v_dot2_f32_f16 v40, v48, v44, v40
	;;#ASMEND
	s_nop 0
	;;#ASMSTART
	v_dot2_f32_f16 v40, v49, v45, v40
	;;#ASMEND
	ds_read_b128 v[12:15], v22 offset:80
	ds_read_b128 v[42:45], v19 offset:976
	ds_read_b128 v[46:49], v22 offset:4688
	s_waitcnt lgkmcnt(1)
	;;#ASMSTART
	v_dot2_f32_f16 v39, v12, v42, v39
	;;#ASMEND
	s_nop 0
	;;#ASMSTART
	v_dot2_f32_f16 v39, v13, v43, v39
	;;#ASMEND
	s_nop 0
	;;#ASMSTART
	v_dot2_f32_f16 v39, v14, v44, v39
	;;#ASMEND
	s_nop 0
	;;#ASMSTART
	v_dot2_f32_f16 v39, v15, v45, v39
	;;#ASMEND
	s_waitcnt lgkmcnt(0)
	;;#ASMSTART
	v_dot2_f32_f16 v40, v46, v42, v40
	;;#ASMEND
	s_nop 0
	;;#ASMSTART
	v_dot2_f32_f16 v40, v47, v43, v40
	;;#ASMEND
	s_nop 0
	;;#ASMSTART
	v_dot2_f32_f16 v40, v48, v44, v40
	;;#ASMEND
	s_nop 0
	;;#ASMSTART
	v_dot2_f32_f16 v40, v49, v45, v40
	;;#ASMEND
	ds_read_b128 v[12:15], v22 offset:96
	ds_read_b128 v[42:45], v19 offset:992
	ds_read_b128 v[46:49], v22 offset:4704
	s_waitcnt lgkmcnt(1)
	;;#ASMSTART
	v_dot2_f32_f16 v39, v12, v42, v39
	;;#ASMEND
	s_nop 0
	;;#ASMSTART
	v_dot2_f32_f16 v39, v13, v43, v39
	;;#ASMEND
	s_nop 0
	;;#ASMSTART
	v_dot2_f32_f16 v39, v14, v44, v39
	;;#ASMEND
	s_nop 0
	;;#ASMSTART
	v_dot2_f32_f16 v39, v15, v45, v39
	;;#ASMEND
	s_waitcnt lgkmcnt(0)
	;;#ASMSTART
	v_dot2_f32_f16 v40, v46, v42, v40
	;;#ASMEND
	s_nop 0
	;;#ASMSTART
	v_dot2_f32_f16 v40, v47, v43, v40
	;;#ASMEND
	s_nop 0
	;;#ASMSTART
	v_dot2_f32_f16 v40, v48, v44, v40
	;;#ASMEND
	s_nop 0
	;;#ASMSTART
	v_dot2_f32_f16 v40, v49, v45, v40
	;;#ASMEND
	ds_read_b128 v[12:15], v22 offset:112
	ds_read_b128 v[42:45], v19 offset:1008
	ds_read_b128 v[46:49], v22 offset:4720
	s_waitcnt lgkmcnt(1)
	;;#ASMSTART
	v_dot2_f32_f16 v39, v12, v42, v39
	;;#ASMEND
	s_nop 0
	;;#ASMSTART
	v_dot2_f32_f16 v39, v13, v43, v39
	;;#ASMEND
	s_nop 0
	;;#ASMSTART
	v_dot2_f32_f16 v39, v14, v44, v39
	;;#ASMEND
                                        ; implicit-def: $vgpr14
	s_nop 0
	;;#ASMSTART
	v_dot2_f32_f16 v39, v15, v45, v39
	;;#ASMEND
	s_waitcnt lgkmcnt(0)
	;;#ASMSTART
	v_dot2_f32_f16 v40, v46, v42, v40
	;;#ASMEND
	s_nop 0
	;;#ASMSTART
	v_dot2_f32_f16 v40, v47, v43, v40
	;;#ASMEND
	v_cmp_nlt_f32_e64 s[6:7], |v39|, s8
	;;#ASMSTART
	v_dot2_f32_f16 v40, v48, v44, v40
	;;#ASMEND
	s_nop 0
	;;#ASMSTART
	v_dot2_f32_f16 v40, v49, v45, v40
	;;#ASMEND
	s_and_saveexec_b64 s[34:35], s[6:7]
	s_xor_b64 s[6:7], exec, s[34:35]
	s_cbranch_execz .LBB31_14
; %bb.13:                               ;   in Loop: Header=BB31_12 Depth=1
	v_add_f32_e64 v12, |v39|, |v39|
	v_mul_f32_e32 v13, 0x3fb8aa3b, v12
	v_rndne_f32_e32 v14, v13
	v_sub_f32_e32 v15, v13, v14
	v_fma_f32 v13, v12, s9, -v13
	v_fmac_f32_e32 v13, 0x32a5705f, v12
	v_add_f32_e32 v13, v15, v13
	v_cvt_i32_f32_e32 v14, v14
	v_exp_f32_e32 v13, v13
	v_cmp_ngt_f32_e32 vcc, s21, v12
	v_ldexp_f32 v13, v13, v14
	s_nop 0
	v_cndmask_b32_e32 v13, 0, v13, vcc
	v_cmp_nlt_f32_e32 vcc, s24, v12
	s_nop 1
	v_cndmask_b32_e32 v12, v28, v13, vcc
	v_add_f32_e32 v12, 1.0, v12
	v_rcp_f32_e32 v12, v12
	s_nop 0
	v_fma_f32 v14, v12, -2.0, 1.0
.LBB31_14:                              ;   in Loop: Header=BB31_12 Depth=1
	s_andn2_saveexec_b64 s[6:7], s[6:7]
; %bb.15:                               ;   in Loop: Header=BB31_12 Depth=1
	v_mul_f32_e32 v12, v39, v39
	v_fmamk_f32 v13, v12, 0xbbbac73d, v27
	v_fmaak_f32 v13, v12, v13, 0xbd5c1c4e
	v_fmaak_f32 v13, v12, v13, 0x3e088382
	;; [unrolled: 1-line block ×3, first 2 shown]
	v_mul_f32_e64 v13, |v39|, v13
	v_fma_f32 v14, v12, v13, |v39|
; %bb.16:                               ;   in Loop: Header=BB31_12 Depth=1
	s_or_b64 exec, exec, s[6:7]
	v_add_u32_e32 v12, s2, v8
	v_ashrrev_i32_e32 v13, 31, v12
	v_lshl_add_u64 v[12:13], v[12:13], 1, s[30:31]
	global_load_ushort v15, v[12:13], off
	v_cmp_nlt_f32_e64 s[6:7], |v40|, s8
                                        ; implicit-def: $vgpr41
	s_and_saveexec_b64 s[34:35], s[6:7]
	s_xor_b64 s[6:7], exec, s[34:35]
	s_cbranch_execz .LBB31_18
; %bb.17:                               ;   in Loop: Header=BB31_12 Depth=1
	v_add_f32_e64 v41, |v40|, |v40|
	v_mul_f32_e32 v42, 0x3fb8aa3b, v41
	v_rndne_f32_e32 v43, v42
	v_sub_f32_e32 v44, v42, v43
	v_fma_f32 v42, v41, s9, -v42
	v_fmac_f32_e32 v42, 0x32a5705f, v41
	v_add_f32_e32 v42, v44, v42
	v_cvt_i32_f32_e32 v43, v43
	v_exp_f32_e32 v42, v42
	v_cmp_ngt_f32_e32 vcc, s21, v41
	v_ldexp_f32 v42, v42, v43
	s_nop 0
	v_cndmask_b32_e32 v42, 0, v42, vcc
	v_cmp_nlt_f32_e32 vcc, s24, v41
	s_nop 1
	v_cndmask_b32_e32 v41, v28, v42, vcc
	v_add_f32_e32 v41, 1.0, v41
	v_rcp_f32_e32 v41, v41
	s_nop 0
	v_fma_f32 v41, v41, -2.0, 1.0
.LBB31_18:                              ;   in Loop: Header=BB31_12 Depth=1
	s_andn2_saveexec_b64 s[6:7], s[6:7]
; %bb.19:                               ;   in Loop: Header=BB31_12 Depth=1
	v_mul_f32_e32 v41, v40, v40
	v_fmamk_f32 v42, v41, 0xbbbac73d, v27
	v_fmaak_f32 v42, v41, v42, 0xbd5c1c4e
	v_fmaak_f32 v42, v41, v42, 0x3e088382
	;; [unrolled: 1-line block ×3, first 2 shown]
	v_mul_f32_e64 v42, |v40|, v42
	v_fma_f32 v41, v41, v42, |v40|
; %bb.20:                               ;   in Loop: Header=BB31_12 Depth=1
	s_or_b64 exec, exec, s[6:7]
	global_load_ushort v12, v[12:13], off offset:64
	s_mul_hi_i32 s7, s2, s11
	s_mul_i32 s6, s2, s11
	v_bfi_b32 v43, s25, v41, v40
	v_lshl_add_u64 v[40:41], s[6:7], 2, v[10:11]
	s_barrier
	global_load_dwordx4 v[46:49], v[40:41], off
	global_load_dwordx4 v[50:53], v[40:41], off offset:512
	v_bfi_b32 v39, s25, v14, v39
	v_and_b32_e32 v42, 0x60, v9
	v_xor_b32_e32 v14, 16, v9
	s_waitcnt vmcnt(3)
	v_fma_mix_f32 v44, s10, v39, v15 op_sel_hi:[0,0,1]
	v_add_u32_e32 v15, 32, v42
	v_cmp_lt_i32_e32 vcc, v14, v15
	v_add_f32_e32 v39, 0x40051340, v44
	v_xor_b32_e32 v13, 8, v9
	v_cndmask_b32_e32 v42, v9, v14, vcc
	v_lshlrev_b32_e32 v42, 2, v42
	v_cmp_lt_i32_e32 vcc, v13, v15
	s_or_b32 s6, s2, 8
	s_mul_hi_i32 s7, s6, s11
	v_cndmask_b32_e32 v40, v9, v13, vcc
	v_lshlrev_b32_e32 v40, 2, v40
	s_mul_i32 s6, s6, s11
	s_waitcnt vmcnt(2)
	v_fma_mix_f32 v43, s10, v43, v12 op_sel_hi:[0,0,1]
	v_add_f32_e32 v12, 0x40051340, v43
	v_max3_f32 v12, v38, v39, v12
	ds_bpermute_b32 v39, v42, v12
	s_waitcnt lgkmcnt(0)
	v_max_f32_e32 v39, v39, v39
	v_max_f32_e32 v12, v12, v39
	ds_bpermute_b32 v40, v40, v12
	v_xor_b32_e32 v39, 4, v9
	v_cmp_lt_i32_e32 vcc, v39, v15
	s_waitcnt lgkmcnt(0)
	v_max_f32_e32 v40, v40, v40
	v_cndmask_b32_e32 v41, v9, v39, vcc
	v_lshlrev_b32_e32 v41, 2, v41
	v_max_f32_e32 v12, v12, v40
	ds_bpermute_b32 v41, v41, v12
	v_xor_b32_e32 v40, 2, v9
	v_cmp_lt_i32_e32 vcc, v40, v15
	s_waitcnt lgkmcnt(0)
	v_max_f32_e32 v41, v41, v41
	v_cndmask_b32_e32 v42, v9, v40, vcc
	v_lshlrev_b32_e32 v42, 2, v42
	;; [unrolled: 8-line block ×3, first 2 shown]
	v_max_f32_e32 v12, v12, v42
	ds_bpermute_b32 v42, v45, v12
	s_waitcnt lgkmcnt(0)
	v_max_f32_e32 v42, v42, v42
	v_max_f32_e32 v12, v12, v42
	v_sub_f32_e32 v42, v44, v12
	v_sub_f32_e32 v43, v43, v12
	v_mul_f32_e32 v44, 0x3fb8aa3b, v42
	v_sub_f32_e32 v38, v38, v12
	v_mul_f32_e32 v45, 0x3fb8aa3b, v43
	v_fma_f32 v55, v42, s9, -v44
	v_rndne_f32_e32 v56, v44
	v_mul_f32_e32 v54, 0x3fb8aa3b, v38
	v_fma_f32 v57, v43, s9, -v45
	v_rndne_f32_e32 v58, v45
	v_fmac_f32_e32 v55, 0x32a5705f, v42
	v_sub_f32_e32 v44, v44, v56
	v_fma_f32 v59, v38, s9, -v54
	v_rndne_f32_e32 v60, v54
	v_fmac_f32_e32 v57, 0x32a5705f, v43
	v_sub_f32_e32 v45, v45, v58
	v_add_f32_e32 v44, v44, v55
	v_cvt_i32_f32_e32 v56, v56
	v_fmac_f32_e32 v59, 0x32a5705f, v38
	v_sub_f32_e32 v54, v54, v60
	v_add_f32_e32 v45, v45, v57
	v_exp_f32_e32 v44, v44
	v_cvt_i32_f32_e32 v58, v58
	v_add_f32_e32 v54, v54, v59
	v_exp_f32_e32 v45, v45
	v_cvt_i32_f32_e32 v60, v60
	v_exp_f32_e32 v54, v54
	v_ldexp_f32 v44, v44, v56
	v_cmp_ngt_f32_e32 vcc, s21, v42
	v_ldexp_f32 v45, v45, v58
	v_ldexp_f32 v54, v54, v60
	v_cndmask_b32_e32 v44, 0, v44, vcc
	v_cmp_ngt_f32_e32 vcc, s21, v43
	s_nop 1
	v_cndmask_b32_e32 v45, 0, v45, vcc
	v_cmp_ngt_f32_e32 vcc, s21, v38
	s_nop 1
	v_cndmask_b32_e32 v54, 0, v54, vcc
	v_cmp_nlt_f32_e32 vcc, s24, v42
	s_nop 1
	v_cndmask_b32_e32 v42, v28, v44, vcc
	v_cmp_nlt_f32_e32 vcc, s24, v43
	;; [unrolled: 3-line block ×3, first 2 shown]
	v_cvt_f16_f32_e32 v55, v43
	v_add_u32_e32 v38, 0x800, v18
	v_cndmask_b32_e32 v44, v28, v54, vcc
	v_cvt_f16_f32_e32 v54, v42
	v_cvt_f16_f32_e32 v45, v44
	ds_write_b16 v24, v54
	ds_write_b16 v24, v55 offset:64
	s_waitcnt vmcnt(1)
	ds_write_b128 v25, v[46:49]
	s_waitcnt vmcnt(0)
	ds_write_b128 v26, v[50:53]
	s_waitcnt lgkmcnt(0)
	s_barrier
	ds_read2_b64 v[46:49], v18 offset1:32
	ds_read2_b64 v[50:53], v18 offset0:64 offset1:96
	ds_read_b128 v[54:57], v23
	ds_read2_b64 v[58:61], v18 offset0:128 offset1:160
	ds_read2_b64 v[62:65], v18 offset0:192 offset1:224
	ds_read2_b64 v[66:69], v38 offset1:32
	ds_read2_b64 v[70:73], v38 offset0:64 offset1:96
	v_mul_u32_u24_e32 v45, 0x10001, v45
	s_waitcnt lgkmcnt(4)
	v_mul_u32_u24_sdwa v74, v54, s26 dst_sel:DWORD dst_unused:UNUSED_PAD src0_sel:WORD_0 src1_sel:DWORD
	v_pk_mul_f16 v36, v36, v45
	v_pk_mul_f16 v37, v37, v45
	;; [unrolled: 1-line block ×8, first 2 shown]
	v_mul_u32_u24_sdwa v54, v54, s26 dst_sel:DWORD dst_unused:UNUSED_PAD src0_sel:WORD_1 src1_sel:DWORD
	v_pk_fma_f16 v36, v48, v74, v36
	v_pk_fma_f16 v37, v49, v74, v37
	v_pk_fma_f16 v33, v50, v74, v33
	v_pk_fma_f16 v32, v51, v74, v32
	v_pk_fma_f16 v31, v52, v74, v31
	v_pk_fma_f16 v30, v53, v74, v30
	v_pk_fma_f16 v35, v35, v45, v46
	v_pk_fma_f16 v34, v34, v45, v47
	v_mul_u32_u24_sdwa v75, v55, s26 dst_sel:DWORD dst_unused:UNUSED_PAD src0_sel:WORD_0 src1_sel:DWORD
	s_waitcnt lgkmcnt(3)
	v_pk_fma_f16 v36, v60, v54, v36
	v_pk_fma_f16 v37, v61, v54, v37
	s_waitcnt lgkmcnt(2)
	v_pk_fma_f16 v33, v62, v54, v33
	v_pk_fma_f16 v32, v63, v54, v32
	;; [unrolled: 1-line block ×6, first 2 shown]
	s_waitcnt lgkmcnt(1)
	v_pk_fma_f16 v47, v68, v75, v36
	v_pk_fma_f16 v48, v66, v75, v30
	;; [unrolled: 1-line block ×4, first 2 shown]
	s_waitcnt lgkmcnt(0)
	v_pk_fma_f16 v51, v70, v75, v33
	v_pk_fma_f16 v52, v71, v75, v32
	ds_read2_b64 v[30:33], v38 offset0:128 offset1:160
	ds_read2_b64 v[34:37], v38 offset0:192 offset1:224
	v_pk_fma_f16 v45, v72, v75, v45
	v_pk_fma_f16 v46, v73, v75, v46
	v_mul_u32_u24_sdwa v53, v55, s26 dst_sel:DWORD dst_unused:UNUSED_PAD src0_sel:WORD_1 src1_sel:DWORD
	s_waitcnt lgkmcnt(1)
	v_pk_fma_f16 v82, v30, v53, v48
	v_pk_fma_f16 v83, v31, v53, v49
	v_add_u32_e32 v30, 0x1000, v18
	s_waitcnt lgkmcnt(0)
	v_pk_fma_f16 v45, v36, v53, v45
	v_pk_fma_f16 v88, v37, v53, v46
	v_add_u32_e32 v31, 0x1800, v18
	v_lshl_add_u64 v[36:37], s[6:7], 2, v[10:11]
	v_pk_fma_f16 v84, v32, v53, v47
	v_pk_fma_f16 v85, v33, v53, v50
	;; [unrolled: 1-line block ×4, first 2 shown]
	ds_read2_b64 v[32:35], v30 offset1:32
	ds_read2_b64 v[46:49], v30 offset0:64 offset1:96
	v_mul_u32_u24_sdwa v89, v56, s26 dst_sel:DWORD dst_unused:UNUSED_PAD src0_sel:WORD_0 src1_sel:DWORD
	ds_read2_b64 v[50:53], v30 offset0:128 offset1:160
	ds_read2_b64 v[58:61], v30 offset0:192 offset1:224
	v_mul_u32_u24_sdwa v90, v56, s26 dst_sel:DWORD dst_unused:UNUSED_PAD src0_sel:WORD_1 src1_sel:DWORD
	ds_read2_b64 v[62:65], v31 offset1:32
	ds_read2_b64 v[66:69], v31 offset0:64 offset1:96
	ds_read2_b64 v[70:73], v31 offset0:128 offset1:160
	;; [unrolled: 1-line block ×3, first 2 shown]
	s_waitcnt lgkmcnt(0)
	s_barrier
	v_mul_u32_u24_sdwa v91, v57, s26 dst_sel:DWORD dst_unused:UNUSED_PAD src0_sel:WORD_0 src1_sel:DWORD
	v_mul_u32_u24_sdwa v92, v57, s26 dst_sel:DWORD dst_unused:UNUSED_PAD src0_sel:WORD_1 src1_sel:DWORD
	global_load_dwordx4 v[54:57], v[36:37], off
	global_load_dwordx4 v[78:81], v[36:37], off offset:512
	v_pk_fma_f16 v34, v34, v89, v84
	v_pk_fma_f16 v35, v35, v89, v85
	;; [unrolled: 1-line block ×25, first 2 shown]
	s_waitcnt vmcnt(1)
	ds_write_b128 v25, v[54:57]
	s_waitcnt vmcnt(0)
	ds_write_b128 v26, v[78:81]
	s_waitcnt lgkmcnt(0)
	s_barrier
	ds_read_b128 v[32:35], v23 offset:16
	ds_read2_b64 v[46:49], v18 offset1:32
	v_pk_fma_f16 v54, v77, v92, v50
	ds_read2_b64 v[50:53], v18 offset0:64 offset1:96
	v_pk_fma_f16 v36, v66, v91, v36
	s_waitcnt lgkmcnt(2)
	v_mul_u32_u24_sdwa v55, v32, s26 dst_sel:DWORD dst_unused:UNUSED_PAD src0_sel:WORD_0 src1_sel:DWORD
	s_waitcnt lgkmcnt(1)
	v_pk_fma_f16 v56, v46, v55, v60
	v_pk_fma_f16 v57, v47, v55, v61
	;; [unrolled: 1-line block ×4, first 2 shown]
	ds_read2_b64 v[46:49], v18 offset0:128 offset1:160
	v_pk_fma_f16 v37, v67, v91, v37
	v_pk_fma_f16 v45, v68, v91, v45
	;; [unrolled: 1-line block ×5, first 2 shown]
	s_waitcnt lgkmcnt(1)
	v_pk_fma_f16 v36, v50, v55, v36
	v_pk_fma_f16 v37, v51, v55, v37
	v_pk_fma_f16 v45, v52, v55, v45
	v_pk_fma_f16 v54, v53, v55, v54
	ds_read2_b64 v[50:53], v18 offset0:192 offset1:224
	v_mul_u32_u24_sdwa v32, v32, s26 dst_sel:DWORD dst_unused:UNUSED_PAD src0_sel:WORD_1 src1_sel:DWORD
	s_waitcnt lgkmcnt(1)
	v_pk_fma_f16 v55, v46, v32, v56
	v_pk_fma_f16 v56, v47, v32, v57
	;; [unrolled: 1-line block ×4, first 2 shown]
	ds_read2_b64 v[46:49], v38 offset1:32
	s_waitcnt lgkmcnt(1)
	v_pk_fma_f16 v36, v50, v32, v36
	v_pk_fma_f16 v37, v51, v32, v37
	v_pk_fma_f16 v45, v52, v32, v45
	v_pk_fma_f16 v32, v53, v32, v54
	ds_read2_b64 v[50:53], v38 offset0:64 offset1:96
	v_mul_u32_u24_sdwa v54, v33, s26 dst_sel:DWORD dst_unused:UNUSED_PAD src0_sel:WORD_0 src1_sel:DWORD
	s_waitcnt lgkmcnt(1)
	v_pk_fma_f16 v55, v46, v54, v55
	v_pk_fma_f16 v56, v47, v54, v56
	;; [unrolled: 1-line block ×4, first 2 shown]
	ds_read2_b64 v[46:49], v38 offset0:128 offset1:160
	s_waitcnt lgkmcnt(1)
	v_pk_fma_f16 v36, v50, v54, v36
	v_pk_fma_f16 v37, v51, v54, v37
	;; [unrolled: 1-line block ×4, first 2 shown]
	ds_read2_b64 v[50:53], v38 offset0:192 offset1:224
	v_mul_u32_u24_sdwa v33, v33, s26 dst_sel:DWORD dst_unused:UNUSED_PAD src0_sel:WORD_1 src1_sel:DWORD
	s_waitcnt lgkmcnt(1)
	v_pk_fma_f16 v54, v46, v33, v55
	v_pk_fma_f16 v55, v47, v33, v56
	;; [unrolled: 1-line block ×4, first 2 shown]
	ds_read2_b64 v[46:49], v30 offset1:32
	s_or_b32 s6, s2, 16
	s_mul_hi_i32 s7, s6, s11
	s_mul_i32 s6, s6, s11
	s_waitcnt lgkmcnt(1)
	v_pk_fma_f16 v36, v50, v33, v36
	v_pk_fma_f16 v37, v51, v33, v37
	;; [unrolled: 1-line block ×4, first 2 shown]
	v_mul_u32_u24_sdwa v83, v34, s26 dst_sel:DWORD dst_unused:UNUSED_PAD src0_sel:WORD_0 src1_sel:DWORD
	v_lshl_add_u64 v[32:33], s[6:7], 2, v[10:11]
	ds_read2_b64 v[50:53], v30 offset0:64 offset1:96
	s_waitcnt lgkmcnt(1)
	v_pk_fma_f16 v84, v46, v83, v54
	v_pk_fma_f16 v85, v47, v83, v55
	;; [unrolled: 1-line block ×4, first 2 shown]
	ds_read2_b64 v[46:49], v30 offset0:128 offset1:160
	ds_read2_b64 v[54:57], v30 offset0:192 offset1:224
	ds_read2_b64 v[58:61], v31 offset1:32
	ds_read2_b64 v[62:65], v31 offset0:64 offset1:96
	ds_read2_b64 v[66:69], v31 offset0:128 offset1:160
	;; [unrolled: 1-line block ×3, first 2 shown]
	s_waitcnt lgkmcnt(0)
	s_barrier
	global_load_dwordx4 v[74:77], v[32:33], off
	global_load_dwordx4 v[78:81], v[32:33], off offset:512
	v_pk_fma_f16 v32, v50, v83, v36
	v_pk_fma_f16 v33, v51, v83, v37
	;; [unrolled: 1-line block ×4, first 2 shown]
	v_mul_u32_u24_sdwa v34, v34, s26 dst_sel:DWORD dst_unused:UNUSED_PAD src0_sel:WORD_1 src1_sel:DWORD
	v_pk_fma_f16 v45, v46, v34, v84
	v_pk_fma_f16 v46, v47, v34, v85
	;; [unrolled: 1-line block ×8, first 2 shown]
	v_mul_u32_u24_sdwa v37, v35, s26 dst_sel:DWORD dst_unused:UNUSED_PAD src0_sel:WORD_0 src1_sel:DWORD
	v_pk_fma_f16 v46, v59, v37, v46
	v_pk_fma_f16 v47, v60, v37, v47
	;; [unrolled: 1-line block ×5, first 2 shown]
	v_mul_u32_u24_sdwa v50, v35, s26 dst_sel:DWORD dst_unused:UNUSED_PAD src0_sel:WORD_1 src1_sel:DWORD
	v_pk_fma_f16 v45, v58, v37, v45
	v_pk_fma_f16 v36, v64, v37, v36
	;; [unrolled: 1-line block ×8, first 2 shown]
	s_waitcnt vmcnt(1)
	ds_write_b128 v25, v[74:77]
	s_waitcnt vmcnt(0)
	ds_write_b128 v26, v[78:81]
	s_waitcnt lgkmcnt(0)
	s_barrier
	ds_read_b128 v[32:35], v23 offset:32
	ds_read2_b64 v[46:49], v18 offset1:32
	v_pk_fma_f16 v45, v66, v50, v45
	v_pk_fma_f16 v36, v72, v50, v36
	;; [unrolled: 1-line block ×3, first 2 shown]
	ds_read2_b64 v[50:53], v18 offset0:64 offset1:96
	s_waitcnt lgkmcnt(2)
	v_mul_u32_u24_sdwa v59, v32, s26 dst_sel:DWORD dst_unused:UNUSED_PAD src0_sel:WORD_0 src1_sel:DWORD
	s_waitcnt lgkmcnt(1)
	v_pk_fma_f16 v45, v46, v59, v45
	v_pk_fma_f16 v54, v47, v59, v54
	;; [unrolled: 1-line block ×4, first 2 shown]
	ds_read2_b64 v[46:49], v18 offset0:128 offset1:160
	s_waitcnt lgkmcnt(1)
	v_pk_fma_f16 v57, v50, v59, v57
	v_pk_fma_f16 v58, v51, v59, v58
	;; [unrolled: 1-line block ×4, first 2 shown]
	ds_read2_b64 v[50:53], v18 offset0:192 offset1:224
	v_mul_u32_u24_sdwa v32, v32, s26 dst_sel:DWORD dst_unused:UNUSED_PAD src0_sel:WORD_1 src1_sel:DWORD
	s_waitcnt lgkmcnt(1)
	v_pk_fma_f16 v45, v46, v32, v45
	v_pk_fma_f16 v54, v47, v32, v54
	;; [unrolled: 1-line block ×4, first 2 shown]
	ds_read2_b64 v[46:49], v38 offset1:32
	s_waitcnt lgkmcnt(1)
	v_pk_fma_f16 v57, v50, v32, v57
	v_pk_fma_f16 v58, v51, v32, v58
	;; [unrolled: 1-line block ×4, first 2 shown]
	ds_read2_b64 v[50:53], v38 offset0:64 offset1:96
	v_mul_u32_u24_sdwa v37, v33, s26 dst_sel:DWORD dst_unused:UNUSED_PAD src0_sel:WORD_0 src1_sel:DWORD
	s_waitcnt lgkmcnt(1)
	v_pk_fma_f16 v45, v46, v37, v45
	v_pk_fma_f16 v54, v47, v37, v54
	;; [unrolled: 1-line block ×4, first 2 shown]
	ds_read2_b64 v[46:49], v38 offset0:128 offset1:160
	s_waitcnt lgkmcnt(1)
	v_pk_fma_f16 v57, v50, v37, v57
	v_pk_fma_f16 v58, v51, v37, v58
	;; [unrolled: 1-line block ×4, first 2 shown]
	ds_read2_b64 v[50:53], v38 offset0:192 offset1:224
	v_mul_u32_u24_sdwa v33, v33, s26 dst_sel:DWORD dst_unused:UNUSED_PAD src0_sel:WORD_1 src1_sel:DWORD
	s_waitcnt lgkmcnt(1)
	v_pk_fma_f16 v37, v46, v33, v45
	v_pk_fma_f16 v45, v47, v33, v54
	;; [unrolled: 1-line block ×4, first 2 shown]
	ds_read2_b64 v[46:49], v30 offset1:32
	s_or_b32 s6, s2, 24
	s_mul_hi_i32 s7, s6, s11
	s_mul_i32 s6, s6, s11
	s_waitcnt lgkmcnt(1)
	v_pk_fma_f16 v82, v50, v33, v57
	v_pk_fma_f16 v83, v51, v33, v58
	;; [unrolled: 1-line block ×4, first 2 shown]
	v_mul_u32_u24_sdwa v85, v34, s26 dst_sel:DWORD dst_unused:UNUSED_PAD src0_sel:WORD_0 src1_sel:DWORD
	v_lshl_add_u64 v[32:33], s[6:7], 2, v[10:11]
	ds_read2_b64 v[50:53], v30 offset0:64 offset1:96
	s_waitcnt lgkmcnt(1)
	v_pk_fma_f16 v37, v46, v85, v37
	v_pk_fma_f16 v45, v47, v85, v45
	;; [unrolled: 1-line block ×4, first 2 shown]
	ds_read2_b64 v[46:49], v30 offset0:128 offset1:160
	ds_read2_b64 v[54:57], v30 offset0:192 offset1:224
	ds_read2_b64 v[58:61], v31 offset1:32
	ds_read2_b64 v[62:65], v31 offset0:64 offset1:96
	ds_read2_b64 v[66:69], v31 offset0:128 offset1:160
	;; [unrolled: 1-line block ×3, first 2 shown]
	s_waitcnt lgkmcnt(0)
	s_barrier
	global_load_dwordx4 v[74:77], v[32:33], off
	global_load_dwordx4 v[78:81], v[32:33], off offset:512
	v_pk_fma_f16 v32, v50, v85, v82
	v_pk_fma_f16 v33, v51, v85, v83
	v_mul_u32_u24_sdwa v34, v34, s26 dst_sel:DWORD dst_unused:UNUSED_PAD src0_sel:WORD_1 src1_sel:DWORD
	v_pk_fma_f16 v36, v52, v85, v36
	v_pk_fma_f16 v50, v53, v85, v84
	v_pk_fma_f16 v37, v46, v34, v37
	v_pk_fma_f16 v45, v47, v34, v45
	v_pk_fma_f16 v46, v48, v34, v86
	v_pk_fma_f16 v47, v49, v34, v87
	v_pk_fma_f16 v32, v54, v34, v32
	v_pk_fma_f16 v33, v55, v34, v33
	v_mul_u32_u24_sdwa v48, v35, s26 dst_sel:DWORD dst_unused:UNUSED_PAD src0_sel:WORD_0 src1_sel:DWORD
	v_pk_fma_f16 v36, v56, v34, v36
	v_pk_fma_f16 v34, v57, v34, v50
	;; [unrolled: 1-line block ×6, first 2 shown]
	v_mul_u32_u24_sdwa v51, v35, s26 dst_sel:DWORD dst_unused:UNUSED_PAD src0_sel:WORD_1 src1_sel:DWORD
	v_pk_fma_f16 v37, v58, v48, v37
	v_pk_fma_f16 v45, v59, v48, v45
	;; [unrolled: 1-line block ×8, first 2 shown]
	s_waitcnt vmcnt(1)
	ds_write_b128 v25, v[74:77]
	s_waitcnt vmcnt(0)
	ds_write_b128 v26, v[78:81]
	s_waitcnt lgkmcnt(0)
	s_barrier
	ds_read_b128 v[32:35], v23 offset:48
	ds_read2_b64 v[46:49], v18 offset1:32
	v_pk_fma_f16 v37, v66, v51, v37
	v_pk_fma_f16 v45, v67, v51, v45
	;; [unrolled: 1-line block ×4, first 2 shown]
	ds_read2_b64 v[50:53], v18 offset0:64 offset1:96
	s_waitcnt lgkmcnt(2)
	v_mul_u32_u24_sdwa v59, v32, s26 dst_sel:DWORD dst_unused:UNUSED_PAD src0_sel:WORD_0 src1_sel:DWORD
	s_waitcnt lgkmcnt(1)
	v_pk_fma_f16 v37, v46, v59, v37
	v_pk_fma_f16 v45, v47, v59, v45
	;; [unrolled: 1-line block ×4, first 2 shown]
	ds_read2_b64 v[46:49], v18 offset0:128 offset1:160
	s_waitcnt lgkmcnt(1)
	v_pk_fma_f16 v56, v50, v59, v56
	v_pk_fma_f16 v57, v51, v59, v57
	;; [unrolled: 1-line block ×4, first 2 shown]
	ds_read2_b64 v[50:53], v18 offset0:192 offset1:224
	v_mul_u32_u24_sdwa v32, v32, s26 dst_sel:DWORD dst_unused:UNUSED_PAD src0_sel:WORD_1 src1_sel:DWORD
	s_waitcnt lgkmcnt(1)
	v_pk_fma_f16 v37, v46, v32, v37
	v_pk_fma_f16 v45, v47, v32, v45
	;; [unrolled: 1-line block ×4, first 2 shown]
	ds_read2_b64 v[46:49], v38 offset1:32
	s_waitcnt lgkmcnt(1)
	v_pk_fma_f16 v56, v50, v32, v56
	v_pk_fma_f16 v57, v51, v32, v57
	;; [unrolled: 1-line block ×4, first 2 shown]
	ds_read2_b64 v[50:53], v38 offset0:64 offset1:96
	v_mul_u32_u24_sdwa v58, v33, s26 dst_sel:DWORD dst_unused:UNUSED_PAD src0_sel:WORD_0 src1_sel:DWORD
	s_waitcnt lgkmcnt(1)
	v_pk_fma_f16 v37, v46, v58, v37
	v_pk_fma_f16 v45, v47, v58, v45
	;; [unrolled: 1-line block ×4, first 2 shown]
	ds_read2_b64 v[46:49], v38 offset0:128 offset1:160
	s_waitcnt lgkmcnt(1)
	v_pk_fma_f16 v56, v50, v58, v56
	v_pk_fma_f16 v57, v51, v58, v57
	;; [unrolled: 1-line block ×4, first 2 shown]
	ds_read2_b64 v[50:53], v38 offset0:192 offset1:224
	v_mul_u32_u24_sdwa v33, v33, s26 dst_sel:DWORD dst_unused:UNUSED_PAD src0_sel:WORD_1 src1_sel:DWORD
	s_waitcnt lgkmcnt(1)
	v_pk_fma_f16 v37, v46, v33, v37
	v_pk_fma_f16 v45, v47, v33, v45
	;; [unrolled: 1-line block ×4, first 2 shown]
	ds_read2_b64 v[46:49], v30 offset1:32
	s_or_b32 s6, s2, 32
	s_mul_hi_i32 s7, s6, s11
	s_mul_i32 s6, s6, s11
	s_waitcnt lgkmcnt(1)
	v_pk_fma_f16 v82, v50, v33, v56
	v_pk_fma_f16 v83, v51, v33, v57
	;; [unrolled: 1-line block ×4, first 2 shown]
	v_mul_u32_u24_sdwa v85, v34, s26 dst_sel:DWORD dst_unused:UNUSED_PAD src0_sel:WORD_0 src1_sel:DWORD
	v_lshl_add_u64 v[32:33], s[6:7], 2, v[10:11]
	ds_read2_b64 v[50:53], v30 offset0:64 offset1:96
	s_waitcnt lgkmcnt(1)
	v_pk_fma_f16 v37, v46, v85, v37
	v_pk_fma_f16 v45, v47, v85, v45
	;; [unrolled: 1-line block ×4, first 2 shown]
	ds_read2_b64 v[46:49], v30 offset0:128 offset1:160
	ds_read2_b64 v[54:57], v30 offset0:192 offset1:224
	ds_read2_b64 v[58:61], v31 offset1:32
	ds_read2_b64 v[62:65], v31 offset0:64 offset1:96
	ds_read2_b64 v[66:69], v31 offset0:128 offset1:160
	;; [unrolled: 1-line block ×3, first 2 shown]
	s_waitcnt lgkmcnt(0)
	s_barrier
	global_load_dwordx4 v[74:77], v[32:33], off
	global_load_dwordx4 v[78:81], v[32:33], off offset:512
	v_pk_fma_f16 v32, v50, v85, v82
	v_pk_fma_f16 v33, v51, v85, v83
	v_mul_u32_u24_sdwa v34, v34, s26 dst_sel:DWORD dst_unused:UNUSED_PAD src0_sel:WORD_1 src1_sel:DWORD
	v_pk_fma_f16 v36, v52, v85, v36
	v_pk_fma_f16 v50, v53, v85, v84
	;; [unrolled: 1-line block ×8, first 2 shown]
	v_mul_u32_u24_sdwa v48, v35, s26 dst_sel:DWORD dst_unused:UNUSED_PAD src0_sel:WORD_0 src1_sel:DWORD
	v_pk_fma_f16 v36, v56, v34, v36
	v_pk_fma_f16 v34, v57, v34, v50
	;; [unrolled: 1-line block ×6, first 2 shown]
	v_mul_u32_u24_sdwa v51, v35, s26 dst_sel:DWORD dst_unused:UNUSED_PAD src0_sel:WORD_1 src1_sel:DWORD
	v_pk_fma_f16 v37, v58, v48, v37
	v_pk_fma_f16 v45, v59, v48, v45
	;; [unrolled: 1-line block ×8, first 2 shown]
	s_waitcnt vmcnt(1)
	ds_write_b128 v25, v[74:77]
	s_waitcnt vmcnt(0)
	ds_write_b128 v26, v[78:81]
	s_waitcnt lgkmcnt(0)
	s_barrier
	ds_read_b128 v[32:35], v23 offset:64
	ds_read2_b64 v[46:49], v18 offset1:32
	v_pk_fma_f16 v37, v66, v51, v37
	v_pk_fma_f16 v45, v67, v51, v45
	;; [unrolled: 1-line block ×4, first 2 shown]
	ds_read2_b64 v[50:53], v18 offset0:64 offset1:96
	s_waitcnt lgkmcnt(2)
	v_mul_u32_u24_sdwa v59, v32, s26 dst_sel:DWORD dst_unused:UNUSED_PAD src0_sel:WORD_0 src1_sel:DWORD
	s_waitcnt lgkmcnt(1)
	v_pk_fma_f16 v37, v46, v59, v37
	v_pk_fma_f16 v45, v47, v59, v45
	;; [unrolled: 1-line block ×4, first 2 shown]
	ds_read2_b64 v[46:49], v18 offset0:128 offset1:160
	s_waitcnt lgkmcnt(1)
	v_pk_fma_f16 v56, v50, v59, v56
	v_pk_fma_f16 v57, v51, v59, v57
	;; [unrolled: 1-line block ×4, first 2 shown]
	ds_read2_b64 v[50:53], v18 offset0:192 offset1:224
	v_mul_u32_u24_sdwa v32, v32, s26 dst_sel:DWORD dst_unused:UNUSED_PAD src0_sel:WORD_1 src1_sel:DWORD
	s_waitcnt lgkmcnt(1)
	v_pk_fma_f16 v37, v46, v32, v37
	v_pk_fma_f16 v45, v47, v32, v45
	v_pk_fma_f16 v54, v48, v32, v54
	v_pk_fma_f16 v55, v49, v32, v55
	ds_read2_b64 v[46:49], v38 offset1:32
	s_waitcnt lgkmcnt(1)
	v_pk_fma_f16 v56, v50, v32, v56
	v_pk_fma_f16 v57, v51, v32, v57
	;; [unrolled: 1-line block ×4, first 2 shown]
	ds_read2_b64 v[50:53], v38 offset0:64 offset1:96
	v_mul_u32_u24_sdwa v58, v33, s26 dst_sel:DWORD dst_unused:UNUSED_PAD src0_sel:WORD_0 src1_sel:DWORD
	s_waitcnt lgkmcnt(1)
	v_pk_fma_f16 v37, v46, v58, v37
	v_pk_fma_f16 v45, v47, v58, v45
	;; [unrolled: 1-line block ×4, first 2 shown]
	ds_read2_b64 v[46:49], v38 offset0:128 offset1:160
	s_waitcnt lgkmcnt(1)
	v_pk_fma_f16 v56, v50, v58, v56
	v_pk_fma_f16 v57, v51, v58, v57
	;; [unrolled: 1-line block ×4, first 2 shown]
	ds_read2_b64 v[50:53], v38 offset0:192 offset1:224
	v_mul_u32_u24_sdwa v33, v33, s26 dst_sel:DWORD dst_unused:UNUSED_PAD src0_sel:WORD_1 src1_sel:DWORD
	s_waitcnt lgkmcnt(1)
	v_pk_fma_f16 v37, v46, v33, v37
	v_pk_fma_f16 v45, v47, v33, v45
	v_pk_fma_f16 v54, v48, v33, v54
	v_pk_fma_f16 v55, v49, v33, v55
	ds_read2_b64 v[46:49], v30 offset1:32
	s_or_b32 s6, s2, 40
	s_mul_hi_i32 s7, s6, s11
	s_mul_i32 s6, s6, s11
	s_waitcnt lgkmcnt(1)
	v_pk_fma_f16 v82, v50, v33, v56
	v_pk_fma_f16 v83, v51, v33, v57
	;; [unrolled: 1-line block ×4, first 2 shown]
	v_mul_u32_u24_sdwa v85, v34, s26 dst_sel:DWORD dst_unused:UNUSED_PAD src0_sel:WORD_0 src1_sel:DWORD
	v_lshl_add_u64 v[32:33], s[6:7], 2, v[10:11]
	ds_read2_b64 v[50:53], v30 offset0:64 offset1:96
	s_waitcnt lgkmcnt(1)
	v_pk_fma_f16 v37, v46, v85, v37
	v_pk_fma_f16 v45, v47, v85, v45
	;; [unrolled: 1-line block ×4, first 2 shown]
	ds_read2_b64 v[46:49], v30 offset0:128 offset1:160
	ds_read2_b64 v[54:57], v30 offset0:192 offset1:224
	ds_read2_b64 v[58:61], v31 offset1:32
	ds_read2_b64 v[62:65], v31 offset0:64 offset1:96
	ds_read2_b64 v[66:69], v31 offset0:128 offset1:160
	;; [unrolled: 1-line block ×3, first 2 shown]
	s_waitcnt lgkmcnt(0)
	s_barrier
	global_load_dwordx4 v[74:77], v[32:33], off
	global_load_dwordx4 v[78:81], v[32:33], off offset:512
	v_pk_fma_f16 v32, v50, v85, v82
	v_pk_fma_f16 v33, v51, v85, v83
	v_mul_u32_u24_sdwa v34, v34, s26 dst_sel:DWORD dst_unused:UNUSED_PAD src0_sel:WORD_1 src1_sel:DWORD
	v_pk_fma_f16 v36, v52, v85, v36
	v_pk_fma_f16 v50, v53, v85, v84
	;; [unrolled: 1-line block ×8, first 2 shown]
	v_mul_u32_u24_sdwa v48, v35, s26 dst_sel:DWORD dst_unused:UNUSED_PAD src0_sel:WORD_0 src1_sel:DWORD
	v_pk_fma_f16 v36, v56, v34, v36
	v_pk_fma_f16 v34, v57, v34, v50
	;; [unrolled: 1-line block ×6, first 2 shown]
	v_mul_u32_u24_sdwa v51, v35, s26 dst_sel:DWORD dst_unused:UNUSED_PAD src0_sel:WORD_1 src1_sel:DWORD
	v_pk_fma_f16 v37, v58, v48, v37
	v_pk_fma_f16 v45, v59, v48, v45
	;; [unrolled: 1-line block ×8, first 2 shown]
	s_waitcnt vmcnt(1)
	ds_write_b128 v25, v[74:77]
	s_waitcnt vmcnt(0)
	ds_write_b128 v26, v[78:81]
	s_waitcnt lgkmcnt(0)
	s_barrier
	ds_read_b128 v[32:35], v23 offset:80
	ds_read2_b64 v[46:49], v18 offset1:32
	v_pk_fma_f16 v37, v66, v51, v37
	v_pk_fma_f16 v45, v67, v51, v45
	;; [unrolled: 1-line block ×4, first 2 shown]
	ds_read2_b64 v[50:53], v18 offset0:64 offset1:96
	s_waitcnt lgkmcnt(2)
	v_mul_u32_u24_sdwa v59, v32, s26 dst_sel:DWORD dst_unused:UNUSED_PAD src0_sel:WORD_0 src1_sel:DWORD
	s_waitcnt lgkmcnt(1)
	v_pk_fma_f16 v37, v46, v59, v37
	v_pk_fma_f16 v45, v47, v59, v45
	;; [unrolled: 1-line block ×4, first 2 shown]
	ds_read2_b64 v[46:49], v18 offset0:128 offset1:160
	s_waitcnt lgkmcnt(1)
	v_pk_fma_f16 v56, v50, v59, v56
	v_pk_fma_f16 v57, v51, v59, v57
	;; [unrolled: 1-line block ×4, first 2 shown]
	ds_read2_b64 v[50:53], v18 offset0:192 offset1:224
	v_mul_u32_u24_sdwa v32, v32, s26 dst_sel:DWORD dst_unused:UNUSED_PAD src0_sel:WORD_1 src1_sel:DWORD
	s_waitcnt lgkmcnt(1)
	v_pk_fma_f16 v37, v46, v32, v37
	v_pk_fma_f16 v45, v47, v32, v45
	;; [unrolled: 1-line block ×4, first 2 shown]
	ds_read2_b64 v[46:49], v38 offset1:32
	s_waitcnt lgkmcnt(1)
	v_pk_fma_f16 v56, v50, v32, v56
	v_pk_fma_f16 v57, v51, v32, v57
	;; [unrolled: 1-line block ×4, first 2 shown]
	ds_read2_b64 v[50:53], v38 offset0:64 offset1:96
	v_mul_u32_u24_sdwa v58, v33, s26 dst_sel:DWORD dst_unused:UNUSED_PAD src0_sel:WORD_0 src1_sel:DWORD
	s_waitcnt lgkmcnt(1)
	v_pk_fma_f16 v37, v46, v58, v37
	v_pk_fma_f16 v45, v47, v58, v45
	;; [unrolled: 1-line block ×4, first 2 shown]
	ds_read2_b64 v[46:49], v38 offset0:128 offset1:160
	s_waitcnt lgkmcnt(1)
	v_pk_fma_f16 v56, v50, v58, v56
	v_pk_fma_f16 v57, v51, v58, v57
	;; [unrolled: 1-line block ×4, first 2 shown]
	ds_read2_b64 v[50:53], v38 offset0:192 offset1:224
	v_mul_u32_u24_sdwa v33, v33, s26 dst_sel:DWORD dst_unused:UNUSED_PAD src0_sel:WORD_1 src1_sel:DWORD
	s_waitcnt lgkmcnt(1)
	v_pk_fma_f16 v37, v46, v33, v37
	v_pk_fma_f16 v45, v47, v33, v45
	;; [unrolled: 1-line block ×4, first 2 shown]
	ds_read2_b64 v[46:49], v30 offset1:32
	s_or_b32 s6, s2, 48
	s_mul_hi_i32 s7, s6, s11
	s_mul_i32 s6, s6, s11
	s_waitcnt lgkmcnt(1)
	v_pk_fma_f16 v82, v50, v33, v56
	v_pk_fma_f16 v83, v51, v33, v57
	;; [unrolled: 1-line block ×4, first 2 shown]
	v_mul_u32_u24_sdwa v85, v34, s26 dst_sel:DWORD dst_unused:UNUSED_PAD src0_sel:WORD_0 src1_sel:DWORD
	v_lshl_add_u64 v[32:33], s[6:7], 2, v[10:11]
	ds_read2_b64 v[50:53], v30 offset0:64 offset1:96
	s_waitcnt lgkmcnt(1)
	v_pk_fma_f16 v37, v46, v85, v37
	v_pk_fma_f16 v45, v47, v85, v45
	;; [unrolled: 1-line block ×4, first 2 shown]
	ds_read2_b64 v[46:49], v30 offset0:128 offset1:160
	ds_read2_b64 v[54:57], v30 offset0:192 offset1:224
	ds_read2_b64 v[58:61], v31 offset1:32
	ds_read2_b64 v[62:65], v31 offset0:64 offset1:96
	ds_read2_b64 v[66:69], v31 offset0:128 offset1:160
	;; [unrolled: 1-line block ×3, first 2 shown]
	s_waitcnt lgkmcnt(0)
	s_barrier
	global_load_dwordx4 v[74:77], v[32:33], off
	global_load_dwordx4 v[78:81], v[32:33], off offset:512
	v_pk_fma_f16 v32, v50, v85, v82
	v_pk_fma_f16 v33, v51, v85, v83
	v_mul_u32_u24_sdwa v34, v34, s26 dst_sel:DWORD dst_unused:UNUSED_PAD src0_sel:WORD_1 src1_sel:DWORD
	v_pk_fma_f16 v36, v52, v85, v36
	v_pk_fma_f16 v50, v53, v85, v84
	;; [unrolled: 1-line block ×8, first 2 shown]
	v_mul_u32_u24_sdwa v48, v35, s26 dst_sel:DWORD dst_unused:UNUSED_PAD src0_sel:WORD_0 src1_sel:DWORD
	v_pk_fma_f16 v36, v56, v34, v36
	v_pk_fma_f16 v34, v57, v34, v50
	;; [unrolled: 1-line block ×6, first 2 shown]
	v_mul_u32_u24_sdwa v51, v35, s26 dst_sel:DWORD dst_unused:UNUSED_PAD src0_sel:WORD_1 src1_sel:DWORD
	v_pk_fma_f16 v37, v58, v48, v37
	v_pk_fma_f16 v45, v59, v48, v45
	;; [unrolled: 1-line block ×8, first 2 shown]
	s_waitcnt vmcnt(1)
	ds_write_b128 v25, v[74:77]
	s_waitcnt vmcnt(0)
	ds_write_b128 v26, v[78:81]
	s_waitcnt lgkmcnt(0)
	s_barrier
	ds_read_b128 v[32:35], v23 offset:96
	ds_read2_b64 v[46:49], v18 offset1:32
	v_pk_fma_f16 v37, v66, v51, v37
	v_pk_fma_f16 v45, v67, v51, v45
	;; [unrolled: 1-line block ×4, first 2 shown]
	ds_read2_b64 v[50:53], v18 offset0:64 offset1:96
	s_waitcnt lgkmcnt(2)
	v_mul_u32_u24_sdwa v59, v32, s26 dst_sel:DWORD dst_unused:UNUSED_PAD src0_sel:WORD_0 src1_sel:DWORD
	s_waitcnt lgkmcnt(1)
	v_pk_fma_f16 v37, v46, v59, v37
	v_pk_fma_f16 v45, v47, v59, v45
	;; [unrolled: 1-line block ×4, first 2 shown]
	ds_read2_b64 v[46:49], v18 offset0:128 offset1:160
	s_waitcnt lgkmcnt(1)
	v_pk_fma_f16 v56, v50, v59, v56
	v_pk_fma_f16 v57, v51, v59, v57
	;; [unrolled: 1-line block ×4, first 2 shown]
	ds_read2_b64 v[50:53], v18 offset0:192 offset1:224
	v_mul_u32_u24_sdwa v32, v32, s26 dst_sel:DWORD dst_unused:UNUSED_PAD src0_sel:WORD_1 src1_sel:DWORD
	s_waitcnt lgkmcnt(1)
	v_pk_fma_f16 v37, v46, v32, v37
	v_pk_fma_f16 v45, v47, v32, v45
	;; [unrolled: 1-line block ×4, first 2 shown]
	ds_read2_b64 v[46:49], v38 offset1:32
	s_waitcnt lgkmcnt(1)
	v_pk_fma_f16 v56, v50, v32, v56
	v_pk_fma_f16 v57, v51, v32, v57
	v_pk_fma_f16 v36, v52, v32, v36
	v_pk_fma_f16 v32, v53, v32, v58
	ds_read2_b64 v[50:53], v38 offset0:64 offset1:96
	v_mul_u32_u24_sdwa v58, v33, s26 dst_sel:DWORD dst_unused:UNUSED_PAD src0_sel:WORD_0 src1_sel:DWORD
	s_waitcnt lgkmcnt(1)
	v_pk_fma_f16 v37, v46, v58, v37
	v_pk_fma_f16 v45, v47, v58, v45
	;; [unrolled: 1-line block ×4, first 2 shown]
	ds_read2_b64 v[46:49], v38 offset0:128 offset1:160
	s_waitcnt lgkmcnt(1)
	v_pk_fma_f16 v56, v50, v58, v56
	v_pk_fma_f16 v57, v51, v58, v57
	;; [unrolled: 1-line block ×4, first 2 shown]
	ds_read2_b64 v[50:53], v38 offset0:192 offset1:224
	v_mul_u32_u24_sdwa v33, v33, s26 dst_sel:DWORD dst_unused:UNUSED_PAD src0_sel:WORD_1 src1_sel:DWORD
	s_waitcnt lgkmcnt(1)
	v_pk_fma_f16 v37, v46, v33, v37
	v_pk_fma_f16 v45, v47, v33, v45
	v_pk_fma_f16 v54, v48, v33, v54
	v_pk_fma_f16 v55, v49, v33, v55
	ds_read2_b64 v[46:49], v30 offset1:32
	s_or_b32 s6, s2, 56
	s_mul_hi_i32 s7, s6, s11
	s_mul_i32 s6, s6, s11
	s_waitcnt lgkmcnt(1)
	v_pk_fma_f16 v82, v50, v33, v56
	v_pk_fma_f16 v83, v51, v33, v57
	;; [unrolled: 1-line block ×4, first 2 shown]
	v_mul_u32_u24_sdwa v85, v34, s26 dst_sel:DWORD dst_unused:UNUSED_PAD src0_sel:WORD_0 src1_sel:DWORD
	v_lshl_add_u64 v[32:33], s[6:7], 2, v[10:11]
	ds_read2_b64 v[50:53], v30 offset0:64 offset1:96
	s_waitcnt lgkmcnt(1)
	v_pk_fma_f16 v37, v46, v85, v37
	v_pk_fma_f16 v45, v47, v85, v45
	;; [unrolled: 1-line block ×4, first 2 shown]
	ds_read2_b64 v[46:49], v30 offset0:128 offset1:160
	ds_read2_b64 v[54:57], v30 offset0:192 offset1:224
	ds_read2_b64 v[58:61], v31 offset1:32
	ds_read2_b64 v[62:65], v31 offset0:64 offset1:96
	ds_read2_b64 v[66:69], v31 offset0:128 offset1:160
	;; [unrolled: 1-line block ×3, first 2 shown]
	s_waitcnt lgkmcnt(0)
	s_barrier
	global_load_dwordx4 v[74:77], v[32:33], off
	global_load_dwordx4 v[78:81], v[32:33], off offset:512
	v_pk_fma_f16 v32, v50, v85, v82
	v_pk_fma_f16 v33, v51, v85, v83
	v_pk_fma_f16 v36, v52, v85, v36
	v_pk_fma_f16 v50, v53, v85, v84
	v_mul_u32_u24_sdwa v34, v34, s26 dst_sel:DWORD dst_unused:UNUSED_PAD src0_sel:WORD_1 src1_sel:DWORD
	v_add_f32_e32 v42, v42, v43
	v_pk_fma_f16 v37, v46, v34, v37
	v_pk_fma_f16 v45, v47, v34, v45
	;; [unrolled: 1-line block ×8, first 2 shown]
	v_fmac_f32_e32 v42, v29, v44
	v_mul_u32_u24_sdwa v29, v35, s26 dst_sel:DWORD dst_unused:UNUSED_PAD src0_sel:WORD_0 src1_sel:DWORD
	v_pk_fma_f16 v37, v58, v29, v37
	v_pk_fma_f16 v43, v59, v29, v45
	;; [unrolled: 1-line block ×8, first 2 shown]
	v_mul_u32_u24_sdwa v48, v35, s26 dst_sel:DWORD dst_unused:UNUSED_PAD src0_sel:WORD_1 src1_sel:DWORD
	v_pk_fma_f16 v37, v66, v48, v37
	v_pk_fma_f16 v43, v67, v48, v43
	;; [unrolled: 1-line block ×6, first 2 shown]
	s_waitcnt vmcnt(1)
	ds_write_b128 v25, v[74:77]
	s_waitcnt vmcnt(0)
	ds_write_b128 v26, v[78:81]
	s_waitcnt lgkmcnt(0)
	s_barrier
	ds_read_b128 v[32:35], v23 offset:112
	ds_read2_b64 v[44:47], v18 offset1:32
	v_pk_fma_f16 v36, v72, v48, v36
	v_pk_fma_f16 v29, v73, v48, v29
	ds_read2_b64 v[48:51], v18 offset0:64 offset1:96
	s_waitcnt lgkmcnt(2)
	v_mul_u32_u24_sdwa v56, v32, s26 dst_sel:DWORD dst_unused:UNUSED_PAD src0_sel:WORD_0 src1_sel:DWORD
	s_waitcnt lgkmcnt(1)
	v_pk_fma_f16 v37, v44, v56, v37
	v_pk_fma_f16 v43, v45, v56, v43
	v_pk_fma_f16 v52, v46, v56, v52
	v_pk_fma_f16 v53, v47, v56, v53
	s_waitcnt lgkmcnt(0)
	v_pk_fma_f16 v54, v48, v56, v54
	v_pk_fma_f16 v55, v49, v56, v55
	ds_read2_b64 v[44:47], v18 offset0:128 offset1:160
	v_pk_fma_f16 v36, v50, v56, v36
	v_pk_fma_f16 v29, v51, v56, v29
	ds_read2_b64 v[48:51], v18 offset0:192 offset1:224
	v_mul_u32_u24_sdwa v32, v32, s26 dst_sel:DWORD dst_unused:UNUSED_PAD src0_sel:WORD_1 src1_sel:DWORD
	s_waitcnt lgkmcnt(1)
	v_pk_fma_f16 v37, v44, v32, v37
	v_pk_fma_f16 v43, v45, v32, v43
	v_pk_fma_f16 v52, v46, v32, v52
	v_pk_fma_f16 v53, v47, v32, v53
	s_waitcnt lgkmcnt(0)
	v_pk_fma_f16 v54, v48, v32, v54
	v_pk_fma_f16 v55, v49, v32, v55
	ds_read2_b64 v[44:47], v38 offset1:32
	v_pk_fma_f16 v36, v50, v32, v36
	v_pk_fma_f16 v29, v51, v32, v29
	ds_read2_b64 v[48:51], v38 offset0:64 offset1:96
	v_mul_u32_u24_sdwa v32, v33, s26 dst_sel:DWORD dst_unused:UNUSED_PAD src0_sel:WORD_0 src1_sel:DWORD
	s_waitcnt lgkmcnt(1)
	v_pk_fma_f16 v37, v44, v32, v37
	v_pk_fma_f16 v43, v45, v32, v43
	v_pk_fma_f16 v52, v46, v32, v52
	v_pk_fma_f16 v53, v47, v32, v53
	s_waitcnt lgkmcnt(0)
	v_pk_fma_f16 v54, v48, v32, v54
	v_pk_fma_f16 v55, v49, v32, v55
	ds_read2_b64 v[44:47], v38 offset0:128 offset1:160
	v_pk_fma_f16 v36, v50, v32, v36
	v_pk_fma_f16 v29, v51, v32, v29
	ds_read2_b64 v[48:51], v38 offset0:192 offset1:224
	v_mul_u32_u24_sdwa v32, v33, s26 dst_sel:DWORD dst_unused:UNUSED_PAD src0_sel:WORD_1 src1_sel:DWORD
	s_waitcnt lgkmcnt(1)
	v_pk_fma_f16 v33, v44, v32, v37
	v_pk_fma_f16 v37, v45, v32, v43
	v_pk_fma_f16 v38, v46, v32, v52
	v_pk_fma_f16 v43, v47, v32, v53
	s_waitcnt lgkmcnt(0)
	v_pk_fma_f16 v52, v48, v32, v54
	v_pk_fma_f16 v53, v49, v32, v55
	ds_read2_b64 v[44:47], v30 offset1:32
	v_pk_fma_f16 v36, v50, v32, v36
	v_pk_fma_f16 v29, v51, v32, v29
	ds_read2_b64 v[48:51], v30 offset0:64 offset1:96
	;; [unrolled: 26-line block ×3, first 2 shown]
	v_mul_u32_u24_sdwa v30, v35, s26 dst_sel:DWORD dst_unused:UNUSED_PAD src0_sel:WORD_0 src1_sel:DWORD
	s_waitcnt lgkmcnt(1)
	v_pk_fma_f16 v32, v44, v30, v32
	v_pk_fma_f16 v33, v45, v30, v33
	;; [unrolled: 1-line block ×4, first 2 shown]
	s_waitcnt lgkmcnt(0)
	v_pk_fma_f16 v38, v48, v30, v38
	v_pk_fma_f16 v43, v49, v30, v43
	ds_read2_b64 v[44:47], v31 offset0:128 offset1:160
	v_pk_fma_f16 v53, v50, v30, v36
	v_pk_fma_f16 v29, v51, v30, v29
	ds_read2_b64 v[48:51], v31 offset0:192 offset1:224
	s_waitcnt lgkmcnt(0)
	s_barrier
	s_load_dword s6, s[4:5], 0x4
	v_mul_u32_u24_sdwa v30, v35, s26 dst_sel:DWORD dst_unused:UNUSED_PAD src0_sel:WORD_1 src1_sel:DWORD
	v_pk_fma_f16 v35, v44, v30, v32
	v_pk_fma_f16 v34, v45, v30, v33
	;; [unrolled: 1-line block ×3, first 2 shown]
	s_waitcnt lgkmcnt(0)
	s_lshl_b32 s6, s6, 6
	s_add_i32 s2, s6, s2
	v_pk_fma_f16 v37, v47, v30, v37
	v_pk_fma_f16 v33, v48, v30, v38
	;; [unrolled: 1-line block ×4, first 2 shown]
	s_cmp_ge_i32 s2, s28
	v_pk_fma_f16 v30, v51, v30, v29
	s_cbranch_scc1 .LBB31_7
; %bb.21:                               ;   in Loop: Header=BB31_12 Depth=1
	v_mov_b32_e32 v38, v12
	v_mov_b32_e32 v29, v42
	s_branch .LBB31_12
.LBB31_22:
	v_mov_b32_e32 v1, v13
	v_cmp_gt_i32_e32 vcc, s22, v16
	s_and_saveexec_b64 s[4:5], vcc
	s_cbranch_execz .LBB31_9
.LBB31_23:
	s_load_dword s2, s[0:1], 0xd4
	v_div_scale_f32 v0, s[0:1], v1, v1, 1.0
	v_rcp_f32_e32 v4, v0
	s_mul_i32 s33, s33, s22
	s_waitcnt lgkmcnt(0)
	s_cmp_lg_u32 s2, 1
	s_cselect_b64 s[0:1], -1, 0
	v_fma_f32 v5, -v0, v4, 1.0
	v_fmac_f32_e32 v4, v5, v4
	v_div_scale_f32 v5, vcc, 1.0, v1, 1.0
	v_mul_f32_e32 v6, v5, v4
	v_fma_f32 v7, -v0, v6, v5
	v_fmac_f32_e32 v6, v7, v4
	v_fma_f32 v0, -v0, v6, v5
	v_div_fmas_f32 v0, v0, v4, v6
	v_div_fixup_f32 v0, v0, v1, 1.0
	v_cndmask_b32_e64 v6, v0, 1.0, s[0:1]
	v_add_u32_e32 v0, s33, v16
	v_mul_lo_u32 v0, v0, s23
	v_add3_u32 v0, s29, v3, v0
	v_cmp_eq_u32_e32 vcc, 0, v2
	v_cvt_f32_f16_sdwa v3, v35 dst_sel:DWORD dst_unused:UNUSED_PAD src0_sel:WORD_1
	v_cvt_f32_f16_e32 v2, v35
	v_cvt_f32_f16_sdwa v5, v34 dst_sel:DWORD dst_unused:UNUSED_PAD src0_sel:WORD_1
	v_cvt_f32_f16_e32 v4, v34
	v_mul_lo_u32 v0, s2, v0
	v_add_u32_e32 v0, s3, v0
	v_lshl_add_u32 v8, v0, 9, v17
	v_mov_b32_e32 v9, 0
	v_lshl_add_u64 v[10:11], v[8:9], 2, s[16:17]
	v_pk_mul_f32 v[2:3], v[6:7], v[2:3] op_sel_hi:[0,1]
	v_pk_mul_f32 v[4:5], v[6:7], v[4:5] op_sel_hi:[0,1]
	global_store_dwordx4 v[10:11], v[2:5], off
	v_cvt_f32_f16_sdwa v11, v37 dst_sel:DWORD dst_unused:UNUSED_PAD src0_sel:WORD_1
	v_cvt_f32_f16_e32 v10, v37
	v_cvt_f32_f16_sdwa v5, v36 dst_sel:DWORD dst_unused:UNUSED_PAD src0_sel:WORD_1
	v_cvt_f32_f16_e32 v4, v36
	v_add_u32_e32 v2, 0x80, v8
	v_mov_b32_e32 v3, v9
	v_lshl_add_u64 v[14:15], v[2:3], 2, s[16:17]
	v_pk_mul_f32 v[2:3], v[6:7], v[4:5] op_sel_hi:[0,1]
	v_pk_mul_f32 v[4:5], v[6:7], v[10:11] op_sel_hi:[0,1]
	global_store_dwordx4 v[14:15], v[2:5], off
	v_cvt_f32_f16_sdwa v11, v32 dst_sel:DWORD dst_unused:UNUSED_PAD src0_sel:WORD_1
	v_cvt_f32_f16_e32 v10, v32
	v_cvt_f32_f16_sdwa v5, v33 dst_sel:DWORD dst_unused:UNUSED_PAD src0_sel:WORD_1
	v_cvt_f32_f16_e32 v4, v33
	v_add_u32_e32 v2, 0x100, v8
	v_mov_b32_e32 v3, v9
	v_lshl_add_u64 v[14:15], v[2:3], 2, s[16:17]
	v_pk_mul_f32 v[2:3], v[6:7], v[4:5] op_sel_hi:[0,1]
	v_pk_mul_f32 v[4:5], v[6:7], v[10:11] op_sel_hi:[0,1]
	global_store_dwordx4 v[14:15], v[2:5], off
	v_add_u32_e32 v8, 0x180, v8
	s_and_b64 s[0:1], vcc, s[0:1]
	v_cvt_f32_f16_sdwa v3, v31 dst_sel:DWORD dst_unused:UNUSED_PAD src0_sel:WORD_1
	v_cvt_f32_f16_e32 v2, v31
	v_cvt_f32_f16_sdwa v5, v30 dst_sel:DWORD dst_unused:UNUSED_PAD src0_sel:WORD_1
	v_cvt_f32_f16_e32 v4, v30
	v_lshl_add_u64 v[8:9], v[8:9], 2, s[16:17]
	v_pk_mul_f32 v[2:3], v[6:7], v[2:3] op_sel_hi:[0,1]
	v_pk_mul_f32 v[4:5], v[6:7], v[4:5] op_sel_hi:[0,1]
	global_store_dwordx4 v[8:9], v[2:5], off
	s_and_b64 exec, exec, s[0:1]
	s_cbranch_execz .LBB31_9
; %bb.24:
	v_mov_b32_e32 v2, s18
	v_mov_b32_e32 v3, s19
	v_ashrrev_i32_e32 v1, 31, v0
	v_lshl_add_u64 v[0:1], v[0:1], 3, v[2:3]
	global_store_dwordx2 v[0:1], v[12:13], off
	s_endpgm
	.section	.rodata,"a",@progbits
	.p2align	6, 0x0
	.amdhsa_kernel _ZL15flash_attn_tileILi512ELi512ELi2ELi4ELb1EEvPKcS1_S1_S1_S1_PKiPfP15HIP_vector_typeIfLj2EEffffjfiS5_IjLj3EEiiiiiiiiiiiliiliiiiil
		.amdhsa_group_segment_fixed_size 18432
		.amdhsa_private_segment_fixed_size 0
		.amdhsa_kernarg_size 464
		.amdhsa_user_sgpr_count 2
		.amdhsa_user_sgpr_dispatch_ptr 0
		.amdhsa_user_sgpr_queue_ptr 0
		.amdhsa_user_sgpr_kernarg_segment_ptr 1
		.amdhsa_user_sgpr_dispatch_id 0
		.amdhsa_user_sgpr_kernarg_preload_length 0
		.amdhsa_user_sgpr_kernarg_preload_offset 0
		.amdhsa_user_sgpr_private_segment_size 0
		.amdhsa_uses_dynamic_stack 0
		.amdhsa_enable_private_segment 0
		.amdhsa_system_sgpr_workgroup_id_x 1
		.amdhsa_system_sgpr_workgroup_id_y 1
		.amdhsa_system_sgpr_workgroup_id_z 1
		.amdhsa_system_sgpr_workgroup_info 0
		.amdhsa_system_vgpr_workitem_id 1
		.amdhsa_next_free_vgpr 93
		.amdhsa_next_free_sgpr 40
		.amdhsa_accum_offset 96
		.amdhsa_reserve_vcc 1
		.amdhsa_float_round_mode_32 0
		.amdhsa_float_round_mode_16_64 0
		.amdhsa_float_denorm_mode_32 3
		.amdhsa_float_denorm_mode_16_64 3
		.amdhsa_dx10_clamp 1
		.amdhsa_ieee_mode 1
		.amdhsa_fp16_overflow 0
		.amdhsa_tg_split 0
		.amdhsa_exception_fp_ieee_invalid_op 0
		.amdhsa_exception_fp_denorm_src 0
		.amdhsa_exception_fp_ieee_div_zero 0
		.amdhsa_exception_fp_ieee_overflow 0
		.amdhsa_exception_fp_ieee_underflow 0
		.amdhsa_exception_fp_ieee_inexact 0
		.amdhsa_exception_int_div_zero 0
	.end_amdhsa_kernel
	.section	.text._ZL15flash_attn_tileILi512ELi512ELi2ELi4ELb1EEvPKcS1_S1_S1_S1_PKiPfP15HIP_vector_typeIfLj2EEffffjfiS5_IjLj3EEiiiiiiiiiiiliiliiiiil,"axG",@progbits,_ZL15flash_attn_tileILi512ELi512ELi2ELi4ELb1EEvPKcS1_S1_S1_S1_PKiPfP15HIP_vector_typeIfLj2EEffffjfiS5_IjLj3EEiiiiiiiiiiiliiliiiiil,comdat
.Lfunc_end31:
	.size	_ZL15flash_attn_tileILi512ELi512ELi2ELi4ELb1EEvPKcS1_S1_S1_S1_PKiPfP15HIP_vector_typeIfLj2EEffffjfiS5_IjLj3EEiiiiiiiiiiiliiliiiiil, .Lfunc_end31-_ZL15flash_attn_tileILi512ELi512ELi2ELi4ELb1EEvPKcS1_S1_S1_S1_PKiPfP15HIP_vector_typeIfLj2EEffffjfiS5_IjLj3EEiiiiiiiiiiiliiliiiiil
                                        ; -- End function
	.set _ZL15flash_attn_tileILi512ELi512ELi2ELi4ELb1EEvPKcS1_S1_S1_S1_PKiPfP15HIP_vector_typeIfLj2EEffffjfiS5_IjLj3EEiiiiiiiiiiiliiliiiiil.num_vgpr, 93
	.set _ZL15flash_attn_tileILi512ELi512ELi2ELi4ELb1EEvPKcS1_S1_S1_S1_PKiPfP15HIP_vector_typeIfLj2EEffffjfiS5_IjLj3EEiiiiiiiiiiiliiliiiiil.num_agpr, 0
	.set _ZL15flash_attn_tileILi512ELi512ELi2ELi4ELb1EEvPKcS1_S1_S1_S1_PKiPfP15HIP_vector_typeIfLj2EEffffjfiS5_IjLj3EEiiiiiiiiiiiliiliiiiil.numbered_sgpr, 40
	.set _ZL15flash_attn_tileILi512ELi512ELi2ELi4ELb1EEvPKcS1_S1_S1_S1_PKiPfP15HIP_vector_typeIfLj2EEffffjfiS5_IjLj3EEiiiiiiiiiiiliiliiiiil.num_named_barrier, 0
	.set _ZL15flash_attn_tileILi512ELi512ELi2ELi4ELb1EEvPKcS1_S1_S1_S1_PKiPfP15HIP_vector_typeIfLj2EEffffjfiS5_IjLj3EEiiiiiiiiiiiliiliiiiil.private_seg_size, 0
	.set _ZL15flash_attn_tileILi512ELi512ELi2ELi4ELb1EEvPKcS1_S1_S1_S1_PKiPfP15HIP_vector_typeIfLj2EEffffjfiS5_IjLj3EEiiiiiiiiiiiliiliiiiil.uses_vcc, 1
	.set _ZL15flash_attn_tileILi512ELi512ELi2ELi4ELb1EEvPKcS1_S1_S1_S1_PKiPfP15HIP_vector_typeIfLj2EEffffjfiS5_IjLj3EEiiiiiiiiiiiliiliiiiil.uses_flat_scratch, 0
	.set _ZL15flash_attn_tileILi512ELi512ELi2ELi4ELb1EEvPKcS1_S1_S1_S1_PKiPfP15HIP_vector_typeIfLj2EEffffjfiS5_IjLj3EEiiiiiiiiiiiliiliiiiil.has_dyn_sized_stack, 0
	.set _ZL15flash_attn_tileILi512ELi512ELi2ELi4ELb1EEvPKcS1_S1_S1_S1_PKiPfP15HIP_vector_typeIfLj2EEffffjfiS5_IjLj3EEiiiiiiiiiiiliiliiiiil.has_recursion, 0
	.set _ZL15flash_attn_tileILi512ELi512ELi2ELi4ELb1EEvPKcS1_S1_S1_S1_PKiPfP15HIP_vector_typeIfLj2EEffffjfiS5_IjLj3EEiiiiiiiiiiiliiliiiiil.has_indirect_call, 0
	.section	.AMDGPU.csdata,"",@progbits
; Kernel info:
; codeLenInByte = 22668
; TotalNumSgprs: 46
; NumVgprs: 93
; NumAgprs: 0
; TotalNumVgprs: 93
; ScratchSize: 0
; MemoryBound: 0
; FloatMode: 240
; IeeeMode: 1
; LDSByteSize: 18432 bytes/workgroup (compile time only)
; SGPRBlocks: 5
; VGPRBlocks: 11
; NumSGPRsForWavesPerEU: 46
; NumVGPRsForWavesPerEU: 93
; AccumOffset: 96
; Occupancy: 5
; WaveLimiterHint : 1
; COMPUTE_PGM_RSRC2:SCRATCH_EN: 0
; COMPUTE_PGM_RSRC2:USER_SGPR: 2
; COMPUTE_PGM_RSRC2:TRAP_HANDLER: 0
; COMPUTE_PGM_RSRC2:TGID_X_EN: 1
; COMPUTE_PGM_RSRC2:TGID_Y_EN: 1
; COMPUTE_PGM_RSRC2:TGID_Z_EN: 1
; COMPUTE_PGM_RSRC2:TIDIG_COMP_CNT: 1
; COMPUTE_PGM_RSRC3_GFX90A:ACCUM_OFFSET: 23
; COMPUTE_PGM_RSRC3_GFX90A:TG_SPLIT: 0
	.section	.text._ZL15flash_attn_tileILi512ELi512ELi1ELi4ELb1EEvPKcS1_S1_S1_S1_PKiPfP15HIP_vector_typeIfLj2EEffffjfiS5_IjLj3EEiiiiiiiiiiiliiliiiiil,"axG",@progbits,_ZL15flash_attn_tileILi512ELi512ELi1ELi4ELb1EEvPKcS1_S1_S1_S1_PKiPfP15HIP_vector_typeIfLj2EEffffjfiS5_IjLj3EEiiiiiiiiiiiliiliiiiil,comdat
	.globl	_ZL15flash_attn_tileILi512ELi512ELi1ELi4ELb1EEvPKcS1_S1_S1_S1_PKiPfP15HIP_vector_typeIfLj2EEffffjfiS5_IjLj3EEiiiiiiiiiiiliiliiiiil ; -- Begin function _ZL15flash_attn_tileILi512ELi512ELi1ELi4ELb1EEvPKcS1_S1_S1_S1_PKiPfP15HIP_vector_typeIfLj2EEffffjfiS5_IjLj3EEiiiiiiiiiiiliiliiiiil
	.p2align	8
	.type	_ZL15flash_attn_tileILi512ELi512ELi1ELi4ELb1EEvPKcS1_S1_S1_S1_PKiPfP15HIP_vector_typeIfLj2EEffffjfiS5_IjLj3EEiiiiiiiiiiiliiliiiiil,@function
_ZL15flash_attn_tileILi512ELi512ELi1ELi4ELb1EEvPKcS1_S1_S1_S1_PKiPfP15HIP_vector_typeIfLj2EEffffjfiS5_IjLj3EEiiiiiiiiiiiliiliiiiil: ; @_ZL15flash_attn_tileILi512ELi512ELi1ELi4ELb1EEvPKcS1_S1_S1_S1_PKiPfP15HIP_vector_typeIfLj2EEffffjfiS5_IjLj3EEiiiiiiiiiiiliiliiiiil
; %bb.0:
	s_load_dwordx4 s[20:23], s[0:1], 0x5c
	s_load_dwordx2 s[28:29], s[0:1], 0x80
	s_load_dwordx2 s[34:35], s[0:1], 0xb8
	s_mov_b64 s[30:31], 0
	s_waitcnt lgkmcnt(0)
	s_ashr_i32 s5, s23, 31
	s_lshr_b32 s5, s5, 30
	s_add_i32 s5, s23, s5
	s_ashr_i32 s5, s5, 2
	v_cvt_f32_u32_e32 v1, s5
	s_sub_i32 s6, 0, s5
	v_rcp_iflag_f32_e32 v1, v1
	s_nop 0
	v_mul_f32_e32 v1, 0x4f7ffffe, v1
	v_cvt_u32_f32_e32 v1, v1
	s_nop 0
	v_readfirstlane_b32 s7, v1
	s_mul_i32 s6, s6, s7
	s_mul_hi_u32 s6, s7, s6
	s_add_i32 s7, s7, s6
	s_mul_hi_u32 s6, s4, s7
	s_mul_i32 s7, s6, s5
	s_sub_i32 s7, s4, s7
	s_add_i32 s8, s6, 1
	s_sub_i32 s9, s7, s5
	s_cmp_ge_u32 s7, s5
	s_cselect_b32 s6, s8, s6
	s_cselect_b32 s7, s9, s7
	s_add_i32 s8, s6, 1
	s_cmp_ge_u32 s7, s5
	s_cselect_b32 s33, s8, s6
	s_abs_i32 s5, s29
	v_cvt_f32_u32_e32 v1, s5
	s_lshl_b32 s4, s4, 2
	s_mul_i32 s8, s33, s23
	s_xor_b32 s6, s23, s29
	v_rcp_iflag_f32_e32 v1, v1
	s_sub_i32 s9, 0, s5
	s_sub_i32 s29, s4, s8
	s_abs_i32 s7, s23
	v_mul_f32_e32 v1, 0x4f7ffffe, v1
	v_cvt_u32_f32_e32 v1, v1
	s_ashr_i32 s6, s6, 31
	v_readfirstlane_b32 s4, v1
	s_mul_i32 s9, s9, s4
	s_mul_hi_u32 s8, s4, s9
	s_add_i32 s4, s4, s8
	s_mul_hi_u32 s4, s7, s4
	s_mul_i32 s8, s4, s5
	s_sub_i32 s7, s7, s8
	s_add_i32 s9, s4, 1
	s_sub_i32 s8, s7, s5
	s_cmp_ge_u32 s7, s5
	s_cselect_b32 s4, s9, s4
	s_cselect_b32 s7, s8, s7
	s_add_i32 s8, s4, 1
	s_cmp_ge_u32 s7, s5
	s_cselect_b32 s4, s8, s4
	s_xor_b32 s4, s4, s6
	s_sub_i32 s37, s4, s6
	s_abs_i32 s36, s37
	v_cvt_f32_u32_e32 v1, s36
	s_load_dwordx16 s[4:19], s[0:1], 0x0
	v_rcp_iflag_f32_e32 v1, v1
	s_waitcnt lgkmcnt(0)
	s_cmp_eq_u64 s[10:11], 0
	v_mul_f32_e32 v1, 0x4f7ffffe, v1
	v_cvt_u32_f32_e32 v1, v1
	s_nop 0
	v_readfirstlane_b32 s38, v1
	s_cbranch_scc1 .LBB32_2
; %bb.1:
	s_abs_i32 s26, s34
	v_cvt_f32_u32_e32 v1, s26
	s_sub_i32 s31, 0, s26
	s_abs_i32 s30, s33
	s_ashr_i32 s27, s33, 31
	v_rcp_iflag_f32_e32 v1, v1
	s_load_dwordx2 s[24:25], s[0:1], 0xc8
	v_mul_f32_e32 v1, 0x4f7ffffe, v1
	v_cvt_u32_f32_e32 v1, v1
	s_nop 0
	v_readfirstlane_b32 s34, v1
	s_mul_i32 s31, s31, s34
	s_mul_hi_u32 s31, s34, s31
	s_add_i32 s34, s34, s31
	s_mul_hi_u32 s31, s30, s34
	s_mul_i32 s31, s31, s26
	s_sub_i32 s30, s30, s31
	s_sub_i32 s31, s30, s26
	s_cmp_ge_u32 s30, s26
	s_cselect_b32 s30, s31, s30
	s_sub_i32 s31, s30, s26
	s_cmp_ge_u32 s30, s26
	s_cselect_b32 s26, s31, s30
	s_xor_b32 s26, s26, s27
	s_sub_i32 s26, s26, s27
	s_ashr_i32 s27, s26, 31
	s_waitcnt lgkmcnt(0)
	s_mul_hi_u32 s30, s24, s26
	s_mul_i32 s27, s24, s27
	s_mul_i32 s25, s25, s26
	s_add_i32 s27, s30, s27
	s_add_i32 s27, s27, s25
	s_mul_i32 s24, s24, s26
	s_add_u32 s30, s10, s24
	s_addc_u32 s31, s11, s27
.LBB32_2:
	s_load_dwordx4 s[24:27], s[0:1], 0x70
	v_bfe_u32 v28, v0, 10, 2
	v_lshrrev_b32_e32 v1, 10, v0
	v_bfe_u32 v1, v1, 2, 8
	s_waitcnt lgkmcnt(0)
	s_mul_i32 s10, s33, s26
	s_ashr_i32 s26, s10, 31
	s_mul_i32 s11, s29, s25
	s_add_u32 s4, s4, s10
	s_addc_u32 s5, s5, s26
	s_ashr_i32 s10, s11, 31
	s_add_u32 s4, s4, s11
	s_addc_u32 s5, s5, s10
	s_ashr_i32 s11, s25, 31
	s_mov_b32 s10, s25
	s_lshr_b64 s[26:27], s[10:11], 2
	s_lshr_b32 s25, s11, 2
	v_mad_u64_u32 v[4:5], s[10:11], s26, v28, 0
	v_mov_b32_e32 v2, v5
	v_mad_u64_u32 v[2:3], s[10:11], s25, v28, v[2:3]
	v_add_u32_e32 v3, s2, v1
	v_mul_hi_u32 v1, s20, v3
	v_add_u32_e32 v1, v3, v1
	v_lshrrev_b32_e32 v1, s21, v1
	v_mul_lo_u32 v1, v1, s22
	s_ashr_i32 s25, s24, 31
	v_sub_u32_e32 v12, v3, v1
	s_lshr_b64 s[10:11], s[24:25], 2
	v_mad_u64_u32 v[6:7], s[10:11], s10, v12, 0
	v_mov_b32_e32 v5, v2
	v_mov_b32_e32 v2, v7
	s_lshr_b32 s10, s25, 2
	v_mad_u64_u32 v[8:9], s[10:11], s10, v12, v[2:3]
	v_mov_b32_e32 v7, v8
	v_and_b32_e32 v2, 0x3ff, v0
	v_lshl_add_u64 v[4:5], v[4:5], 2, s[4:5]
	v_mov_b32_e32 v9, 0
	v_lshl_add_u64 v[4:5], v[6:7], 2, v[4:5]
	v_lshlrev_b32_e32 v8, 4, v2
	v_lshl_add_u64 v[14:15], v[4:5], 0, v[8:9]
	global_load_dwordx4 v[4:7], v[14:15], off
	global_load_dwordx4 v[8:11], v[14:15], off offset:512
	global_load_dwordx4 v[16:19], v[14:15], off offset:1024
	;; [unrolled: 1-line block ×3, first 2 shown]
	s_load_dword s4, s[0:1], 0x40
	v_bfe_u32 v14, v0, 10, 10
	v_lshlrev_b32_e32 v15, 10, v14
	v_lshlrev_b32_e32 v30, 3, v2
	v_add_u32_e32 v31, 0x2400, v15
	v_add_u32_e32 v13, v31, v30
	s_cmp_eq_u64 s[14:15], 0
	s_waitcnt vmcnt(3) lgkmcnt(0)
	v_fma_mixlo_f16 v0, s4, v4, 0
	v_fma_mixlo_f16 v1, s4, v5, 0
	v_fma_mixlo_f16 v4, s4, v6, 0
	v_fma_mixlo_f16 v5, s4, v7, 0
	s_waitcnt vmcnt(2)
	v_fma_mixlo_f16 v6, s4, v8, 0
	v_fma_mixlo_f16 v7, s4, v9, 0
	v_fma_mixlo_f16 v8, s4, v10, 0
	v_fma_mixlo_f16 v9, s4, v11, 0
	s_waitcnt vmcnt(1)
	;; [unrolled: 5-line block ×3, first 2 shown]
	v_fma_mixlo_f16 v18, s4, v20, 0
	v_fma_mixlo_f16 v19, s4, v21, 0
	v_lshlrev_b32_e32 v1, 16, v1
	v_and_b32_e32 v0, 0xffff, v0
	v_lshlrev_b32_e32 v5, 16, v5
	v_and_b32_e32 v4, 0xffff, v4
	;; [unrolled: 2-line block ×3, first 2 shown]
	v_fma_mixlo_f16 v20, s4, v22, 0
	v_fma_mixlo_f16 v21, s4, v23, 0
	v_lshlrev_b32_e32 v9, 16, v9
	v_and_b32_e32 v8, 0xffff, v8
	v_lshlrev_b32_e32 v11, 16, v11
	v_and_b32_e32 v10, 0xffff, v10
	;; [unrolled: 2-line block ×3, first 2 shown]
	v_or_b32_e32 v0, v1, v0
	v_or3_b32 v1, v5, v4, 0
	v_or_b32_e32 v4, v7, v6
	v_lshlrev_b32_e32 v17, 16, v17
	v_and_b32_e32 v16, 0xffff, v16
	v_lshlrev_b32_e32 v21, 16, v21
	v_and_b32_e32 v20, 0xffff, v20
	v_or3_b32 v5, v9, v8, 0
	v_or_b32_e32 v6, v11, v10
	v_or_b32_e32 v8, v19, v18
	v_or3_b32 v0, 0, 0, v0
	v_or3_b32 v4, 0, 0, v4
	;; [unrolled: 1-line block ×6, first 2 shown]
	ds_write2_b64 v13, v[0:1], v[4:5] offset1:32
	ds_write2_b64 v13, v[6:7], v[8:9] offset0:64 offset1:96
	s_waitcnt lgkmcnt(0)
	s_barrier
	s_cbranch_scc1 .LBB32_4
; %bb.3:
	s_load_dword s4, s[0:1], 0xd0
	s_mov_b32 s5, 0
	s_waitcnt lgkmcnt(0)
	s_mul_i32 s4, s4, s33
	s_add_i32 s4, s4, s2
	s_lshl_b64 s[4:5], s[4:5], 2
	s_add_u32 s4, s14, s4
	s_addc_u32 s5, s15, s5
	s_load_dword s28, s[4:5], 0x0
.LBB32_4:
	s_lshl_b32 s2, s3, 6
	v_lshlrev_b32_e32 v29, 2, v2
	s_waitcnt lgkmcnt(0)
	s_cmp_lt_i32 s2, s28
	v_mbcnt_lo_u32_b32 v20, -1, 0
	s_cbranch_scc1 .LBB32_9
; %bb.5:
	v_mbcnt_hi_u32_b32 v13, -1, v20
	v_and_b32_e32 v0, 0x60, v13
	v_add_u32_e32 v24, 32, v0
	v_xor_b32_e32 v23, 16, v13
	v_xor_b32_e32 v22, 8, v13
	;; [unrolled: 1-line block ×5, first 2 shown]
	s_cbranch_execz .LBB32_10
; %bb.6:
	v_mov_b32_e32 v50, 0
	v_mov_b32_e32 v27, 0
	;; [unrolled: 1-line block ×10, first 2 shown]
.LBB32_7:
	v_cmp_lt_i32_e32 vcc, v23, v24
	s_cmp_lg_u64 s[12:13], 0
	s_cselect_b64 s[4:5], -1, 0
	v_cndmask_b32_e32 v0, v13, v23, vcc
	v_lshlrev_b32_e32 v0, 2, v0
	ds_bpermute_b32 v0, v0, v27
	v_cmp_lt_i32_e32 vcc, v22, v24
	s_cmp_eq_u32 s3, 0
	s_cselect_b64 s[6:7], -1, 0
	v_cndmask_b32_e32 v1, v13, v22, vcc
	v_lshlrev_b32_e32 v1, 2, v1
	s_waitcnt lgkmcnt(0)
	v_add_f32_e32 v0, v27, v0
	ds_bpermute_b32 v1, v1, v0
	v_cmp_lt_i32_e32 vcc, v21, v24
	s_and_b64 s[4:5], s[6:7], s[4:5]
	s_waitcnt lgkmcnt(0)
	v_add_f32_e32 v0, v0, v1
	v_cndmask_b32_e32 v4, v13, v21, vcc
	v_lshlrev_b32_e32 v4, 2, v4
	ds_bpermute_b32 v1, v4, v0
	v_cmp_lt_i32_e32 vcc, v25, v24
	s_waitcnt lgkmcnt(0)
	v_add_f32_e32 v1, v0, v1
	v_cndmask_b32_e32 v4, v13, v25, vcc
	v_lshlrev_b32_e32 v4, 2, v4
	ds_bpermute_b32 v4, v4, v1
	v_cmp_lt_i32_e32 vcc, v26, v24
	v_add_u32_e32 v0, s29, v28
	s_waitcnt lgkmcnt(0)
	v_add_f32_e32 v1, v1, v4
	v_cndmask_b32_e32 v5, v13, v26, vcc
	v_lshlrev_b32_e32 v5, 2, v5
	ds_bpermute_b32 v4, v5, v1
	s_and_b64 vcc, exec, s[4:5]
	s_waitcnt lgkmcnt(0)
	v_add_f32_e32 v21, v1, v4
	s_cbranch_vccz .LBB32_21
; %bb.8:
	v_ashrrev_i32_e32 v1, 31, v0
	v_lshl_add_u64 v[4:5], v[0:1], 2, s[12:13]
	global_load_dword v1, v[4:5], off
	v_max_f32_e32 v4, v20, v20
	s_mov_b32 s2, 0x3fb8aa3b
	s_mov_b32 s4, 0xc2ce8ed0
	s_waitcnt vmcnt(0)
	v_max_f32_e32 v5, v1, v1
	v_max_f32_e32 v4, v4, v5
	v_sub_f32_e32 v5, v20, v4
	v_sub_f32_e32 v1, v1, v4
	v_mul_f32_e32 v6, 0x3fb8aa3b, v5
	v_mul_f32_e32 v7, 0x3fb8aa3b, v1
	v_fma_f32 v8, v5, s2, -v6
	v_rndne_f32_e32 v9, v6
	v_fma_f32 v10, v1, s2, -v7
	v_rndne_f32_e32 v11, v7
	v_fmac_f32_e32 v8, 0x32a5705f, v5
	v_sub_f32_e32 v6, v6, v9
	v_fmac_f32_e32 v10, 0x32a5705f, v1
	v_sub_f32_e32 v7, v7, v11
	v_add_f32_e32 v6, v6, v8
	v_cvt_i32_f32_e32 v9, v9
	v_add_f32_e32 v7, v7, v10
	v_exp_f32_e32 v6, v6
	v_cvt_i32_f32_e32 v11, v11
	v_exp_f32_e32 v7, v7
	v_cmp_ngt_f32_e32 vcc, s4, v5
	v_ldexp_f32 v6, v6, v9
	s_mov_b32 s2, 0x42b17218
	v_ldexp_f32 v7, v7, v11
	v_cndmask_b32_e32 v6, 0, v6, vcc
	v_cmp_ngt_f32_e32 vcc, s4, v1
	v_mov_b32_e32 v8, 0x7f800000
	s_nop 0
	v_cndmask_b32_e32 v7, 0, v7, vcc
	v_cmp_nlt_f32_e32 vcc, s2, v5
	s_nop 1
	v_cndmask_b32_e32 v6, v8, v6, vcc
	v_cvt_f16_f32_e32 v9, v6
	v_cmp_nlt_f32_e32 vcc, s2, v1
	v_mul_u32_u24_e32 v1, 0x10001, v9
	s_nop 0
	v_cndmask_b32_e32 v5, v8, v7, vcc
	v_fmac_f32_e32 v5, v21, v6
	v_pk_mul_f16 v50, v50, v1
	v_pk_mul_f16 v49, v49, v1
	v_pk_mul_f16 v51, v51, v1
	v_pk_mul_f16 v52, v52, v1
	v_pk_mul_f16 v48, v48, v1
	v_pk_mul_f16 v47, v47, v1
	v_pk_mul_f16 v46, v46, v1
	v_pk_mul_f16 v45, v45, v1
	v_mov_b64_e32 v[20:21], v[4:5]
	s_branch .LBB32_22
.LBB32_9:
                                        ; implicit-def: $vgpr13
                                        ; implicit-def: $vgpr24
                                        ; implicit-def: $vgpr23
                                        ; implicit-def: $vgpr22
                                        ; implicit-def: $vgpr21
                                        ; implicit-def: $vgpr25
                                        ; implicit-def: $vgpr26
.LBB32_10:
	s_sub_i32 s4, 0, s36
	s_mul_i32 s4, s4, s38
	s_mul_hi_u32 s4, s38, s4
	s_add_i32 s38, s38, s4
	s_load_dwordx4 s[24:27], s[0:1], 0x98
	s_load_dword s10, s[0:1], 0x54
	s_load_dwordx2 s[4:5], s[0:1], 0x8c
	s_ashr_i32 s34, s37, 31
	s_abs_i32 s15, s29
	s_waitcnt lgkmcnt(0)
	s_mul_hi_u32 s37, s24, s33
	s_mul_i32 s25, s25, s33
	s_ashr_i32 s14, s4, 2
	s_ashr_i32 s4, s33, 31
	s_mul_i32 s40, s24, s4
	s_add_i32 s37, s37, s40
	s_mul_hi_u32 s20, s15, s38
	s_ashr_i32 s21, s29, 31
	s_ashr_i32 s11, s26, 2
	;; [unrolled: 1-line block ×3, first 2 shown]
	s_add_i32 s37, s37, s25
	s_mul_i32 s24, s24, s33
	s_add_u32 s6, s6, s24
	s_mul_i32 s24, s20, s36
	s_addc_u32 s7, s7, s37
	s_sub_i32 s15, s15, s24
	s_xor_b32 s21, s21, s34
	s_add_i32 s24, s20, 1
	s_sub_i32 s25, s15, s36
	s_cmp_ge_u32 s15, s36
	s_cselect_b32 s20, s24, s20
	s_cselect_b32 s15, s25, s15
	s_add_i32 s24, s20, 1
	s_cmp_ge_u32 s15, s36
	s_load_dwordx2 s[38:39], s[0:1], 0xa8
	s_cselect_b32 s15, s24, s20
	s_xor_b32 s15, s15, s21
	s_sub_i32 s21, s15, s21
	s_mul_i32 s5, s21, s5
	s_ashr_i32 s20, s5, 31
	s_add_u32 s15, s6, s5
	s_waitcnt lgkmcnt(0)
	s_mul_hi_u32 s5, s38, s33
	s_mul_i32 s4, s38, s4
	s_addc_u32 s20, s7, s20
	s_add_i32 s4, s5, s4
	s_mul_i32 s5, s39, s33
	s_add_i32 s4, s4, s5
	s_mul_i32 s5, s38, s33
	s_add_u32 s5, s8, s5
	s_mul_i32 s21, s21, s27
	s_addc_u32 s4, s9, s4
	s_ashr_i32 s6, s21, 31
	s_add_u32 s8, s5, s21
	v_lshrrev_b32_e32 v0, 3, v2
	v_and_b32_e32 v16, 28, v29
	s_addc_u32 s9, s4, s6
	v_lshl_add_u32 v0, v14, 2, v0
	v_lshlrev_b32_e32 v4, 2, v16
	s_movk_i32 s4, 0x90
	v_mad_u32_u24 v32, v0, s4, v4
	v_mul_lo_u32 v4, s14, v0
	s_lshl_b32 s4, s14, 4
	v_add_u32_e32 v6, s4, v4
	v_add_u32_e32 v8, s4, v6
	;; [unrolled: 1-line block ×3, first 2 shown]
	v_mad_u64_u32 v[12:13], s[4:5], v12, s35, v[2:3]
	v_mov_b32_e32 v0, 0x3400
	v_lshl_add_u32 v37, v14, 7, v0
	v_lshlrev_b32_e32 v0, 2, v29
	v_mul_lo_u32 v18, s11, v14
	s_and_b32 s4, s26, -4
	v_lshl_add_u32 v13, v14, 10, v0
	v_add_u32_e32 v22, s4, v18
	v_mov_b32_e32 v1, 0
	v_add_u32_e32 v39, v15, v0
	v_ashrrev_i32_e32 v19, 31, v18
	v_add_u32_e32 v41, 0x1000, v13
	v_ashrrev_i32_e32 v23, 31, v22
	v_add_u32_e32 v42, 0x1200, v13
	s_add_u32 s4, s0, 0xd0
                                        ; implicit-def: $vgpr13
                                        ; implicit-def: $vgpr13
	;; [unrolled: 1-line block ×3, first 2 shown]
	v_ashrrev_i32_e32 v5, 31, v4
	v_add_u32_e32 v33, 0x900, v32
	v_ashrrev_i32_e32 v7, 31, v6
	v_add_u32_e32 v34, 0x1200, v32
	;; [unrolled: 2-line block ×3, first 2 shown]
	v_ashrrev_i32_e32 v11, 31, v10
	v_mul_u32_u24_e32 v36, 0x90, v2
	v_lshl_add_u32 v38, v2, 1, v37
	v_add_u32_e32 v40, 0x200, v39
	s_addc_u32 s5, s1, 0
	v_mov_b32_e32 v54, 0xfeffffff
	v_lshlrev_b32_e32 v14, 2, v16
	v_mov_b32_e32 v15, v1
	s_mov_b32 s21, 0x3f200000
	s_mov_b32 s24, 0x3fb8aa3b
	;; [unrolled: 1-line block ×4, first 2 shown]
	v_mov_b32_e32 v43, 0x3ca908c9
	s_brev_b32 s27, -2
	s_mov_b32 s34, 0x10001
	v_lshlrev_b64 v[16:17], 2, v[18:19]
	v_lshlrev_b64 v[18:19], 2, v[22:23]
	v_mov_b32_e32 v44, 0x7f800000
	v_mbcnt_hi_u32_b32 v13, -1, v20
	v_mov_b32_e32 v45, v1
	v_mov_b32_e32 v46, v1
	;; [unrolled: 1-line block ×9, first 2 shown]
.LBB32_11:                              ; =>This Inner Loop Header: Depth=1
	s_mul_hi_i32 s7, s2, s14
	s_mul_i32 s6, s2, s14
	s_lshl_b64 s[6:7], s[6:7], 2
	s_add_u32 s6, s15, s6
	s_addc_u32 s7, s20, s7
	v_lshl_add_u64 v[20:21], v[4:5], 2, s[6:7]
	v_lshl_add_u64 v[24:25], v[8:9], 2, s[6:7]
	v_lshl_add_u64 v[20:21], v[20:21], 0, v[14:15]
	v_lshl_add_u64 v[22:23], v[6:7], 2, s[6:7]
	v_lshl_add_u64 v[24:25], v[24:25], 0, v[14:15]
	v_lshl_add_u64 v[26:27], v[10:11], 2, s[6:7]
	v_lshl_add_u64 v[22:23], v[22:23], 0, v[14:15]
	global_load_dwordx4 v[56:59], v[20:21], off
	global_load_dwordx4 v[60:63], v[22:23], off
	v_lshl_add_u64 v[26:27], v[26:27], 0, v[14:15]
	global_load_dwordx4 v[64:67], v[24:25], off
	global_load_dwordx4 v[68:71], v[26:27], off
	v_mov_b32_e32 v55, 0
	s_waitcnt vmcnt(3)
	ds_write_b128 v32, v[56:59]
	s_waitcnt vmcnt(2)
	ds_write_b128 v33, v[60:63]
	;; [unrolled: 2-line block ×4, first 2 shown]
	s_waitcnt lgkmcnt(0)
	s_barrier
	ds_read_b128 v[58:61], v36
	ds_read_b128 v[62:65], v31
	ds_read_b128 v[66:69], v36 offset:4608
	s_waitcnt lgkmcnt(1)
	;;#ASMSTART
	v_dot2_f32_f16 v55, v58, v62, v55
	;;#ASMEND
	s_nop 0
	;;#ASMSTART
	v_dot2_f32_f16 v55, v59, v63, v55
	;;#ASMEND
	v_mov_b32_e32 v56, 0
	;;#ASMSTART
	v_dot2_f32_f16 v55, v60, v64, v55
	;;#ASMEND
	s_nop 0
	;;#ASMSTART
	v_dot2_f32_f16 v55, v61, v65, v55
	;;#ASMEND
	s_waitcnt lgkmcnt(0)
	;;#ASMSTART
	v_dot2_f32_f16 v56, v66, v62, v56
	;;#ASMEND
	s_nop 0
	;;#ASMSTART
	v_dot2_f32_f16 v56, v67, v63, v56
	;;#ASMEND
	s_nop 0
	;;#ASMSTART
	v_dot2_f32_f16 v56, v68, v64, v56
	;;#ASMEND
	s_nop 0
	;;#ASMSTART
	v_dot2_f32_f16 v56, v69, v65, v56
	;;#ASMEND
	ds_read_b128 v[58:61], v36 offset:16
	ds_read_b128 v[62:65], v31 offset:16
	ds_read_b128 v[66:69], v36 offset:4624
	s_waitcnt lgkmcnt(1)
	;;#ASMSTART
	v_dot2_f32_f16 v55, v58, v62, v55
	;;#ASMEND
	s_nop 0
	;;#ASMSTART
	v_dot2_f32_f16 v55, v59, v63, v55
	;;#ASMEND
	s_nop 0
	;;#ASMSTART
	v_dot2_f32_f16 v55, v60, v64, v55
	;;#ASMEND
	s_nop 0
	;;#ASMSTART
	v_dot2_f32_f16 v55, v61, v65, v55
	;;#ASMEND
	s_waitcnt lgkmcnt(0)
	;;#ASMSTART
	v_dot2_f32_f16 v56, v66, v62, v56
	;;#ASMEND
	s_nop 0
	;;#ASMSTART
	v_dot2_f32_f16 v56, v67, v63, v56
	;;#ASMEND
	s_nop 0
	;;#ASMSTART
	v_dot2_f32_f16 v56, v68, v64, v56
	;;#ASMEND
	s_nop 0
	;;#ASMSTART
	v_dot2_f32_f16 v56, v69, v65, v56
	;;#ASMEND
	ds_read_b128 v[58:61], v36 offset:32
	ds_read_b128 v[62:65], v31 offset:32
	ds_read_b128 v[66:69], v36 offset:4640
	s_waitcnt lgkmcnt(1)
	;;#ASMSTART
	v_dot2_f32_f16 v55, v58, v62, v55
	;;#ASMEND
	s_nop 0
	;;#ASMSTART
	v_dot2_f32_f16 v55, v59, v63, v55
	;;#ASMEND
	s_nop 0
	;; [unrolled: 35-line block ×7, first 2 shown]
	;;#ASMSTART
	v_dot2_f32_f16 v55, v60, v64, v55
	;;#ASMEND
	s_nop 0
	;;#ASMSTART
	v_dot2_f32_f16 v55, v61, v65, v55
	;;#ASMEND
	s_waitcnt lgkmcnt(0)
	;;#ASMSTART
	v_dot2_f32_f16 v56, v66, v62, v56
	;;#ASMEND
	s_nop 0
	;;#ASMSTART
	v_dot2_f32_f16 v56, v67, v63, v56
	;;#ASMEND
	s_nop 0
	;;#ASMSTART
	v_dot2_f32_f16 v56, v68, v64, v56
	;;#ASMEND
	s_nop 0
	;;#ASMSTART
	v_dot2_f32_f16 v56, v69, v65, v56
	;;#ASMEND
	s_barrier
	global_load_dwordx4 v[58:61], v[20:21], off offset:128
	global_load_dwordx4 v[62:65], v[22:23], off offset:128
	;; [unrolled: 1-line block ×4, first 2 shown]
	s_waitcnt vmcnt(3)
	ds_write_b128 v32, v[58:61]
	s_waitcnt vmcnt(2)
	ds_write_b128 v33, v[62:65]
	;; [unrolled: 2-line block ×4, first 2 shown]
	s_waitcnt lgkmcnt(0)
	s_barrier
	ds_read_b128 v[58:61], v36
	ds_read_b128 v[62:65], v31 offset:128
	ds_read_b128 v[66:69], v36 offset:4608
	s_waitcnt lgkmcnt(1)
	;;#ASMSTART
	v_dot2_f32_f16 v55, v58, v62, v55
	;;#ASMEND
	s_nop 0
	;;#ASMSTART
	v_dot2_f32_f16 v55, v59, v63, v55
	;;#ASMEND
	s_nop 0
	;;#ASMSTART
	v_dot2_f32_f16 v55, v60, v64, v55
	;;#ASMEND
	s_nop 0
	;;#ASMSTART
	v_dot2_f32_f16 v55, v61, v65, v55
	;;#ASMEND
	s_waitcnt lgkmcnt(0)
	;;#ASMSTART
	v_dot2_f32_f16 v56, v66, v62, v56
	;;#ASMEND
	s_nop 0
	;;#ASMSTART
	v_dot2_f32_f16 v56, v67, v63, v56
	;;#ASMEND
	s_nop 0
	;;#ASMSTART
	v_dot2_f32_f16 v56, v68, v64, v56
	;;#ASMEND
	s_nop 0
	;;#ASMSTART
	v_dot2_f32_f16 v56, v69, v65, v56
	;;#ASMEND
	ds_read_b128 v[58:61], v36 offset:16
	ds_read_b128 v[62:65], v31 offset:144
	ds_read_b128 v[66:69], v36 offset:4624
	s_waitcnt lgkmcnt(1)
	;;#ASMSTART
	v_dot2_f32_f16 v55, v58, v62, v55
	;;#ASMEND
	s_nop 0
	;;#ASMSTART
	v_dot2_f32_f16 v55, v59, v63, v55
	;;#ASMEND
	s_nop 0
	;;#ASMSTART
	v_dot2_f32_f16 v55, v60, v64, v55
	;;#ASMEND
	s_nop 0
	;;#ASMSTART
	v_dot2_f32_f16 v55, v61, v65, v55
	;;#ASMEND
	s_waitcnt lgkmcnt(0)
	;;#ASMSTART
	v_dot2_f32_f16 v56, v66, v62, v56
	;;#ASMEND
	s_nop 0
	;;#ASMSTART
	v_dot2_f32_f16 v56, v67, v63, v56
	;;#ASMEND
	s_nop 0
	;;#ASMSTART
	v_dot2_f32_f16 v56, v68, v64, v56
	;;#ASMEND
	s_nop 0
	;;#ASMSTART
	v_dot2_f32_f16 v56, v69, v65, v56
	;;#ASMEND
	ds_read_b128 v[58:61], v36 offset:32
	;; [unrolled: 35-line block ×7, first 2 shown]
	ds_read_b128 v[62:65], v31 offset:240
	ds_read_b128 v[66:69], v36 offset:4720
	s_waitcnt lgkmcnt(1)
	;;#ASMSTART
	v_dot2_f32_f16 v55, v58, v62, v55
	;;#ASMEND
	s_nop 0
	;;#ASMSTART
	v_dot2_f32_f16 v55, v59, v63, v55
	;;#ASMEND
	s_nop 0
	;;#ASMSTART
	v_dot2_f32_f16 v55, v60, v64, v55
	;;#ASMEND
	s_nop 0
	;;#ASMSTART
	v_dot2_f32_f16 v55, v61, v65, v55
	;;#ASMEND
	s_waitcnt lgkmcnt(0)
	;;#ASMSTART
	v_dot2_f32_f16 v56, v66, v62, v56
	;;#ASMEND
	s_nop 0
	;;#ASMSTART
	v_dot2_f32_f16 v56, v67, v63, v56
	;;#ASMEND
	s_nop 0
	;; [unrolled: 4-line block ×3, first 2 shown]
	;;#ASMSTART
	v_dot2_f32_f16 v56, v69, v65, v56
	;;#ASMEND
	s_barrier
	global_load_dwordx4 v[58:61], v[20:21], off offset:256
	global_load_dwordx4 v[62:65], v[22:23], off offset:256
	global_load_dwordx4 v[66:69], v[24:25], off offset:256
	global_load_dwordx4 v[70:73], v[26:27], off offset:256
	s_waitcnt vmcnt(3)
	ds_write_b128 v32, v[58:61]
	s_waitcnt vmcnt(2)
	ds_write_b128 v33, v[62:65]
	;; [unrolled: 2-line block ×4, first 2 shown]
	s_waitcnt lgkmcnt(0)
	s_barrier
	ds_read_b128 v[58:61], v36
	ds_read_b128 v[62:65], v31 offset:256
	ds_read_b128 v[66:69], v36 offset:4608
	s_waitcnt lgkmcnt(1)
	;;#ASMSTART
	v_dot2_f32_f16 v55, v58, v62, v55
	;;#ASMEND
	s_nop 0
	;;#ASMSTART
	v_dot2_f32_f16 v55, v59, v63, v55
	;;#ASMEND
	s_nop 0
	;;#ASMSTART
	v_dot2_f32_f16 v55, v60, v64, v55
	;;#ASMEND
	s_nop 0
	;;#ASMSTART
	v_dot2_f32_f16 v55, v61, v65, v55
	;;#ASMEND
	s_waitcnt lgkmcnt(0)
	;;#ASMSTART
	v_dot2_f32_f16 v56, v66, v62, v56
	;;#ASMEND
	s_nop 0
	;;#ASMSTART
	v_dot2_f32_f16 v56, v67, v63, v56
	;;#ASMEND
	s_nop 0
	;;#ASMSTART
	v_dot2_f32_f16 v56, v68, v64, v56
	;;#ASMEND
	s_nop 0
	;;#ASMSTART
	v_dot2_f32_f16 v56, v69, v65, v56
	;;#ASMEND
	ds_read_b128 v[58:61], v36 offset:16
	ds_read_b128 v[62:65], v31 offset:272
	ds_read_b128 v[66:69], v36 offset:4624
	s_waitcnt lgkmcnt(1)
	;;#ASMSTART
	v_dot2_f32_f16 v55, v58, v62, v55
	;;#ASMEND
	s_nop 0
	;;#ASMSTART
	v_dot2_f32_f16 v55, v59, v63, v55
	;;#ASMEND
	s_nop 0
	;;#ASMSTART
	v_dot2_f32_f16 v55, v60, v64, v55
	;;#ASMEND
	s_nop 0
	;;#ASMSTART
	v_dot2_f32_f16 v55, v61, v65, v55
	;;#ASMEND
	s_waitcnt lgkmcnt(0)
	;;#ASMSTART
	v_dot2_f32_f16 v56, v66, v62, v56
	;;#ASMEND
	s_nop 0
	;;#ASMSTART
	v_dot2_f32_f16 v56, v67, v63, v56
	;;#ASMEND
	s_nop 0
	;;#ASMSTART
	v_dot2_f32_f16 v56, v68, v64, v56
	;;#ASMEND
	s_nop 0
	;;#ASMSTART
	v_dot2_f32_f16 v56, v69, v65, v56
	;;#ASMEND
	ds_read_b128 v[58:61], v36 offset:32
	;; [unrolled: 35-line block ×7, first 2 shown]
	ds_read_b128 v[62:65], v31 offset:368
	ds_read_b128 v[66:69], v36 offset:4720
	s_waitcnt lgkmcnt(1)
	;;#ASMSTART
	v_dot2_f32_f16 v55, v58, v62, v55
	;;#ASMEND
	s_nop 0
	;;#ASMSTART
	v_dot2_f32_f16 v55, v59, v63, v55
	;;#ASMEND
	s_nop 0
	;; [unrolled: 4-line block ×3, first 2 shown]
	;;#ASMSTART
	v_dot2_f32_f16 v55, v61, v65, v55
	;;#ASMEND
	s_waitcnt lgkmcnt(0)
	;;#ASMSTART
	v_dot2_f32_f16 v56, v66, v62, v56
	;;#ASMEND
	s_nop 0
	;;#ASMSTART
	v_dot2_f32_f16 v56, v67, v63, v56
	;;#ASMEND
	s_nop 0
	;; [unrolled: 4-line block ×3, first 2 shown]
	;;#ASMSTART
	v_dot2_f32_f16 v56, v69, v65, v56
	;;#ASMEND
	s_barrier
	global_load_dwordx4 v[58:61], v[20:21], off offset:384
	global_load_dwordx4 v[62:65], v[22:23], off offset:384
	;; [unrolled: 1-line block ×4, first 2 shown]
	s_waitcnt vmcnt(3)
	ds_write_b128 v32, v[58:61]
	s_waitcnt vmcnt(2)
	ds_write_b128 v33, v[62:65]
	;; [unrolled: 2-line block ×4, first 2 shown]
	s_waitcnt lgkmcnt(0)
	s_barrier
	ds_read_b128 v[58:61], v36
	ds_read_b128 v[62:65], v31 offset:384
	ds_read_b128 v[66:69], v36 offset:4608
	s_waitcnt lgkmcnt(1)
	;;#ASMSTART
	v_dot2_f32_f16 v55, v58, v62, v55
	;;#ASMEND
	s_nop 0
	;;#ASMSTART
	v_dot2_f32_f16 v55, v59, v63, v55
	;;#ASMEND
	s_nop 0
	;;#ASMSTART
	v_dot2_f32_f16 v55, v60, v64, v55
	;;#ASMEND
	s_nop 0
	;;#ASMSTART
	v_dot2_f32_f16 v55, v61, v65, v55
	;;#ASMEND
	s_waitcnt lgkmcnt(0)
	;;#ASMSTART
	v_dot2_f32_f16 v56, v66, v62, v56
	;;#ASMEND
	s_nop 0
	;;#ASMSTART
	v_dot2_f32_f16 v56, v67, v63, v56
	;;#ASMEND
	s_nop 0
	;;#ASMSTART
	v_dot2_f32_f16 v56, v68, v64, v56
	;;#ASMEND
	s_nop 0
	;;#ASMSTART
	v_dot2_f32_f16 v56, v69, v65, v56
	;;#ASMEND
	ds_read_b128 v[58:61], v36 offset:16
	ds_read_b128 v[62:65], v31 offset:400
	ds_read_b128 v[66:69], v36 offset:4624
	s_waitcnt lgkmcnt(1)
	;;#ASMSTART
	v_dot2_f32_f16 v55, v58, v62, v55
	;;#ASMEND
	s_nop 0
	;;#ASMSTART
	v_dot2_f32_f16 v55, v59, v63, v55
	;;#ASMEND
	s_nop 0
	;;#ASMSTART
	v_dot2_f32_f16 v55, v60, v64, v55
	;;#ASMEND
	s_nop 0
	;;#ASMSTART
	v_dot2_f32_f16 v55, v61, v65, v55
	;;#ASMEND
	s_waitcnt lgkmcnt(0)
	;;#ASMSTART
	v_dot2_f32_f16 v56, v66, v62, v56
	;;#ASMEND
	s_nop 0
	;;#ASMSTART
	v_dot2_f32_f16 v56, v67, v63, v56
	;;#ASMEND
	s_nop 0
	;;#ASMSTART
	v_dot2_f32_f16 v56, v68, v64, v56
	;;#ASMEND
	s_nop 0
	;;#ASMSTART
	v_dot2_f32_f16 v56, v69, v65, v56
	;;#ASMEND
	ds_read_b128 v[58:61], v36 offset:32
	;; [unrolled: 35-line block ×7, first 2 shown]
	ds_read_b128 v[62:65], v31 offset:496
	ds_read_b128 v[66:69], v36 offset:4720
	s_waitcnt lgkmcnt(1)
	;;#ASMSTART
	v_dot2_f32_f16 v55, v58, v62, v55
	;;#ASMEND
	s_nop 0
	;;#ASMSTART
	v_dot2_f32_f16 v55, v59, v63, v55
	;;#ASMEND
	s_nop 0
	;;#ASMSTART
	v_dot2_f32_f16 v55, v60, v64, v55
	;;#ASMEND
	s_nop 0
	;;#ASMSTART
	v_dot2_f32_f16 v55, v61, v65, v55
	;;#ASMEND
	s_waitcnt lgkmcnt(0)
	;;#ASMSTART
	v_dot2_f32_f16 v56, v66, v62, v56
	;;#ASMEND
	s_nop 0
	;;#ASMSTART
	v_dot2_f32_f16 v56, v67, v63, v56
	;;#ASMEND
	s_nop 0
	;;#ASMSTART
	v_dot2_f32_f16 v56, v68, v64, v56
	;;#ASMEND
	s_nop 0
	;;#ASMSTART
	v_dot2_f32_f16 v56, v69, v65, v56
	;;#ASMEND
	s_barrier
	global_load_dwordx4 v[58:61], v[20:21], off offset:512
	global_load_dwordx4 v[62:65], v[22:23], off offset:512
	;; [unrolled: 1-line block ×4, first 2 shown]
	s_waitcnt vmcnt(3)
	ds_write_b128 v32, v[58:61]
	s_waitcnt vmcnt(2)
	ds_write_b128 v33, v[62:65]
	;; [unrolled: 2-line block ×4, first 2 shown]
	s_waitcnt lgkmcnt(0)
	s_barrier
	ds_read_b128 v[58:61], v36
	ds_read_b128 v[62:65], v31 offset:512
	ds_read_b128 v[66:69], v36 offset:4608
	s_waitcnt lgkmcnt(1)
	;;#ASMSTART
	v_dot2_f32_f16 v55, v58, v62, v55
	;;#ASMEND
	s_nop 0
	;;#ASMSTART
	v_dot2_f32_f16 v55, v59, v63, v55
	;;#ASMEND
	s_nop 0
	;;#ASMSTART
	v_dot2_f32_f16 v55, v60, v64, v55
	;;#ASMEND
	s_nop 0
	;;#ASMSTART
	v_dot2_f32_f16 v55, v61, v65, v55
	;;#ASMEND
	s_waitcnt lgkmcnt(0)
	;;#ASMSTART
	v_dot2_f32_f16 v56, v66, v62, v56
	;;#ASMEND
	s_nop 0
	;;#ASMSTART
	v_dot2_f32_f16 v56, v67, v63, v56
	;;#ASMEND
	s_nop 0
	;;#ASMSTART
	v_dot2_f32_f16 v56, v68, v64, v56
	;;#ASMEND
	s_nop 0
	;;#ASMSTART
	v_dot2_f32_f16 v56, v69, v65, v56
	;;#ASMEND
	ds_read_b128 v[58:61], v36 offset:16
	ds_read_b128 v[62:65], v31 offset:528
	ds_read_b128 v[66:69], v36 offset:4624
	s_waitcnt lgkmcnt(1)
	;;#ASMSTART
	v_dot2_f32_f16 v55, v58, v62, v55
	;;#ASMEND
	s_nop 0
	;;#ASMSTART
	v_dot2_f32_f16 v55, v59, v63, v55
	;;#ASMEND
	s_nop 0
	;;#ASMSTART
	v_dot2_f32_f16 v55, v60, v64, v55
	;;#ASMEND
	s_nop 0
	;;#ASMSTART
	v_dot2_f32_f16 v55, v61, v65, v55
	;;#ASMEND
	s_waitcnt lgkmcnt(0)
	;;#ASMSTART
	v_dot2_f32_f16 v56, v66, v62, v56
	;;#ASMEND
	s_nop 0
	;;#ASMSTART
	v_dot2_f32_f16 v56, v67, v63, v56
	;;#ASMEND
	s_nop 0
	;;#ASMSTART
	v_dot2_f32_f16 v56, v68, v64, v56
	;;#ASMEND
	s_nop 0
	;;#ASMSTART
	v_dot2_f32_f16 v56, v69, v65, v56
	;;#ASMEND
	ds_read_b128 v[58:61], v36 offset:32
	ds_read_b128 v[62:65], v31 offset:544
	ds_read_b128 v[66:69], v36 offset:4640
	s_waitcnt lgkmcnt(1)
	;;#ASMSTART
	v_dot2_f32_f16 v55, v58, v62, v55
	;;#ASMEND
	s_nop 0
	;;#ASMSTART
	v_dot2_f32_f16 v55, v59, v63, v55
	;;#ASMEND
	s_nop 0
	;;#ASMSTART
	v_dot2_f32_f16 v55, v60, v64, v55
	;;#ASMEND
	s_nop 0
	;;#ASMSTART
	v_dot2_f32_f16 v55, v61, v65, v55
	;;#ASMEND
	s_waitcnt lgkmcnt(0)
	;;#ASMSTART
	v_dot2_f32_f16 v56, v66, v62, v56
	;;#ASMEND
	s_nop 0
	;;#ASMSTART
	v_dot2_f32_f16 v56, v67, v63, v56
	;;#ASMEND
	s_nop 0
	;;#ASMSTART
	v_dot2_f32_f16 v56, v68, v64, v56
	;;#ASMEND
	s_nop 0
	;;#ASMSTART
	v_dot2_f32_f16 v56, v69, v65, v56
	;;#ASMEND
	ds_read_b128 v[58:61], v36 offset:48
	ds_read_b128 v[62:65], v31 offset:560
	ds_read_b128 v[66:69], v36 offset:4656
	s_waitcnt lgkmcnt(1)
	;;#ASMSTART
	v_dot2_f32_f16 v55, v58, v62, v55
	;;#ASMEND
	s_nop 0
	;;#ASMSTART
	v_dot2_f32_f16 v55, v59, v63, v55
	;;#ASMEND
	s_nop 0
	;;#ASMSTART
	v_dot2_f32_f16 v55, v60, v64, v55
	;;#ASMEND
	s_nop 0
	;;#ASMSTART
	v_dot2_f32_f16 v55, v61, v65, v55
	;;#ASMEND
	s_waitcnt lgkmcnt(0)
	;;#ASMSTART
	v_dot2_f32_f16 v56, v66, v62, v56
	;;#ASMEND
	s_nop 0
	;;#ASMSTART
	v_dot2_f32_f16 v56, v67, v63, v56
	;;#ASMEND
	s_nop 0
	;;#ASMSTART
	v_dot2_f32_f16 v56, v68, v64, v56
	;;#ASMEND
	s_nop 0
	;;#ASMSTART
	v_dot2_f32_f16 v56, v69, v65, v56
	;;#ASMEND
	ds_read_b128 v[58:61], v36 offset:64
	ds_read_b128 v[62:65], v31 offset:576
	ds_read_b128 v[66:69], v36 offset:4672
	s_waitcnt lgkmcnt(1)
	;;#ASMSTART
	v_dot2_f32_f16 v55, v58, v62, v55
	;;#ASMEND
	s_nop 0
	;;#ASMSTART
	v_dot2_f32_f16 v55, v59, v63, v55
	;;#ASMEND
	s_nop 0
	;;#ASMSTART
	v_dot2_f32_f16 v55, v60, v64, v55
	;;#ASMEND
	s_nop 0
	;;#ASMSTART
	v_dot2_f32_f16 v55, v61, v65, v55
	;;#ASMEND
	s_waitcnt lgkmcnt(0)
	;;#ASMSTART
	v_dot2_f32_f16 v56, v66, v62, v56
	;;#ASMEND
	s_nop 0
	;;#ASMSTART
	v_dot2_f32_f16 v56, v67, v63, v56
	;;#ASMEND
	s_nop 0
	;;#ASMSTART
	v_dot2_f32_f16 v56, v68, v64, v56
	;;#ASMEND
	s_nop 0
	;;#ASMSTART
	v_dot2_f32_f16 v56, v69, v65, v56
	;;#ASMEND
	ds_read_b128 v[58:61], v36 offset:80
	ds_read_b128 v[62:65], v31 offset:592
	ds_read_b128 v[66:69], v36 offset:4688
	s_waitcnt lgkmcnt(1)
	;;#ASMSTART
	v_dot2_f32_f16 v55, v58, v62, v55
	;;#ASMEND
	s_nop 0
	;;#ASMSTART
	v_dot2_f32_f16 v55, v59, v63, v55
	;;#ASMEND
	s_nop 0
	;;#ASMSTART
	v_dot2_f32_f16 v55, v60, v64, v55
	;;#ASMEND
	s_nop 0
	;;#ASMSTART
	v_dot2_f32_f16 v55, v61, v65, v55
	;;#ASMEND
	s_waitcnt lgkmcnt(0)
	;;#ASMSTART
	v_dot2_f32_f16 v56, v66, v62, v56
	;;#ASMEND
	s_nop 0
	;;#ASMSTART
	v_dot2_f32_f16 v56, v67, v63, v56
	;;#ASMEND
	s_nop 0
	;;#ASMSTART
	v_dot2_f32_f16 v56, v68, v64, v56
	;;#ASMEND
	s_nop 0
	;;#ASMSTART
	v_dot2_f32_f16 v56, v69, v65, v56
	;;#ASMEND
	ds_read_b128 v[58:61], v36 offset:96
	ds_read_b128 v[62:65], v31 offset:608
	ds_read_b128 v[66:69], v36 offset:4704
	s_waitcnt lgkmcnt(1)
	;;#ASMSTART
	v_dot2_f32_f16 v55, v58, v62, v55
	;;#ASMEND
	s_nop 0
	;;#ASMSTART
	v_dot2_f32_f16 v55, v59, v63, v55
	;;#ASMEND
	s_nop 0
	;;#ASMSTART
	v_dot2_f32_f16 v55, v60, v64, v55
	;;#ASMEND
	s_nop 0
	;;#ASMSTART
	v_dot2_f32_f16 v55, v61, v65, v55
	;;#ASMEND
	s_waitcnt lgkmcnt(0)
	;;#ASMSTART
	v_dot2_f32_f16 v56, v66, v62, v56
	;;#ASMEND
	s_nop 0
	;;#ASMSTART
	v_dot2_f32_f16 v56, v67, v63, v56
	;;#ASMEND
	s_nop 0
	;;#ASMSTART
	v_dot2_f32_f16 v56, v68, v64, v56
	;;#ASMEND
	s_nop 0
	;;#ASMSTART
	v_dot2_f32_f16 v56, v69, v65, v56
	;;#ASMEND
	ds_read_b128 v[58:61], v36 offset:112
	ds_read_b128 v[62:65], v31 offset:624
	ds_read_b128 v[66:69], v36 offset:4720
	s_waitcnt lgkmcnt(1)
	;;#ASMSTART
	v_dot2_f32_f16 v55, v58, v62, v55
	;;#ASMEND
	s_nop 0
	;;#ASMSTART
	v_dot2_f32_f16 v55, v59, v63, v55
	;;#ASMEND
	s_nop 0
	;; [unrolled: 4-line block ×3, first 2 shown]
	;;#ASMSTART
	v_dot2_f32_f16 v55, v61, v65, v55
	;;#ASMEND
	s_waitcnt lgkmcnt(0)
	;;#ASMSTART
	v_dot2_f32_f16 v56, v66, v62, v56
	;;#ASMEND
	s_nop 0
	;;#ASMSTART
	v_dot2_f32_f16 v56, v67, v63, v56
	;;#ASMEND
	s_nop 0
	;; [unrolled: 4-line block ×3, first 2 shown]
	;;#ASMSTART
	v_dot2_f32_f16 v56, v69, v65, v56
	;;#ASMEND
	s_barrier
	global_load_dwordx4 v[58:61], v[20:21], off offset:640
	global_load_dwordx4 v[62:65], v[22:23], off offset:640
	;; [unrolled: 1-line block ×4, first 2 shown]
	s_waitcnt vmcnt(3)
	ds_write_b128 v32, v[58:61]
	s_waitcnt vmcnt(2)
	ds_write_b128 v33, v[62:65]
	;; [unrolled: 2-line block ×4, first 2 shown]
	s_waitcnt lgkmcnt(0)
	s_barrier
	ds_read_b128 v[58:61], v36
	ds_read_b128 v[62:65], v31 offset:640
	ds_read_b128 v[66:69], v36 offset:4608
	s_waitcnt lgkmcnt(1)
	;;#ASMSTART
	v_dot2_f32_f16 v55, v58, v62, v55
	;;#ASMEND
	s_nop 0
	;;#ASMSTART
	v_dot2_f32_f16 v55, v59, v63, v55
	;;#ASMEND
	s_nop 0
	;;#ASMSTART
	v_dot2_f32_f16 v55, v60, v64, v55
	;;#ASMEND
	s_nop 0
	;;#ASMSTART
	v_dot2_f32_f16 v55, v61, v65, v55
	;;#ASMEND
	s_waitcnt lgkmcnt(0)
	;;#ASMSTART
	v_dot2_f32_f16 v56, v66, v62, v56
	;;#ASMEND
	s_nop 0
	;;#ASMSTART
	v_dot2_f32_f16 v56, v67, v63, v56
	;;#ASMEND
	s_nop 0
	;;#ASMSTART
	v_dot2_f32_f16 v56, v68, v64, v56
	;;#ASMEND
	s_nop 0
	;;#ASMSTART
	v_dot2_f32_f16 v56, v69, v65, v56
	;;#ASMEND
	ds_read_b128 v[58:61], v36 offset:16
	ds_read_b128 v[62:65], v31 offset:656
	ds_read_b128 v[66:69], v36 offset:4624
	s_waitcnt lgkmcnt(1)
	;;#ASMSTART
	v_dot2_f32_f16 v55, v58, v62, v55
	;;#ASMEND
	s_nop 0
	;;#ASMSTART
	v_dot2_f32_f16 v55, v59, v63, v55
	;;#ASMEND
	s_nop 0
	;;#ASMSTART
	v_dot2_f32_f16 v55, v60, v64, v55
	;;#ASMEND
	s_nop 0
	;;#ASMSTART
	v_dot2_f32_f16 v55, v61, v65, v55
	;;#ASMEND
	s_waitcnt lgkmcnt(0)
	;;#ASMSTART
	v_dot2_f32_f16 v56, v66, v62, v56
	;;#ASMEND
	s_nop 0
	;;#ASMSTART
	v_dot2_f32_f16 v56, v67, v63, v56
	;;#ASMEND
	s_nop 0
	;;#ASMSTART
	v_dot2_f32_f16 v56, v68, v64, v56
	;;#ASMEND
	s_nop 0
	;;#ASMSTART
	v_dot2_f32_f16 v56, v69, v65, v56
	;;#ASMEND
	ds_read_b128 v[58:61], v36 offset:32
	;; [unrolled: 35-line block ×7, first 2 shown]
	ds_read_b128 v[62:65], v31 offset:752
	ds_read_b128 v[66:69], v36 offset:4720
	s_waitcnt lgkmcnt(1)
	;;#ASMSTART
	v_dot2_f32_f16 v55, v58, v62, v55
	;;#ASMEND
	s_nop 0
	;;#ASMSTART
	v_dot2_f32_f16 v55, v59, v63, v55
	;;#ASMEND
	s_nop 0
	;;#ASMSTART
	v_dot2_f32_f16 v55, v60, v64, v55
	;;#ASMEND
	s_nop 0
	;;#ASMSTART
	v_dot2_f32_f16 v55, v61, v65, v55
	;;#ASMEND
	s_waitcnt lgkmcnt(0)
	;;#ASMSTART
	v_dot2_f32_f16 v56, v66, v62, v56
	;;#ASMEND
	s_nop 0
	;;#ASMSTART
	v_dot2_f32_f16 v56, v67, v63, v56
	;;#ASMEND
	s_nop 0
	;; [unrolled: 4-line block ×3, first 2 shown]
	;;#ASMSTART
	v_dot2_f32_f16 v56, v69, v65, v56
	;;#ASMEND
	s_barrier
	global_load_dwordx4 v[58:61], v[20:21], off offset:768
	global_load_dwordx4 v[62:65], v[22:23], off offset:768
	;; [unrolled: 1-line block ×4, first 2 shown]
	s_waitcnt vmcnt(3)
	ds_write_b128 v32, v[58:61]
	s_waitcnt vmcnt(2)
	ds_write_b128 v33, v[62:65]
	s_waitcnt vmcnt(1)
	ds_write_b128 v34, v[66:69]
	s_waitcnt vmcnt(0)
	ds_write_b128 v35, v[70:73]
	s_waitcnt lgkmcnt(0)
	s_barrier
	ds_read_b128 v[58:61], v36
	ds_read_b128 v[62:65], v31 offset:768
	ds_read_b128 v[66:69], v36 offset:4608
	s_waitcnt lgkmcnt(1)
	;;#ASMSTART
	v_dot2_f32_f16 v55, v58, v62, v55
	;;#ASMEND
	s_nop 0
	;;#ASMSTART
	v_dot2_f32_f16 v55, v59, v63, v55
	;;#ASMEND
	s_nop 0
	;;#ASMSTART
	v_dot2_f32_f16 v55, v60, v64, v55
	;;#ASMEND
	s_nop 0
	;;#ASMSTART
	v_dot2_f32_f16 v55, v61, v65, v55
	;;#ASMEND
	s_waitcnt lgkmcnt(0)
	;;#ASMSTART
	v_dot2_f32_f16 v56, v66, v62, v56
	;;#ASMEND
	s_nop 0
	;;#ASMSTART
	v_dot2_f32_f16 v56, v67, v63, v56
	;;#ASMEND
	s_nop 0
	;;#ASMSTART
	v_dot2_f32_f16 v56, v68, v64, v56
	;;#ASMEND
	s_nop 0
	;;#ASMSTART
	v_dot2_f32_f16 v56, v69, v65, v56
	;;#ASMEND
	ds_read_b128 v[58:61], v36 offset:16
	ds_read_b128 v[62:65], v31 offset:784
	ds_read_b128 v[66:69], v36 offset:4624
	s_waitcnt lgkmcnt(1)
	;;#ASMSTART
	v_dot2_f32_f16 v55, v58, v62, v55
	;;#ASMEND
	s_nop 0
	;;#ASMSTART
	v_dot2_f32_f16 v55, v59, v63, v55
	;;#ASMEND
	s_nop 0
	;;#ASMSTART
	v_dot2_f32_f16 v55, v60, v64, v55
	;;#ASMEND
	s_nop 0
	;;#ASMSTART
	v_dot2_f32_f16 v55, v61, v65, v55
	;;#ASMEND
	s_waitcnt lgkmcnt(0)
	;;#ASMSTART
	v_dot2_f32_f16 v56, v66, v62, v56
	;;#ASMEND
	s_nop 0
	;;#ASMSTART
	v_dot2_f32_f16 v56, v67, v63, v56
	;;#ASMEND
	s_nop 0
	;;#ASMSTART
	v_dot2_f32_f16 v56, v68, v64, v56
	;;#ASMEND
	s_nop 0
	;;#ASMSTART
	v_dot2_f32_f16 v56, v69, v65, v56
	;;#ASMEND
	ds_read_b128 v[58:61], v36 offset:32
	;; [unrolled: 35-line block ×7, first 2 shown]
	ds_read_b128 v[62:65], v31 offset:880
	ds_read_b128 v[66:69], v36 offset:4720
	s_waitcnt lgkmcnt(1)
	;;#ASMSTART
	v_dot2_f32_f16 v55, v58, v62, v55
	;;#ASMEND
	s_nop 0
	;;#ASMSTART
	v_dot2_f32_f16 v55, v59, v63, v55
	;;#ASMEND
	s_nop 0
	;; [unrolled: 4-line block ×3, first 2 shown]
	;;#ASMSTART
	v_dot2_f32_f16 v55, v61, v65, v55
	;;#ASMEND
	s_waitcnt lgkmcnt(0)
	;;#ASMSTART
	v_dot2_f32_f16 v56, v66, v62, v56
	;;#ASMEND
	s_nop 0
	;;#ASMSTART
	v_dot2_f32_f16 v56, v67, v63, v56
	;;#ASMEND
	s_nop 0
	;; [unrolled: 4-line block ×3, first 2 shown]
	;;#ASMSTART
	v_dot2_f32_f16 v56, v69, v65, v56
	;;#ASMEND
	s_barrier
	global_load_dwordx4 v[58:61], v[20:21], off offset:896
	global_load_dwordx4 v[62:65], v[22:23], off offset:896
	;; [unrolled: 1-line block ×4, first 2 shown]
	s_waitcnt vmcnt(3)
	ds_write_b128 v32, v[58:61]
	s_waitcnt vmcnt(2)
	ds_write_b128 v33, v[62:65]
	;; [unrolled: 2-line block ×4, first 2 shown]
	s_waitcnt lgkmcnt(0)
	s_barrier
	ds_read_b128 v[20:23], v36
	ds_read_b128 v[24:27], v31 offset:896
	ds_read_b128 v[58:61], v36 offset:4608
	s_waitcnt lgkmcnt(1)
	;;#ASMSTART
	v_dot2_f32_f16 v55, v20, v24, v55
	;;#ASMEND
	s_nop 0
	;;#ASMSTART
	v_dot2_f32_f16 v55, v21, v25, v55
	;;#ASMEND
	s_nop 0
	;;#ASMSTART
	v_dot2_f32_f16 v55, v22, v26, v55
	;;#ASMEND
	s_nop 0
	;;#ASMSTART
	v_dot2_f32_f16 v55, v23, v27, v55
	;;#ASMEND
	s_waitcnt lgkmcnt(0)
	;;#ASMSTART
	v_dot2_f32_f16 v56, v58, v24, v56
	;;#ASMEND
	s_nop 0
	;;#ASMSTART
	v_dot2_f32_f16 v56, v59, v25, v56
	;;#ASMEND
	s_nop 0
	;;#ASMSTART
	v_dot2_f32_f16 v56, v60, v26, v56
	;;#ASMEND
	s_nop 0
	;;#ASMSTART
	v_dot2_f32_f16 v56, v61, v27, v56
	;;#ASMEND
	ds_read_b128 v[20:23], v36 offset:16
	ds_read_b128 v[24:27], v31 offset:912
	ds_read_b128 v[58:61], v36 offset:4624
	s_waitcnt lgkmcnt(1)
	;;#ASMSTART
	v_dot2_f32_f16 v55, v20, v24, v55
	;;#ASMEND
	s_nop 0
	;;#ASMSTART
	v_dot2_f32_f16 v55, v21, v25, v55
	;;#ASMEND
	s_nop 0
	;;#ASMSTART
	v_dot2_f32_f16 v55, v22, v26, v55
	;;#ASMEND
	s_nop 0
	;;#ASMSTART
	v_dot2_f32_f16 v55, v23, v27, v55
	;;#ASMEND
	s_waitcnt lgkmcnt(0)
	;;#ASMSTART
	v_dot2_f32_f16 v56, v58, v24, v56
	;;#ASMEND
	s_nop 0
	;;#ASMSTART
	v_dot2_f32_f16 v56, v59, v25, v56
	;;#ASMEND
	s_nop 0
	;;#ASMSTART
	v_dot2_f32_f16 v56, v60, v26, v56
	;;#ASMEND
	s_nop 0
	;;#ASMSTART
	v_dot2_f32_f16 v56, v61, v27, v56
	;;#ASMEND
	ds_read_b128 v[20:23], v36 offset:32
	;; [unrolled: 35-line block ×7, first 2 shown]
	ds_read_b128 v[24:27], v31 offset:1008
	ds_read_b128 v[58:61], v36 offset:4720
	s_waitcnt lgkmcnt(1)
	;;#ASMSTART
	v_dot2_f32_f16 v55, v20, v24, v55
	;;#ASMEND
	s_nop 0
	;;#ASMSTART
	v_dot2_f32_f16 v55, v21, v25, v55
	;;#ASMEND
	s_nop 0
	;;#ASMSTART
	v_dot2_f32_f16 v55, v22, v26, v55
	;;#ASMEND
                                        ; implicit-def: $vgpr22
	s_nop 0
	;;#ASMSTART
	v_dot2_f32_f16 v55, v23, v27, v55
	;;#ASMEND
	s_waitcnt lgkmcnt(0)
	;;#ASMSTART
	v_dot2_f32_f16 v56, v58, v24, v56
	;;#ASMEND
	s_nop 0
	;;#ASMSTART
	v_dot2_f32_f16 v56, v59, v25, v56
	;;#ASMEND
	v_cmp_nlt_f32_e64 s[6:7], |v55|, s21
	;;#ASMSTART
	v_dot2_f32_f16 v56, v60, v26, v56
	;;#ASMEND
	s_nop 0
	;;#ASMSTART
	v_dot2_f32_f16 v56, v61, v27, v56
	;;#ASMEND
	s_and_saveexec_b64 s[36:37], s[6:7]
	s_xor_b64 s[6:7], exec, s[36:37]
	s_cbranch_execz .LBB32_13
; %bb.12:                               ;   in Loop: Header=BB32_11 Depth=1
	v_add_f32_e64 v20, |v55|, |v55|
	v_mul_f32_e32 v21, 0x3fb8aa3b, v20
	v_rndne_f32_e32 v22, v21
	v_sub_f32_e32 v23, v21, v22
	v_fma_f32 v21, v20, s24, -v21
	v_fmac_f32_e32 v21, 0x32a5705f, v20
	v_add_f32_e32 v21, v23, v21
	v_cvt_i32_f32_e32 v22, v22
	v_exp_f32_e32 v21, v21
	v_cmp_ngt_f32_e32 vcc, s25, v20
	v_ldexp_f32 v21, v21, v22
	s_nop 0
	v_cndmask_b32_e32 v21, 0, v21, vcc
	v_cmp_nlt_f32_e32 vcc, s26, v20
	s_nop 1
	v_cndmask_b32_e32 v20, v44, v21, vcc
	v_add_f32_e32 v20, 1.0, v20
	v_rcp_f32_e32 v20, v20
	s_nop 0
	v_fma_f32 v22, v20, -2.0, 1.0
.LBB32_13:                              ;   in Loop: Header=BB32_11 Depth=1
	s_andn2_saveexec_b64 s[6:7], s[6:7]
; %bb.14:                               ;   in Loop: Header=BB32_11 Depth=1
	v_mul_f32_e32 v20, v55, v55
	v_fmamk_f32 v21, v20, 0xbbbac73d, v43
	v_fmaak_f32 v21, v20, v21, 0xbd5c1c4e
	v_fmaak_f32 v21, v20, v21, 0x3e088382
	;; [unrolled: 1-line block ×3, first 2 shown]
	v_mul_f32_e64 v21, |v55|, v21
	v_fma_f32 v22, v20, v21, |v55|
; %bb.15:                               ;   in Loop: Header=BB32_11 Depth=1
	s_or_b64 exec, exec, s[6:7]
	v_add_u32_e32 v20, s2, v12
	v_ashrrev_i32_e32 v21, 31, v20
	v_lshl_add_u64 v[20:21], v[20:21], 1, s[30:31]
	global_load_ushort v24, v[20:21], off
	v_cmp_nlt_f32_e64 s[6:7], |v56|, s21
                                        ; implicit-def: $vgpr25
	s_and_saveexec_b64 s[36:37], s[6:7]
	s_xor_b64 s[6:7], exec, s[36:37]
	s_cbranch_execz .LBB32_17
; %bb.16:                               ;   in Loop: Header=BB32_11 Depth=1
	v_add_f32_e64 v23, |v56|, |v56|
	v_mul_f32_e32 v25, 0x3fb8aa3b, v23
	v_rndne_f32_e32 v26, v25
	v_sub_f32_e32 v27, v25, v26
	v_fma_f32 v25, v23, s24, -v25
	v_fmac_f32_e32 v25, 0x32a5705f, v23
	v_add_f32_e32 v25, v27, v25
	v_cvt_i32_f32_e32 v26, v26
	v_exp_f32_e32 v25, v25
	v_cmp_ngt_f32_e32 vcc, s25, v23
	v_ldexp_f32 v25, v25, v26
	s_nop 0
	v_cndmask_b32_e32 v25, 0, v25, vcc
	v_cmp_nlt_f32_e32 vcc, s26, v23
	s_nop 1
	v_cndmask_b32_e32 v23, v44, v25, vcc
	v_add_f32_e32 v23, 1.0, v23
	v_rcp_f32_e32 v23, v23
	s_nop 0
	v_fma_f32 v25, v23, -2.0, 1.0
.LBB32_17:                              ;   in Loop: Header=BB32_11 Depth=1
	s_andn2_saveexec_b64 s[6:7], s[6:7]
; %bb.18:                               ;   in Loop: Header=BB32_11 Depth=1
	v_mul_f32_e32 v23, v56, v56
	v_fmamk_f32 v25, v23, 0xbbbac73d, v43
	v_fmaak_f32 v25, v23, v25, 0xbd5c1c4e
	v_fmaak_f32 v25, v23, v25, 0x3e088382
	;; [unrolled: 1-line block ×3, first 2 shown]
	v_mul_f32_e64 v25, |v56|, v25
	v_fma_f32 v25, v23, v25, |v56|
; %bb.19:                               ;   in Loop: Header=BB32_11 Depth=1
	s_or_b64 exec, exec, s[6:7]
	global_load_ushort v20, v[20:21], off offset:64
	v_bfi_b32 v26, s27, v22, v55
	v_and_b32_e32 v27, 0x60, v13
	v_xor_b32_e32 v22, 8, v13
	s_waitcnt vmcnt(1)
	v_fma_mix_f32 v55, s10, v26, v24 op_sel_hi:[0,0,1]
	v_add_u32_e32 v24, 32, v27
	v_xor_b32_e32 v23, 16, v13
	v_bfi_b32 v25, s27, v25, v56
	v_cmp_lt_i32_e32 vcc, v22, v24
	v_add_f32_e32 v58, 0x40051340, v55
	s_mul_hi_i32 s7, s2, s11
	v_cndmask_b32_e32 v26, v13, v22, vcc
	v_cmp_lt_i32_e32 vcc, v23, v24
	s_mul_i32 s6, s2, s11
	s_lshl_b64 s[6:7], s[6:7], 2
	v_cndmask_b32_e32 v27, v13, v23, vcc
	v_lshlrev_b32_e32 v59, 2, v27
	s_add_u32 s6, s8, s6
	s_addc_u32 s7, s9, s7
	v_lshlrev_b32_e32 v64, 2, v26
	v_lshl_add_u64 v[26:27], s[6:7], 0, v[16:17]
	v_lshl_add_u64 v[56:57], s[6:7], 0, v[18:19]
	;; [unrolled: 1-line block ×4, first 2 shown]
	s_barrier
	v_xor_b32_e32 v21, 4, v13
	v_cmp_lt_i32_e32 vcc, v21, v24
	s_or_b32 s6, s2, 8
	s_mul_hi_i32 s7, s6, s11
	s_mul_i32 s6, s6, s11
	s_lshl_b64 s[6:7], s[6:7], 2
	s_add_u32 s6, s8, s6
	s_addc_u32 s7, s9, s7
	s_waitcnt vmcnt(0)
	v_fma_mix_f32 v74, s10, v25, v20 op_sel_hi:[0,0,1]
	v_add_f32_e32 v20, 0x40051340, v74
	v_max3_f32 v20, v54, v58, v20
	ds_bpermute_b32 v25, v59, v20
	global_load_dwordx4 v[56:59], v[26:27], off
	global_load_dwordx4 v[60:63], v[26:27], off offset:512
	v_cndmask_b32_e32 v26, v13, v21, vcc
	v_lshlrev_b32_e32 v26, 2, v26
	s_waitcnt lgkmcnt(0)
	v_max_f32_e32 v25, v25, v25
	v_max_f32_e32 v20, v20, v25
	ds_bpermute_b32 v25, v64, v20
	global_load_dwordx4 v[64:67], v[72:73], off
	global_load_dwordx4 v[68:71], v[72:73], off offset:512
	s_waitcnt lgkmcnt(0)
	v_max_f32_e32 v25, v25, v25
	v_max_f32_e32 v20, v20, v25
	ds_bpermute_b32 v26, v26, v20
	v_xor_b32_e32 v25, 2, v13
	v_cmp_lt_i32_e32 vcc, v25, v24
	s_waitcnt lgkmcnt(0)
	v_max_f32_e32 v26, v26, v26
	v_cndmask_b32_e32 v27, v13, v25, vcc
	v_lshlrev_b32_e32 v27, 2, v27
	v_max_f32_e32 v20, v20, v26
	ds_bpermute_b32 v27, v27, v20
	v_xor_b32_e32 v26, 1, v13
	v_cmp_lt_i32_e32 vcc, v26, v24
	s_waitcnt lgkmcnt(0)
	v_max_f32_e32 v27, v27, v27
	v_cndmask_b32_e32 v72, v13, v26, vcc
	v_lshlrev_b32_e32 v72, 2, v72
	v_max_f32_e32 v20, v20, v27
	ds_bpermute_b32 v27, v72, v20
	s_waitcnt lgkmcnt(0)
	v_max_f32_e32 v27, v27, v27
	v_max_f32_e32 v20, v20, v27
	v_sub_f32_e32 v27, v54, v20
	v_sub_f32_e32 v54, v55, v20
	;; [unrolled: 1-line block ×3, first 2 shown]
	v_mul_f32_e32 v72, 0x3fb8aa3b, v54
	v_mul_f32_e32 v73, 0x3fb8aa3b, v55
	v_fma_f32 v75, v54, s24, -v72
	v_rndne_f32_e32 v76, v72
	v_mul_f32_e32 v74, 0x3fb8aa3b, v27
	v_fma_f32 v77, v55, s24, -v73
	v_rndne_f32_e32 v78, v73
	v_fmac_f32_e32 v75, 0x32a5705f, v54
	v_sub_f32_e32 v72, v72, v76
	v_fma_f32 v79, v27, s24, -v74
	v_rndne_f32_e32 v80, v74
	v_fmac_f32_e32 v77, 0x32a5705f, v55
	v_sub_f32_e32 v73, v73, v78
	v_add_f32_e32 v72, v72, v75
	v_cvt_i32_f32_e32 v76, v76
	v_fmac_f32_e32 v79, 0x32a5705f, v27
	v_sub_f32_e32 v74, v74, v80
	v_add_f32_e32 v73, v73, v77
	v_exp_f32_e32 v72, v72
	v_cvt_i32_f32_e32 v78, v78
	v_add_f32_e32 v74, v74, v79
	v_exp_f32_e32 v73, v73
	v_cvt_i32_f32_e32 v80, v80
	v_exp_f32_e32 v74, v74
	v_ldexp_f32 v72, v72, v76
	v_cmp_ngt_f32_e32 vcc, s25, v54
	v_ldexp_f32 v73, v73, v78
	v_ldexp_f32 v74, v74, v80
	v_cndmask_b32_e32 v72, 0, v72, vcc
	v_cmp_ngt_f32_e32 vcc, s25, v55
	s_nop 1
	v_cndmask_b32_e32 v73, 0, v73, vcc
	v_cmp_ngt_f32_e32 vcc, s25, v27
	s_nop 1
	v_cndmask_b32_e32 v74, 0, v74, vcc
	v_cmp_nlt_f32_e32 vcc, s26, v54
	s_nop 1
	v_cndmask_b32_e32 v54, v44, v72, vcc
	v_cmp_nlt_f32_e32 vcc, s26, v55
	s_nop 1
	v_cndmask_b32_e32 v55, v44, v73, vcc
	v_cvt_f16_f32_e32 v73, v54
	v_cmp_nlt_f32_e32 vcc, s26, v27
	v_add_f32_e32 v27, v54, v55
	v_cvt_f16_f32_e32 v54, v55
	v_cndmask_b32_e32 v72, v44, v74, vcc
	v_cvt_f16_f32_e32 v74, v72
	v_fmac_f32_e32 v27, v53, v72
	ds_write_b16 v38, v73
	ds_write_b16 v38, v54 offset:64
	s_waitcnt vmcnt(3)
	ds_write_b128 v39, v[56:59]
	s_waitcnt vmcnt(2)
	ds_write_b128 v40, v[60:63]
	;; [unrolled: 2-line block ×4, first 2 shown]
	s_waitcnt lgkmcnt(0)
	s_barrier
	ds_read2_b64 v[54:57], v30 offset1:32
	ds_read2_b64 v[58:61], v30 offset0:64 offset1:96
	ds_read_b128 v[62:65], v37
	ds_read2_b64 v[66:69], v30 offset0:128 offset1:160
	ds_read2_b64 v[70:73], v30 offset0:192 offset1:224
	v_mul_u32_u24_e32 v53, 0x10001, v74
	v_pk_mul_f16 v52, v52, v53
	s_waitcnt lgkmcnt(2)
	v_mul_u32_u24_sdwa v74, v62, s34 dst_sel:DWORD dst_unused:UNUSED_PAD src0_sel:WORD_0 src1_sel:DWORD
	v_pk_mul_f16 v45, v45, v53
	v_pk_mul_f16 v54, v54, v74
	;; [unrolled: 1-line block ×6, first 2 shown]
	v_mul_u32_u24_sdwa v62, v62, s34 dst_sel:DWORD dst_unused:UNUSED_PAD src0_sel:WORD_1 src1_sel:DWORD
	v_pk_mul_f16 v55, v55, v74
	v_pk_fma_f16 v52, v57, v74, v52
	v_pk_fma_f16 v57, v61, v74, v45
	;; [unrolled: 1-line block ×8, first 2 shown]
	s_waitcnt lgkmcnt(1)
	v_pk_fma_f16 v54, v66, v62, v45
	v_add_u32_e32 v45, 0x800, v30
	v_pk_fma_f16 v55, v67, v62, v46
	s_waitcnt lgkmcnt(0)
	v_pk_fma_f16 v60, v70, v62, v48
	v_pk_fma_f16 v61, v71, v62, v47
	ds_read2_b64 v[46:49], v45 offset1:32
	v_pk_fma_f16 v58, v68, v62, v51
	v_pk_fma_f16 v59, v69, v62, v52
	;; [unrolled: 1-line block ×4, first 2 shown]
	v_mul_u32_u24_sdwa v62, v63, s34 dst_sel:DWORD dst_unused:UNUSED_PAD src0_sel:WORD_0 src1_sel:DWORD
	s_waitcnt lgkmcnt(0)
	v_pk_fma_f16 v54, v46, v62, v54
	v_pk_fma_f16 v55, v47, v62, v55
	;; [unrolled: 1-line block ×4, first 2 shown]
	ds_read2_b64 v[46:49], v45 offset0:128 offset1:160
	ds_read2_b64 v[50:53], v45 offset0:64 offset1:96
	v_mul_u32_u24_sdwa v63, v63, s34 dst_sel:DWORD dst_unused:UNUSED_PAD src0_sel:WORD_1 src1_sel:DWORD
	s_waitcnt lgkmcnt(1)
	v_pk_fma_f16 v111, v48, v63, v58
	v_pk_fma_f16 v112, v49, v63, v59
	v_lshl_add_u64 v[48:49], s[6:7], 0, v[16:17]
	v_pk_fma_f16 v109, v46, v63, v54
	v_pk_fma_f16 v110, v47, v63, v55
	v_add_u32_e32 v46, 0x1000, v30
	v_add_u32_e32 v47, 0x1800, v30
	v_lshl_add_u64 v[48:49], v[48:49], 0, v[0:1]
	s_waitcnt lgkmcnt(0)
	v_pk_fma_f16 v106, v50, v62, v60
	v_pk_fma_f16 v107, v51, v62, v61
	;; [unrolled: 1-line block ×4, first 2 shown]
	ds_read2_b64 v[50:53], v45 offset0:192 offset1:224
	ds_read2_b64 v[54:57], v46 offset1:32
	ds_read2_b64 v[58:61], v46 offset0:64 offset1:96
	ds_read2_b64 v[66:69], v46 offset0:128 offset1:160
	;; [unrolled: 1-line block ×3, first 2 shown]
	ds_read2_b64 v[74:77], v47 offset1:32
	ds_read2_b64 v[78:81], v47 offset0:64 offset1:96
	ds_read2_b64 v[82:85], v47 offset0:128 offset1:160
	;; [unrolled: 1-line block ×3, first 2 shown]
	s_waitcnt lgkmcnt(0)
	s_barrier
	global_load_dwordx4 v[90:93], v[48:49], off
	global_load_dwordx4 v[94:97], v[48:49], off offset:512
	v_lshl_add_u64 v[48:49], s[6:7], 0, v[18:19]
	v_lshl_add_u64 v[48:49], v[48:49], 0, v[0:1]
	global_load_dwordx4 v[98:101], v[48:49], off
	global_load_dwordx4 v[102:105], v[48:49], off offset:512
	v_pk_fma_f16 v48, v50, v63, v106
	v_pk_fma_f16 v49, v51, v63, v107
	;; [unrolled: 1-line block ×4, first 2 shown]
	v_mul_u32_u24_sdwa v52, v64, s34 dst_sel:DWORD dst_unused:UNUSED_PAD src0_sel:WORD_0 src1_sel:DWORD
	v_pk_fma_f16 v53, v54, v52, v109
	v_pk_fma_f16 v54, v55, v52, v110
	;; [unrolled: 1-line block ×8, first 2 shown]
	v_mul_u32_u24_sdwa v52, v64, s34 dst_sel:DWORD dst_unused:UNUSED_PAD src0_sel:WORD_1 src1_sel:DWORD
	v_pk_fma_f16 v53, v66, v52, v53
	v_pk_fma_f16 v54, v67, v52, v54
	;; [unrolled: 1-line block ×8, first 2 shown]
	v_mul_u32_u24_sdwa v52, v65, s34 dst_sel:DWORD dst_unused:UNUSED_PAD src0_sel:WORD_0 src1_sel:DWORD
	v_pk_fma_f16 v53, v74, v52, v53
	v_pk_fma_f16 v54, v75, v52, v54
	;; [unrolled: 1-line block ×5, first 2 shown]
	v_mul_u32_u24_sdwa v59, v65, s34 dst_sel:DWORD dst_unused:UNUSED_PAD src0_sel:WORD_1 src1_sel:DWORD
	v_pk_fma_f16 v56, v77, v52, v56
	v_pk_fma_f16 v57, v80, v52, v50
	;; [unrolled: 1-line block ×8, first 2 shown]
	s_waitcnt vmcnt(3)
	ds_write_b128 v39, v[90:93]
	s_waitcnt vmcnt(2)
	ds_write_b128 v40, v[94:97]
	;; [unrolled: 2-line block ×4, first 2 shown]
	s_waitcnt lgkmcnt(0)
	s_barrier
	ds_read_b128 v[48:51], v37 offset:16
	ds_read2_b64 v[52:55], v30 offset1:32
	v_pk_fma_f16 v63, v85, v59, v56
	v_pk_fma_f16 v66, v88, v59, v57
	v_pk_fma_f16 v67, v89, v59, v58
	ds_read2_b64 v[56:59], v30 offset0:64 offset1:96
	s_waitcnt lgkmcnt(2)
	v_mul_u32_u24_sdwa v68, v48, s34 dst_sel:DWORD dst_unused:UNUSED_PAD src0_sel:WORD_0 src1_sel:DWORD
	s_waitcnt lgkmcnt(1)
	v_pk_fma_f16 v60, v52, v68, v60
	v_pk_fma_f16 v61, v53, v68, v61
	;; [unrolled: 1-line block ×4, first 2 shown]
	ds_read2_b64 v[52:55], v30 offset0:128 offset1:160
	s_waitcnt lgkmcnt(1)
	v_pk_fma_f16 v64, v56, v68, v64
	v_pk_fma_f16 v65, v57, v68, v65
	;; [unrolled: 1-line block ×4, first 2 shown]
	ds_read2_b64 v[56:59], v30 offset0:192 offset1:224
	v_mul_u32_u24_sdwa v48, v48, s34 dst_sel:DWORD dst_unused:UNUSED_PAD src0_sel:WORD_1 src1_sel:DWORD
	s_waitcnt lgkmcnt(1)
	v_pk_fma_f16 v60, v52, v48, v60
	v_pk_fma_f16 v61, v53, v48, v61
	;; [unrolled: 1-line block ×4, first 2 shown]
	ds_read2_b64 v[52:55], v45 offset1:32
	s_waitcnt lgkmcnt(1)
	v_pk_fma_f16 v64, v56, v48, v64
	v_pk_fma_f16 v65, v57, v48, v65
	;; [unrolled: 1-line block ×4, first 2 shown]
	ds_read2_b64 v[56:59], v45 offset0:64 offset1:96
	s_or_b32 s6, s2, 16
	v_mul_u32_u24_sdwa v67, v49, s34 dst_sel:DWORD dst_unused:UNUSED_PAD src0_sel:WORD_0 src1_sel:DWORD
	s_mul_hi_i32 s7, s6, s11
	s_mul_i32 s6, s6, s11
	s_waitcnt lgkmcnt(1)
	v_pk_fma_f16 v60, v52, v67, v60
	v_pk_fma_f16 v61, v53, v67, v61
	;; [unrolled: 1-line block ×4, first 2 shown]
	ds_read2_b64 v[52:55], v45 offset0:128 offset1:160
	s_lshl_b64 s[6:7], s[6:7], 2
	s_add_u32 s6, s8, s6
	s_addc_u32 s7, s9, s7
	s_waitcnt lgkmcnt(1)
	v_pk_fma_f16 v107, v59, v67, v48
	v_mul_u32_u24_sdwa v108, v49, s34 dst_sel:DWORD dst_unused:UNUSED_PAD src0_sel:WORD_1 src1_sel:DWORD
	v_lshl_add_u64 v[48:49], s[6:7], 0, v[16:17]
	v_lshl_add_u64 v[48:49], v[48:49], 0, v[0:1]
	v_pk_fma_f16 v104, v56, v67, v64
	v_pk_fma_f16 v105, v57, v67, v65
	;; [unrolled: 1-line block ×3, first 2 shown]
	ds_read2_b64 v[56:59], v45 offset0:192 offset1:224
	s_waitcnt lgkmcnt(1)
	v_pk_fma_f16 v109, v52, v108, v60
	v_pk_fma_f16 v110, v53, v108, v61
	;; [unrolled: 1-line block ×4, first 2 shown]
	ds_read2_b64 v[52:55], v46 offset1:32
	ds_read2_b64 v[60:63], v46 offset0:64 offset1:96
	ds_read2_b64 v[64:67], v46 offset0:128 offset1:160
	;; [unrolled: 1-line block ×3, first 2 shown]
	ds_read2_b64 v[72:75], v47 offset1:32
	ds_read2_b64 v[76:79], v47 offset0:64 offset1:96
	ds_read2_b64 v[80:83], v47 offset0:128 offset1:160
	;; [unrolled: 1-line block ×3, first 2 shown]
	s_waitcnt lgkmcnt(0)
	s_barrier
	global_load_dwordx4 v[88:91], v[48:49], off
	global_load_dwordx4 v[92:95], v[48:49], off offset:512
	v_lshl_add_u64 v[48:49], s[6:7], 0, v[18:19]
	v_lshl_add_u64 v[48:49], v[48:49], 0, v[0:1]
	global_load_dwordx4 v[96:99], v[48:49], off
	global_load_dwordx4 v[100:103], v[48:49], off offset:512
	v_pk_fma_f16 v48, v56, v108, v104
	v_pk_fma_f16 v49, v57, v108, v105
	;; [unrolled: 1-line block ×4, first 2 shown]
	v_mul_u32_u24_sdwa v58, v50, s34 dst_sel:DWORD dst_unused:UNUSED_PAD src0_sel:WORD_0 src1_sel:DWORD
	v_pk_fma_f16 v52, v52, v58, v109
	v_pk_fma_f16 v53, v53, v58, v110
	;; [unrolled: 1-line block ×8, first 2 shown]
	v_mul_u32_u24_sdwa v50, v50, s34 dst_sel:DWORD dst_unused:UNUSED_PAD src0_sel:WORD_1 src1_sel:DWORD
	v_pk_fma_f16 v52, v64, v50, v52
	v_pk_fma_f16 v53, v65, v50, v53
	;; [unrolled: 1-line block ×8, first 2 shown]
	v_mul_u32_u24_sdwa v57, v51, s34 dst_sel:DWORD dst_unused:UNUSED_PAD src0_sel:WORD_0 src1_sel:DWORD
	v_pk_fma_f16 v52, v72, v57, v52
	v_pk_fma_f16 v53, v73, v57, v53
	;; [unrolled: 1-line block ×6, first 2 shown]
	v_mul_u32_u24_sdwa v58, v51, s34 dst_sel:DWORD dst_unused:UNUSED_PAD src0_sel:WORD_1 src1_sel:DWORD
	v_pk_fma_f16 v56, v78, v57, v56
	v_pk_fma_f16 v57, v79, v57, v50
	;; [unrolled: 1-line block ×8, first 2 shown]
	s_waitcnt vmcnt(3)
	ds_write_b128 v39, v[88:91]
	s_waitcnt vmcnt(2)
	ds_write_b128 v40, v[92:95]
	;; [unrolled: 2-line block ×4, first 2 shown]
	s_waitcnt lgkmcnt(0)
	s_barrier
	ds_read_b128 v[48:51], v37 offset:32
	ds_read2_b64 v[52:55], v30 offset1:32
	v_pk_fma_f16 v66, v86, v58, v56
	v_pk_fma_f16 v67, v87, v58, v57
	ds_read2_b64 v[56:59], v30 offset0:64 offset1:96
	s_waitcnt lgkmcnt(2)
	v_mul_u32_u24_sdwa v68, v48, s34 dst_sel:DWORD dst_unused:UNUSED_PAD src0_sel:WORD_0 src1_sel:DWORD
	s_waitcnt lgkmcnt(1)
	v_pk_fma_f16 v60, v52, v68, v60
	v_pk_fma_f16 v61, v53, v68, v61
	;; [unrolled: 1-line block ×4, first 2 shown]
	ds_read2_b64 v[52:55], v30 offset0:128 offset1:160
	s_waitcnt lgkmcnt(1)
	v_pk_fma_f16 v64, v56, v68, v64
	v_pk_fma_f16 v65, v57, v68, v65
	;; [unrolled: 1-line block ×4, first 2 shown]
	ds_read2_b64 v[56:59], v30 offset0:192 offset1:224
	v_mul_u32_u24_sdwa v48, v48, s34 dst_sel:DWORD dst_unused:UNUSED_PAD src0_sel:WORD_1 src1_sel:DWORD
	s_waitcnt lgkmcnt(1)
	v_pk_fma_f16 v60, v52, v48, v60
	v_pk_fma_f16 v61, v53, v48, v61
	v_pk_fma_f16 v62, v54, v48, v62
	v_pk_fma_f16 v63, v55, v48, v63
	ds_read2_b64 v[52:55], v45 offset1:32
	s_waitcnt lgkmcnt(1)
	v_pk_fma_f16 v64, v56, v48, v64
	v_pk_fma_f16 v65, v57, v48, v65
	;; [unrolled: 1-line block ×4, first 2 shown]
	ds_read2_b64 v[56:59], v45 offset0:64 offset1:96
	s_or_b32 s6, s2, 24
	v_mul_u32_u24_sdwa v67, v49, s34 dst_sel:DWORD dst_unused:UNUSED_PAD src0_sel:WORD_0 src1_sel:DWORD
	s_mul_hi_i32 s7, s6, s11
	s_mul_i32 s6, s6, s11
	s_waitcnt lgkmcnt(1)
	v_pk_fma_f16 v60, v52, v67, v60
	v_pk_fma_f16 v61, v53, v67, v61
	;; [unrolled: 1-line block ×4, first 2 shown]
	ds_read2_b64 v[52:55], v45 offset0:128 offset1:160
	s_lshl_b64 s[6:7], s[6:7], 2
	s_add_u32 s6, s8, s6
	s_addc_u32 s7, s9, s7
	s_waitcnt lgkmcnt(1)
	v_pk_fma_f16 v107, v59, v67, v48
	v_mul_u32_u24_sdwa v108, v49, s34 dst_sel:DWORD dst_unused:UNUSED_PAD src0_sel:WORD_1 src1_sel:DWORD
	v_lshl_add_u64 v[48:49], s[6:7], 0, v[16:17]
	v_lshl_add_u64 v[48:49], v[48:49], 0, v[0:1]
	v_pk_fma_f16 v104, v56, v67, v64
	v_pk_fma_f16 v105, v57, v67, v65
	;; [unrolled: 1-line block ×3, first 2 shown]
	ds_read2_b64 v[56:59], v45 offset0:192 offset1:224
	s_waitcnt lgkmcnt(1)
	v_pk_fma_f16 v109, v52, v108, v60
	v_pk_fma_f16 v110, v53, v108, v61
	;; [unrolled: 1-line block ×4, first 2 shown]
	ds_read2_b64 v[52:55], v46 offset1:32
	ds_read2_b64 v[60:63], v46 offset0:64 offset1:96
	ds_read2_b64 v[64:67], v46 offset0:128 offset1:160
	;; [unrolled: 1-line block ×3, first 2 shown]
	ds_read2_b64 v[72:75], v47 offset1:32
	ds_read2_b64 v[76:79], v47 offset0:64 offset1:96
	ds_read2_b64 v[80:83], v47 offset0:128 offset1:160
	;; [unrolled: 1-line block ×3, first 2 shown]
	s_waitcnt lgkmcnt(0)
	s_barrier
	global_load_dwordx4 v[88:91], v[48:49], off
	global_load_dwordx4 v[92:95], v[48:49], off offset:512
	v_lshl_add_u64 v[48:49], s[6:7], 0, v[18:19]
	v_lshl_add_u64 v[48:49], v[48:49], 0, v[0:1]
	global_load_dwordx4 v[96:99], v[48:49], off
	global_load_dwordx4 v[100:103], v[48:49], off offset:512
	v_pk_fma_f16 v48, v56, v108, v104
	v_pk_fma_f16 v49, v57, v108, v105
	;; [unrolled: 1-line block ×4, first 2 shown]
	v_mul_u32_u24_sdwa v58, v50, s34 dst_sel:DWORD dst_unused:UNUSED_PAD src0_sel:WORD_0 src1_sel:DWORD
	v_pk_fma_f16 v52, v52, v58, v109
	v_pk_fma_f16 v53, v53, v58, v110
	;; [unrolled: 1-line block ×8, first 2 shown]
	v_mul_u32_u24_sdwa v50, v50, s34 dst_sel:DWORD dst_unused:UNUSED_PAD src0_sel:WORD_1 src1_sel:DWORD
	v_pk_fma_f16 v52, v64, v50, v52
	v_pk_fma_f16 v53, v65, v50, v53
	;; [unrolled: 1-line block ×8, first 2 shown]
	v_mul_u32_u24_sdwa v57, v51, s34 dst_sel:DWORD dst_unused:UNUSED_PAD src0_sel:WORD_0 src1_sel:DWORD
	v_pk_fma_f16 v52, v72, v57, v52
	v_pk_fma_f16 v53, v73, v57, v53
	;; [unrolled: 1-line block ×6, first 2 shown]
	v_mul_u32_u24_sdwa v58, v51, s34 dst_sel:DWORD dst_unused:UNUSED_PAD src0_sel:WORD_1 src1_sel:DWORD
	v_pk_fma_f16 v56, v78, v57, v56
	v_pk_fma_f16 v57, v79, v57, v50
	;; [unrolled: 1-line block ×8, first 2 shown]
	s_waitcnt vmcnt(3)
	ds_write_b128 v39, v[88:91]
	s_waitcnt vmcnt(2)
	ds_write_b128 v40, v[92:95]
	;; [unrolled: 2-line block ×4, first 2 shown]
	s_waitcnt lgkmcnt(0)
	s_barrier
	ds_read_b128 v[48:51], v37 offset:48
	ds_read2_b64 v[52:55], v30 offset1:32
	v_pk_fma_f16 v66, v86, v58, v56
	v_pk_fma_f16 v67, v87, v58, v57
	ds_read2_b64 v[56:59], v30 offset0:64 offset1:96
	s_waitcnt lgkmcnt(2)
	v_mul_u32_u24_sdwa v68, v48, s34 dst_sel:DWORD dst_unused:UNUSED_PAD src0_sel:WORD_0 src1_sel:DWORD
	s_waitcnt lgkmcnt(1)
	v_pk_fma_f16 v60, v52, v68, v60
	v_pk_fma_f16 v61, v53, v68, v61
	;; [unrolled: 1-line block ×4, first 2 shown]
	ds_read2_b64 v[52:55], v30 offset0:128 offset1:160
	s_waitcnt lgkmcnt(1)
	v_pk_fma_f16 v64, v56, v68, v64
	v_pk_fma_f16 v65, v57, v68, v65
	;; [unrolled: 1-line block ×4, first 2 shown]
	ds_read2_b64 v[56:59], v30 offset0:192 offset1:224
	v_mul_u32_u24_sdwa v48, v48, s34 dst_sel:DWORD dst_unused:UNUSED_PAD src0_sel:WORD_1 src1_sel:DWORD
	s_waitcnt lgkmcnt(1)
	v_pk_fma_f16 v60, v52, v48, v60
	v_pk_fma_f16 v61, v53, v48, v61
	;; [unrolled: 1-line block ×4, first 2 shown]
	ds_read2_b64 v[52:55], v45 offset1:32
	s_waitcnt lgkmcnt(1)
	v_pk_fma_f16 v64, v56, v48, v64
	v_pk_fma_f16 v65, v57, v48, v65
	;; [unrolled: 1-line block ×4, first 2 shown]
	ds_read2_b64 v[56:59], v45 offset0:64 offset1:96
	s_or_b32 s6, s2, 32
	v_mul_u32_u24_sdwa v67, v49, s34 dst_sel:DWORD dst_unused:UNUSED_PAD src0_sel:WORD_0 src1_sel:DWORD
	s_mul_hi_i32 s7, s6, s11
	s_mul_i32 s6, s6, s11
	s_waitcnt lgkmcnt(1)
	v_pk_fma_f16 v60, v52, v67, v60
	v_pk_fma_f16 v61, v53, v67, v61
	;; [unrolled: 1-line block ×4, first 2 shown]
	ds_read2_b64 v[52:55], v45 offset0:128 offset1:160
	s_lshl_b64 s[6:7], s[6:7], 2
	s_add_u32 s6, s8, s6
	s_addc_u32 s7, s9, s7
	s_waitcnt lgkmcnt(1)
	v_pk_fma_f16 v107, v59, v67, v48
	v_mul_u32_u24_sdwa v108, v49, s34 dst_sel:DWORD dst_unused:UNUSED_PAD src0_sel:WORD_1 src1_sel:DWORD
	v_lshl_add_u64 v[48:49], s[6:7], 0, v[16:17]
	v_lshl_add_u64 v[48:49], v[48:49], 0, v[0:1]
	v_pk_fma_f16 v104, v56, v67, v64
	v_pk_fma_f16 v105, v57, v67, v65
	;; [unrolled: 1-line block ×3, first 2 shown]
	ds_read2_b64 v[56:59], v45 offset0:192 offset1:224
	s_waitcnt lgkmcnt(1)
	v_pk_fma_f16 v109, v52, v108, v60
	v_pk_fma_f16 v110, v53, v108, v61
	;; [unrolled: 1-line block ×4, first 2 shown]
	ds_read2_b64 v[52:55], v46 offset1:32
	ds_read2_b64 v[60:63], v46 offset0:64 offset1:96
	ds_read2_b64 v[64:67], v46 offset0:128 offset1:160
	;; [unrolled: 1-line block ×3, first 2 shown]
	ds_read2_b64 v[72:75], v47 offset1:32
	ds_read2_b64 v[76:79], v47 offset0:64 offset1:96
	ds_read2_b64 v[80:83], v47 offset0:128 offset1:160
	;; [unrolled: 1-line block ×3, first 2 shown]
	s_waitcnt lgkmcnt(0)
	s_barrier
	global_load_dwordx4 v[88:91], v[48:49], off
	global_load_dwordx4 v[92:95], v[48:49], off offset:512
	v_lshl_add_u64 v[48:49], s[6:7], 0, v[18:19]
	v_lshl_add_u64 v[48:49], v[48:49], 0, v[0:1]
	global_load_dwordx4 v[96:99], v[48:49], off
	global_load_dwordx4 v[100:103], v[48:49], off offset:512
	v_pk_fma_f16 v48, v56, v108, v104
	v_pk_fma_f16 v49, v57, v108, v105
	;; [unrolled: 1-line block ×4, first 2 shown]
	v_mul_u32_u24_sdwa v58, v50, s34 dst_sel:DWORD dst_unused:UNUSED_PAD src0_sel:WORD_0 src1_sel:DWORD
	v_pk_fma_f16 v52, v52, v58, v109
	v_pk_fma_f16 v53, v53, v58, v110
	;; [unrolled: 1-line block ×8, first 2 shown]
	v_mul_u32_u24_sdwa v50, v50, s34 dst_sel:DWORD dst_unused:UNUSED_PAD src0_sel:WORD_1 src1_sel:DWORD
	v_pk_fma_f16 v52, v64, v50, v52
	v_pk_fma_f16 v53, v65, v50, v53
	;; [unrolled: 1-line block ×8, first 2 shown]
	v_mul_u32_u24_sdwa v57, v51, s34 dst_sel:DWORD dst_unused:UNUSED_PAD src0_sel:WORD_0 src1_sel:DWORD
	v_pk_fma_f16 v52, v72, v57, v52
	v_pk_fma_f16 v53, v73, v57, v53
	;; [unrolled: 1-line block ×6, first 2 shown]
	v_mul_u32_u24_sdwa v58, v51, s34 dst_sel:DWORD dst_unused:UNUSED_PAD src0_sel:WORD_1 src1_sel:DWORD
	v_pk_fma_f16 v56, v78, v57, v56
	v_pk_fma_f16 v57, v79, v57, v50
	;; [unrolled: 1-line block ×8, first 2 shown]
	s_waitcnt vmcnt(3)
	ds_write_b128 v39, v[88:91]
	s_waitcnt vmcnt(2)
	ds_write_b128 v40, v[92:95]
	;; [unrolled: 2-line block ×4, first 2 shown]
	s_waitcnt lgkmcnt(0)
	s_barrier
	ds_read_b128 v[48:51], v37 offset:64
	ds_read2_b64 v[52:55], v30 offset1:32
	v_pk_fma_f16 v66, v86, v58, v56
	v_pk_fma_f16 v67, v87, v58, v57
	ds_read2_b64 v[56:59], v30 offset0:64 offset1:96
	s_waitcnt lgkmcnt(2)
	v_mul_u32_u24_sdwa v68, v48, s34 dst_sel:DWORD dst_unused:UNUSED_PAD src0_sel:WORD_0 src1_sel:DWORD
	s_waitcnt lgkmcnt(1)
	v_pk_fma_f16 v60, v52, v68, v60
	v_pk_fma_f16 v61, v53, v68, v61
	;; [unrolled: 1-line block ×4, first 2 shown]
	ds_read2_b64 v[52:55], v30 offset0:128 offset1:160
	s_waitcnt lgkmcnt(1)
	v_pk_fma_f16 v64, v56, v68, v64
	v_pk_fma_f16 v65, v57, v68, v65
	;; [unrolled: 1-line block ×4, first 2 shown]
	ds_read2_b64 v[56:59], v30 offset0:192 offset1:224
	v_mul_u32_u24_sdwa v48, v48, s34 dst_sel:DWORD dst_unused:UNUSED_PAD src0_sel:WORD_1 src1_sel:DWORD
	s_waitcnt lgkmcnt(1)
	v_pk_fma_f16 v60, v52, v48, v60
	v_pk_fma_f16 v61, v53, v48, v61
	;; [unrolled: 1-line block ×4, first 2 shown]
	ds_read2_b64 v[52:55], v45 offset1:32
	s_waitcnt lgkmcnt(1)
	v_pk_fma_f16 v64, v56, v48, v64
	v_pk_fma_f16 v65, v57, v48, v65
	;; [unrolled: 1-line block ×4, first 2 shown]
	ds_read2_b64 v[56:59], v45 offset0:64 offset1:96
	s_or_b32 s6, s2, 40
	v_mul_u32_u24_sdwa v67, v49, s34 dst_sel:DWORD dst_unused:UNUSED_PAD src0_sel:WORD_0 src1_sel:DWORD
	s_mul_hi_i32 s7, s6, s11
	s_mul_i32 s6, s6, s11
	s_waitcnt lgkmcnt(1)
	v_pk_fma_f16 v60, v52, v67, v60
	v_pk_fma_f16 v61, v53, v67, v61
	;; [unrolled: 1-line block ×4, first 2 shown]
	ds_read2_b64 v[52:55], v45 offset0:128 offset1:160
	s_lshl_b64 s[6:7], s[6:7], 2
	s_add_u32 s6, s8, s6
	s_addc_u32 s7, s9, s7
	s_waitcnt lgkmcnt(1)
	v_pk_fma_f16 v107, v59, v67, v48
	v_mul_u32_u24_sdwa v108, v49, s34 dst_sel:DWORD dst_unused:UNUSED_PAD src0_sel:WORD_1 src1_sel:DWORD
	v_lshl_add_u64 v[48:49], s[6:7], 0, v[16:17]
	v_lshl_add_u64 v[48:49], v[48:49], 0, v[0:1]
	v_pk_fma_f16 v104, v56, v67, v64
	v_pk_fma_f16 v105, v57, v67, v65
	;; [unrolled: 1-line block ×3, first 2 shown]
	ds_read2_b64 v[56:59], v45 offset0:192 offset1:224
	s_waitcnt lgkmcnt(1)
	v_pk_fma_f16 v109, v52, v108, v60
	v_pk_fma_f16 v110, v53, v108, v61
	;; [unrolled: 1-line block ×4, first 2 shown]
	ds_read2_b64 v[52:55], v46 offset1:32
	ds_read2_b64 v[60:63], v46 offset0:64 offset1:96
	ds_read2_b64 v[64:67], v46 offset0:128 offset1:160
	;; [unrolled: 1-line block ×3, first 2 shown]
	ds_read2_b64 v[72:75], v47 offset1:32
	ds_read2_b64 v[76:79], v47 offset0:64 offset1:96
	ds_read2_b64 v[80:83], v47 offset0:128 offset1:160
	;; [unrolled: 1-line block ×3, first 2 shown]
	s_waitcnt lgkmcnt(0)
	s_barrier
	global_load_dwordx4 v[88:91], v[48:49], off
	global_load_dwordx4 v[92:95], v[48:49], off offset:512
	v_lshl_add_u64 v[48:49], s[6:7], 0, v[18:19]
	v_lshl_add_u64 v[48:49], v[48:49], 0, v[0:1]
	global_load_dwordx4 v[96:99], v[48:49], off
	global_load_dwordx4 v[100:103], v[48:49], off offset:512
	v_pk_fma_f16 v48, v56, v108, v104
	v_pk_fma_f16 v49, v57, v108, v105
	;; [unrolled: 1-line block ×4, first 2 shown]
	v_mul_u32_u24_sdwa v58, v50, s34 dst_sel:DWORD dst_unused:UNUSED_PAD src0_sel:WORD_0 src1_sel:DWORD
	v_pk_fma_f16 v52, v52, v58, v109
	v_pk_fma_f16 v53, v53, v58, v110
	v_pk_fma_f16 v54, v54, v58, v111
	v_pk_fma_f16 v55, v55, v58, v112
	v_pk_fma_f16 v48, v60, v58, v48
	v_pk_fma_f16 v49, v61, v58, v49
	v_pk_fma_f16 v56, v62, v58, v56
	v_pk_fma_f16 v57, v63, v58, v57
	v_mul_u32_u24_sdwa v50, v50, s34 dst_sel:DWORD dst_unused:UNUSED_PAD src0_sel:WORD_1 src1_sel:DWORD
	v_pk_fma_f16 v52, v64, v50, v52
	v_pk_fma_f16 v53, v65, v50, v53
	;; [unrolled: 1-line block ×8, first 2 shown]
	v_mul_u32_u24_sdwa v57, v51, s34 dst_sel:DWORD dst_unused:UNUSED_PAD src0_sel:WORD_0 src1_sel:DWORD
	v_pk_fma_f16 v52, v72, v57, v52
	v_pk_fma_f16 v53, v73, v57, v53
	;; [unrolled: 1-line block ×6, first 2 shown]
	v_mul_u32_u24_sdwa v58, v51, s34 dst_sel:DWORD dst_unused:UNUSED_PAD src0_sel:WORD_1 src1_sel:DWORD
	v_pk_fma_f16 v56, v78, v57, v56
	v_pk_fma_f16 v57, v79, v57, v50
	;; [unrolled: 1-line block ×8, first 2 shown]
	s_waitcnt vmcnt(3)
	ds_write_b128 v39, v[88:91]
	s_waitcnt vmcnt(2)
	ds_write_b128 v40, v[92:95]
	;; [unrolled: 2-line block ×4, first 2 shown]
	s_waitcnt lgkmcnt(0)
	s_barrier
	ds_read_b128 v[48:51], v37 offset:80
	ds_read2_b64 v[52:55], v30 offset1:32
	v_pk_fma_f16 v66, v86, v58, v56
	v_pk_fma_f16 v67, v87, v58, v57
	ds_read2_b64 v[56:59], v30 offset0:64 offset1:96
	s_waitcnt lgkmcnt(2)
	v_mul_u32_u24_sdwa v68, v48, s34 dst_sel:DWORD dst_unused:UNUSED_PAD src0_sel:WORD_0 src1_sel:DWORD
	s_waitcnt lgkmcnt(1)
	v_pk_fma_f16 v60, v52, v68, v60
	v_pk_fma_f16 v61, v53, v68, v61
	;; [unrolled: 1-line block ×4, first 2 shown]
	ds_read2_b64 v[52:55], v30 offset0:128 offset1:160
	s_waitcnt lgkmcnt(1)
	v_pk_fma_f16 v64, v56, v68, v64
	v_pk_fma_f16 v65, v57, v68, v65
	;; [unrolled: 1-line block ×4, first 2 shown]
	ds_read2_b64 v[56:59], v30 offset0:192 offset1:224
	v_mul_u32_u24_sdwa v48, v48, s34 dst_sel:DWORD dst_unused:UNUSED_PAD src0_sel:WORD_1 src1_sel:DWORD
	s_waitcnt lgkmcnt(1)
	v_pk_fma_f16 v60, v52, v48, v60
	v_pk_fma_f16 v61, v53, v48, v61
	;; [unrolled: 1-line block ×4, first 2 shown]
	ds_read2_b64 v[52:55], v45 offset1:32
	s_waitcnt lgkmcnt(1)
	v_pk_fma_f16 v64, v56, v48, v64
	v_pk_fma_f16 v65, v57, v48, v65
	;; [unrolled: 1-line block ×4, first 2 shown]
	ds_read2_b64 v[56:59], v45 offset0:64 offset1:96
	s_or_b32 s6, s2, 48
	v_mul_u32_u24_sdwa v67, v49, s34 dst_sel:DWORD dst_unused:UNUSED_PAD src0_sel:WORD_0 src1_sel:DWORD
	s_mul_hi_i32 s7, s6, s11
	s_mul_i32 s6, s6, s11
	s_waitcnt lgkmcnt(1)
	v_pk_fma_f16 v60, v52, v67, v60
	v_pk_fma_f16 v61, v53, v67, v61
	;; [unrolled: 1-line block ×4, first 2 shown]
	ds_read2_b64 v[52:55], v45 offset0:128 offset1:160
	s_lshl_b64 s[6:7], s[6:7], 2
	s_add_u32 s6, s8, s6
	s_addc_u32 s7, s9, s7
	s_waitcnt lgkmcnt(1)
	v_pk_fma_f16 v107, v59, v67, v48
	v_mul_u32_u24_sdwa v108, v49, s34 dst_sel:DWORD dst_unused:UNUSED_PAD src0_sel:WORD_1 src1_sel:DWORD
	v_lshl_add_u64 v[48:49], s[6:7], 0, v[16:17]
	v_lshl_add_u64 v[48:49], v[48:49], 0, v[0:1]
	v_pk_fma_f16 v104, v56, v67, v64
	v_pk_fma_f16 v105, v57, v67, v65
	;; [unrolled: 1-line block ×3, first 2 shown]
	ds_read2_b64 v[56:59], v45 offset0:192 offset1:224
	s_waitcnt lgkmcnt(1)
	v_pk_fma_f16 v109, v52, v108, v60
	v_pk_fma_f16 v110, v53, v108, v61
	;; [unrolled: 1-line block ×4, first 2 shown]
	ds_read2_b64 v[52:55], v46 offset1:32
	ds_read2_b64 v[60:63], v46 offset0:64 offset1:96
	ds_read2_b64 v[64:67], v46 offset0:128 offset1:160
	;; [unrolled: 1-line block ×3, first 2 shown]
	ds_read2_b64 v[72:75], v47 offset1:32
	ds_read2_b64 v[76:79], v47 offset0:64 offset1:96
	ds_read2_b64 v[80:83], v47 offset0:128 offset1:160
	;; [unrolled: 1-line block ×3, first 2 shown]
	s_waitcnt lgkmcnt(0)
	s_barrier
	global_load_dwordx4 v[88:91], v[48:49], off
	global_load_dwordx4 v[92:95], v[48:49], off offset:512
	v_lshl_add_u64 v[48:49], s[6:7], 0, v[18:19]
	v_lshl_add_u64 v[48:49], v[48:49], 0, v[0:1]
	global_load_dwordx4 v[96:99], v[48:49], off
	global_load_dwordx4 v[100:103], v[48:49], off offset:512
	v_pk_fma_f16 v48, v56, v108, v104
	v_pk_fma_f16 v49, v57, v108, v105
	;; [unrolled: 1-line block ×4, first 2 shown]
	v_mul_u32_u24_sdwa v58, v50, s34 dst_sel:DWORD dst_unused:UNUSED_PAD src0_sel:WORD_0 src1_sel:DWORD
	v_pk_fma_f16 v52, v52, v58, v109
	v_pk_fma_f16 v53, v53, v58, v110
	;; [unrolled: 1-line block ×8, first 2 shown]
	v_mul_u32_u24_sdwa v50, v50, s34 dst_sel:DWORD dst_unused:UNUSED_PAD src0_sel:WORD_1 src1_sel:DWORD
	v_pk_fma_f16 v52, v64, v50, v52
	v_pk_fma_f16 v53, v65, v50, v53
	;; [unrolled: 1-line block ×8, first 2 shown]
	v_mul_u32_u24_sdwa v57, v51, s34 dst_sel:DWORD dst_unused:UNUSED_PAD src0_sel:WORD_0 src1_sel:DWORD
	v_pk_fma_f16 v52, v72, v57, v52
	v_pk_fma_f16 v53, v73, v57, v53
	;; [unrolled: 1-line block ×6, first 2 shown]
	v_mul_u32_u24_sdwa v58, v51, s34 dst_sel:DWORD dst_unused:UNUSED_PAD src0_sel:WORD_1 src1_sel:DWORD
	v_pk_fma_f16 v56, v78, v57, v56
	v_pk_fma_f16 v57, v79, v57, v50
	;; [unrolled: 1-line block ×8, first 2 shown]
	s_waitcnt vmcnt(3)
	ds_write_b128 v39, v[88:91]
	s_waitcnt vmcnt(2)
	ds_write_b128 v40, v[92:95]
	;; [unrolled: 2-line block ×4, first 2 shown]
	s_waitcnt lgkmcnt(0)
	s_barrier
	ds_read_b128 v[48:51], v37 offset:96
	ds_read2_b64 v[52:55], v30 offset1:32
	v_pk_fma_f16 v66, v86, v58, v56
	v_pk_fma_f16 v67, v87, v58, v57
	ds_read2_b64 v[56:59], v30 offset0:64 offset1:96
	s_waitcnt lgkmcnt(2)
	v_mul_u32_u24_sdwa v68, v48, s34 dst_sel:DWORD dst_unused:UNUSED_PAD src0_sel:WORD_0 src1_sel:DWORD
	s_waitcnt lgkmcnt(1)
	v_pk_fma_f16 v60, v52, v68, v60
	v_pk_fma_f16 v61, v53, v68, v61
	;; [unrolled: 1-line block ×4, first 2 shown]
	ds_read2_b64 v[52:55], v30 offset0:128 offset1:160
	s_waitcnt lgkmcnt(1)
	v_pk_fma_f16 v64, v56, v68, v64
	v_pk_fma_f16 v65, v57, v68, v65
	;; [unrolled: 1-line block ×4, first 2 shown]
	ds_read2_b64 v[56:59], v30 offset0:192 offset1:224
	v_mul_u32_u24_sdwa v48, v48, s34 dst_sel:DWORD dst_unused:UNUSED_PAD src0_sel:WORD_1 src1_sel:DWORD
	s_waitcnt lgkmcnt(1)
	v_pk_fma_f16 v60, v52, v48, v60
	v_pk_fma_f16 v61, v53, v48, v61
	;; [unrolled: 1-line block ×4, first 2 shown]
	ds_read2_b64 v[52:55], v45 offset1:32
	s_waitcnt lgkmcnt(1)
	v_pk_fma_f16 v64, v56, v48, v64
	v_pk_fma_f16 v65, v57, v48, v65
	;; [unrolled: 1-line block ×4, first 2 shown]
	ds_read2_b64 v[56:59], v45 offset0:64 offset1:96
	s_or_b32 s6, s2, 56
	v_mul_u32_u24_sdwa v67, v49, s34 dst_sel:DWORD dst_unused:UNUSED_PAD src0_sel:WORD_0 src1_sel:DWORD
	s_mul_hi_i32 s7, s6, s11
	s_mul_i32 s6, s6, s11
	s_waitcnt lgkmcnt(1)
	v_pk_fma_f16 v60, v52, v67, v60
	v_pk_fma_f16 v61, v53, v67, v61
	;; [unrolled: 1-line block ×4, first 2 shown]
	ds_read2_b64 v[52:55], v45 offset0:128 offset1:160
	s_lshl_b64 s[6:7], s[6:7], 2
	s_add_u32 s6, s8, s6
	s_addc_u32 s7, s9, s7
	s_waitcnt lgkmcnt(1)
	v_pk_fma_f16 v107, v59, v67, v48
	v_mul_u32_u24_sdwa v108, v49, s34 dst_sel:DWORD dst_unused:UNUSED_PAD src0_sel:WORD_1 src1_sel:DWORD
	v_lshl_add_u64 v[48:49], s[6:7], 0, v[16:17]
	v_lshl_add_u64 v[48:49], v[48:49], 0, v[0:1]
	v_pk_fma_f16 v104, v56, v67, v64
	v_pk_fma_f16 v105, v57, v67, v65
	;; [unrolled: 1-line block ×3, first 2 shown]
	ds_read2_b64 v[56:59], v45 offset0:192 offset1:224
	s_waitcnt lgkmcnt(1)
	v_pk_fma_f16 v109, v52, v108, v60
	v_pk_fma_f16 v110, v53, v108, v61
	;; [unrolled: 1-line block ×4, first 2 shown]
	ds_read2_b64 v[52:55], v46 offset1:32
	ds_read2_b64 v[60:63], v46 offset0:64 offset1:96
	ds_read2_b64 v[64:67], v46 offset0:128 offset1:160
	;; [unrolled: 1-line block ×3, first 2 shown]
	ds_read2_b64 v[72:75], v47 offset1:32
	ds_read2_b64 v[76:79], v47 offset0:64 offset1:96
	ds_read2_b64 v[80:83], v47 offset0:128 offset1:160
	;; [unrolled: 1-line block ×3, first 2 shown]
	s_waitcnt lgkmcnt(0)
	s_barrier
	global_load_dwordx4 v[88:91], v[48:49], off
	global_load_dwordx4 v[92:95], v[48:49], off offset:512
	v_lshl_add_u64 v[48:49], s[6:7], 0, v[18:19]
	v_lshl_add_u64 v[48:49], v[48:49], 0, v[0:1]
	global_load_dwordx4 v[96:99], v[48:49], off
	global_load_dwordx4 v[100:103], v[48:49], off offset:512
	v_pk_fma_f16 v48, v56, v108, v104
	v_pk_fma_f16 v49, v57, v108, v105
	;; [unrolled: 1-line block ×4, first 2 shown]
	v_mul_u32_u24_sdwa v58, v50, s34 dst_sel:DWORD dst_unused:UNUSED_PAD src0_sel:WORD_0 src1_sel:DWORD
	v_pk_fma_f16 v52, v52, v58, v109
	v_pk_fma_f16 v53, v53, v58, v110
	v_pk_fma_f16 v54, v54, v58, v111
	v_pk_fma_f16 v55, v55, v58, v112
	v_pk_fma_f16 v48, v60, v58, v48
	v_pk_fma_f16 v49, v61, v58, v49
	v_pk_fma_f16 v56, v62, v58, v56
	v_pk_fma_f16 v57, v63, v58, v57
	v_mul_u32_u24_sdwa v50, v50, s34 dst_sel:DWORD dst_unused:UNUSED_PAD src0_sel:WORD_1 src1_sel:DWORD
	v_pk_fma_f16 v52, v64, v50, v52
	v_pk_fma_f16 v53, v65, v50, v53
	;; [unrolled: 1-line block ×8, first 2 shown]
	v_mul_u32_u24_sdwa v57, v51, s34 dst_sel:DWORD dst_unused:UNUSED_PAD src0_sel:WORD_0 src1_sel:DWORD
	v_pk_fma_f16 v52, v72, v57, v52
	v_pk_fma_f16 v53, v73, v57, v53
	;; [unrolled: 1-line block ×8, first 2 shown]
	v_mul_u32_u24_sdwa v58, v51, s34 dst_sel:DWORD dst_unused:UNUSED_PAD src0_sel:WORD_1 src1_sel:DWORD
	v_pk_fma_f16 v60, v80, v58, v52
	v_pk_fma_f16 v61, v81, v58, v53
	;; [unrolled: 1-line block ×6, first 2 shown]
	s_waitcnt vmcnt(3)
	ds_write_b128 v39, v[88:91]
	s_waitcnt vmcnt(2)
	ds_write_b128 v40, v[92:95]
	;; [unrolled: 2-line block ×4, first 2 shown]
	s_waitcnt lgkmcnt(0)
	s_barrier
	ds_read_b128 v[48:51], v37 offset:112
	ds_read2_b64 v[52:55], v30 offset1:32
	v_pk_fma_f16 v66, v86, v58, v56
	v_pk_fma_f16 v67, v87, v58, v57
	ds_read2_b64 v[56:59], v30 offset0:64 offset1:96
	s_waitcnt lgkmcnt(2)
	v_mul_u32_u24_sdwa v68, v48, s34 dst_sel:DWORD dst_unused:UNUSED_PAD src0_sel:WORD_0 src1_sel:DWORD
	s_waitcnt lgkmcnt(1)
	v_pk_fma_f16 v60, v52, v68, v60
	v_pk_fma_f16 v61, v53, v68, v61
	v_pk_fma_f16 v62, v54, v68, v62
	v_pk_fma_f16 v63, v55, v68, v63
	s_waitcnt lgkmcnt(0)
	v_pk_fma_f16 v64, v56, v68, v64
	v_pk_fma_f16 v65, v57, v68, v65
	ds_read2_b64 v[52:55], v30 offset0:128 offset1:160
	v_pk_fma_f16 v66, v58, v68, v66
	v_pk_fma_f16 v67, v59, v68, v67
	ds_read2_b64 v[56:59], v30 offset0:192 offset1:224
	v_mul_u32_u24_sdwa v48, v48, s34 dst_sel:DWORD dst_unused:UNUSED_PAD src0_sel:WORD_1 src1_sel:DWORD
	s_waitcnt lgkmcnt(1)
	v_pk_fma_f16 v60, v52, v48, v60
	v_pk_fma_f16 v61, v53, v48, v61
	v_pk_fma_f16 v62, v54, v48, v62
	v_pk_fma_f16 v63, v55, v48, v63
	s_waitcnt lgkmcnt(0)
	v_pk_fma_f16 v64, v56, v48, v64
	v_pk_fma_f16 v65, v57, v48, v65
	ds_read2_b64 v[52:55], v45 offset1:32
	v_pk_fma_f16 v66, v58, v48, v66
	v_pk_fma_f16 v48, v59, v48, v67
	ds_read2_b64 v[56:59], v45 offset0:64 offset1:96
	v_mul_u32_u24_sdwa v67, v49, s34 dst_sel:DWORD dst_unused:UNUSED_PAD src0_sel:WORD_0 src1_sel:DWORD
	s_waitcnt lgkmcnt(1)
	v_pk_fma_f16 v60, v52, v67, v60
	v_pk_fma_f16 v61, v53, v67, v61
	v_pk_fma_f16 v62, v54, v67, v62
	v_pk_fma_f16 v63, v55, v67, v63
	s_waitcnt lgkmcnt(0)
	v_pk_fma_f16 v64, v56, v67, v64
	v_pk_fma_f16 v65, v57, v67, v65
	ds_read2_b64 v[52:55], v45 offset0:128 offset1:160
	v_pk_fma_f16 v66, v58, v67, v66
	v_pk_fma_f16 v48, v59, v67, v48
	ds_read2_b64 v[56:59], v45 offset0:192 offset1:224
	v_mul_u32_u24_sdwa v45, v49, s34 dst_sel:DWORD dst_unused:UNUSED_PAD src0_sel:WORD_1 src1_sel:DWORD
	s_waitcnt lgkmcnt(1)
	v_pk_fma_f16 v49, v52, v45, v60
	v_pk_fma_f16 v60, v53, v45, v61
	v_pk_fma_f16 v61, v54, v45, v62
	v_pk_fma_f16 v62, v55, v45, v63
	s_waitcnt lgkmcnt(0)
	v_pk_fma_f16 v63, v56, v45, v64
	v_pk_fma_f16 v64, v57, v45, v65
	ds_read2_b64 v[52:55], v46 offset1:32
	v_pk_fma_f16 v65, v58, v45, v66
	v_pk_fma_f16 v45, v59, v45, v48
	ds_read2_b64 v[56:59], v46 offset0:64 offset1:96
	;; [unrolled: 26-line block ×3, first 2 shown]
	v_mul_u32_u24_sdwa v46, v51, s34 dst_sel:DWORD dst_unused:UNUSED_PAD src0_sel:WORD_0 src1_sel:DWORD
	s_waitcnt lgkmcnt(1)
	v_pk_fma_f16 v48, v52, v46, v48
	v_pk_fma_f16 v49, v53, v46, v49
	;; [unrolled: 1-line block ×4, first 2 shown]
	s_waitcnt lgkmcnt(0)
	v_pk_fma_f16 v61, v56, v46, v61
	v_pk_fma_f16 v62, v57, v46, v62
	ds_read2_b64 v[52:55], v47 offset0:128 offset1:160
	v_pk_fma_f16 v63, v58, v46, v63
	v_pk_fma_f16 v45, v59, v46, v45
	ds_read2_b64 v[56:59], v47 offset0:192 offset1:224
	s_waitcnt lgkmcnt(0)
	s_barrier
	s_load_dword s6, s[4:5], 0x4
	v_mul_u32_u24_sdwa v65, v51, s34 dst_sel:DWORD dst_unused:UNUSED_PAD src0_sel:WORD_1 src1_sel:DWORD
	v_pk_fma_f16 v50, v52, v65, v48
	v_pk_fma_f16 v49, v53, v65, v49
	;; [unrolled: 1-line block ×3, first 2 shown]
	s_waitcnt lgkmcnt(0)
	s_lshl_b32 s6, s6, 6
	s_add_i32 s2, s6, s2
	v_pk_fma_f16 v52, v55, v65, v60
	v_pk_fma_f16 v48, v56, v65, v61
	;; [unrolled: 1-line block ×4, first 2 shown]
	s_cmp_ge_i32 s2, s28
	v_pk_fma_f16 v45, v59, v65, v45
	s_cbranch_scc1 .LBB32_7
; %bb.20:                               ;   in Loop: Header=BB32_11 Depth=1
	v_mov_b32_e32 v54, v20
	v_mov_b32_e32 v53, v27
	s_branch .LBB32_11
.LBB32_21:
	v_mov_b32_e32 v5, v21
.LBB32_22:
	s_load_dword s2, s[0:1], 0xd4
	v_div_scale_f32 v1, s[0:1], v5, v5, 1.0
	v_rcp_f32_e32 v4, v1
	s_mul_i32 s33, s33, s22
	s_waitcnt lgkmcnt(0)
	s_cmp_lg_u32 s2, 1
	s_cselect_b64 s[0:1], -1, 0
	v_fma_f32 v6, -v1, v4, 1.0
	v_fmac_f32_e32 v4, v6, v4
	v_div_scale_f32 v6, vcc, 1.0, v5, 1.0
	v_mul_f32_e32 v7, v6, v4
	v_fma_f32 v8, -v1, v7, v6
	v_fmac_f32_e32 v7, v8, v4
	v_fma_f32 v1, -v1, v7, v6
	v_div_fmas_f32 v1, v1, v4, v7
	v_div_fixup_f32 v1, v1, v5, 1.0
	v_cndmask_b32_e64 v6, v1, 1.0, s[0:1]
	v_add_u32_e32 v1, s33, v3
	v_mad_u64_u32 v[0:1], s[4:5], v1, s23, v[0:1]
	v_cmp_eq_u32_e32 vcc, 0, v2
	v_cvt_f32_f16_sdwa v3, v50 dst_sel:DWORD dst_unused:UNUSED_PAD src0_sel:WORD_1
	v_cvt_f32_f16_e32 v2, v50
	v_cvt_f32_f16_sdwa v5, v49 dst_sel:DWORD dst_unused:UNUSED_PAD src0_sel:WORD_1
	v_cvt_f32_f16_e32 v4, v49
	v_mul_lo_u32 v0, s2, v0
	v_add_u32_e32 v0, s3, v0
	v_lshl_add_u32 v8, v0, 9, v29
	v_mov_b32_e32 v9, 0
	v_lshl_add_u64 v[10:11], v[8:9], 2, s[16:17]
	v_pk_mul_f32 v[2:3], v[6:7], v[2:3] op_sel_hi:[0,1]
	v_pk_mul_f32 v[4:5], v[6:7], v[4:5] op_sel_hi:[0,1]
	global_store_dwordx4 v[10:11], v[2:5], off
	v_cvt_f32_f16_sdwa v11, v52 dst_sel:DWORD dst_unused:UNUSED_PAD src0_sel:WORD_1
	v_cvt_f32_f16_e32 v10, v52
	v_cvt_f32_f16_sdwa v5, v51 dst_sel:DWORD dst_unused:UNUSED_PAD src0_sel:WORD_1
	v_cvt_f32_f16_e32 v4, v51
	v_add_u32_e32 v2, 0x80, v8
	v_mov_b32_e32 v3, v9
	v_lshl_add_u64 v[12:13], v[2:3], 2, s[16:17]
	v_pk_mul_f32 v[2:3], v[6:7], v[4:5] op_sel_hi:[0,1]
	v_pk_mul_f32 v[4:5], v[6:7], v[10:11] op_sel_hi:[0,1]
	global_store_dwordx4 v[12:13], v[2:5], off
	v_cvt_f32_f16_sdwa v11, v47 dst_sel:DWORD dst_unused:UNUSED_PAD src0_sel:WORD_1
	v_cvt_f32_f16_e32 v10, v47
	v_cvt_f32_f16_sdwa v5, v48 dst_sel:DWORD dst_unused:UNUSED_PAD src0_sel:WORD_1
	v_cvt_f32_f16_e32 v4, v48
	v_add_u32_e32 v2, 0x100, v8
	v_mov_b32_e32 v3, v9
	v_lshl_add_u64 v[12:13], v[2:3], 2, s[16:17]
	v_pk_mul_f32 v[2:3], v[6:7], v[4:5] op_sel_hi:[0,1]
	v_pk_mul_f32 v[4:5], v[6:7], v[10:11] op_sel_hi:[0,1]
	global_store_dwordx4 v[12:13], v[2:5], off
	v_add_u32_e32 v8, 0x180, v8
	v_lshl_add_u64 v[8:9], v[8:9], 2, s[16:17]
	v_cvt_f32_f16_sdwa v3, v46 dst_sel:DWORD dst_unused:UNUSED_PAD src0_sel:WORD_1
	v_cvt_f32_f16_e32 v2, v46
	v_cvt_f32_f16_sdwa v5, v45 dst_sel:DWORD dst_unused:UNUSED_PAD src0_sel:WORD_1
	v_cvt_f32_f16_e32 v4, v45
	s_and_b64 s[0:1], vcc, s[0:1]
	v_pk_mul_f32 v[2:3], v[6:7], v[2:3] op_sel_hi:[0,1]
	v_pk_mul_f32 v[4:5], v[6:7], v[4:5] op_sel_hi:[0,1]
	global_store_dwordx4 v[8:9], v[2:5], off
	s_and_saveexec_b64 s[2:3], s[0:1]
	s_cbranch_execz .LBB32_24
; %bb.23:
	v_mov_b32_e32 v2, s18
	v_mov_b32_e32 v3, s19
	v_ashrrev_i32_e32 v1, 31, v0
	v_lshl_add_u64 v[0:1], v[0:1], 3, v[2:3]
	global_store_dwordx2 v[0:1], v[20:21], off
.LBB32_24:
	s_endpgm
	.section	.rodata,"a",@progbits
	.p2align	6, 0x0
	.amdhsa_kernel _ZL15flash_attn_tileILi512ELi512ELi1ELi4ELb1EEvPKcS1_S1_S1_S1_PKiPfP15HIP_vector_typeIfLj2EEffffjfiS5_IjLj3EEiiiiiiiiiiiliiliiiiil
		.amdhsa_group_segment_fixed_size 13824
		.amdhsa_private_segment_fixed_size 0
		.amdhsa_kernarg_size 464
		.amdhsa_user_sgpr_count 2
		.amdhsa_user_sgpr_dispatch_ptr 0
		.amdhsa_user_sgpr_queue_ptr 0
		.amdhsa_user_sgpr_kernarg_segment_ptr 1
		.amdhsa_user_sgpr_dispatch_id 0
		.amdhsa_user_sgpr_kernarg_preload_length 0
		.amdhsa_user_sgpr_kernarg_preload_offset 0
		.amdhsa_user_sgpr_private_segment_size 0
		.amdhsa_uses_dynamic_stack 0
		.amdhsa_enable_private_segment 0
		.amdhsa_system_sgpr_workgroup_id_x 1
		.amdhsa_system_sgpr_workgroup_id_y 1
		.amdhsa_system_sgpr_workgroup_id_z 1
		.amdhsa_system_sgpr_workgroup_info 0
		.amdhsa_system_vgpr_workitem_id 1
		.amdhsa_next_free_vgpr 113
		.amdhsa_next_free_sgpr 91
		.amdhsa_accum_offset 116
		.amdhsa_reserve_vcc 1
		.amdhsa_float_round_mode_32 0
		.amdhsa_float_round_mode_16_64 0
		.amdhsa_float_denorm_mode_32 3
		.amdhsa_float_denorm_mode_16_64 3
		.amdhsa_dx10_clamp 1
		.amdhsa_ieee_mode 1
		.amdhsa_fp16_overflow 0
		.amdhsa_tg_split 0
		.amdhsa_exception_fp_ieee_invalid_op 0
		.amdhsa_exception_fp_denorm_src 0
		.amdhsa_exception_fp_ieee_div_zero 0
		.amdhsa_exception_fp_ieee_overflow 0
		.amdhsa_exception_fp_ieee_underflow 0
		.amdhsa_exception_fp_ieee_inexact 0
		.amdhsa_exception_int_div_zero 0
	.end_amdhsa_kernel
	.section	.text._ZL15flash_attn_tileILi512ELi512ELi1ELi4ELb1EEvPKcS1_S1_S1_S1_PKiPfP15HIP_vector_typeIfLj2EEffffjfiS5_IjLj3EEiiiiiiiiiiiliiliiiiil,"axG",@progbits,_ZL15flash_attn_tileILi512ELi512ELi1ELi4ELb1EEvPKcS1_S1_S1_S1_PKiPfP15HIP_vector_typeIfLj2EEffffjfiS5_IjLj3EEiiiiiiiiiiiliiliiiiil,comdat
.Lfunc_end32:
	.size	_ZL15flash_attn_tileILi512ELi512ELi1ELi4ELb1EEvPKcS1_S1_S1_S1_PKiPfP15HIP_vector_typeIfLj2EEffffjfiS5_IjLj3EEiiiiiiiiiiiliiliiiiil, .Lfunc_end32-_ZL15flash_attn_tileILi512ELi512ELi1ELi4ELb1EEvPKcS1_S1_S1_S1_PKiPfP15HIP_vector_typeIfLj2EEffffjfiS5_IjLj3EEiiiiiiiiiiiliiliiiiil
                                        ; -- End function
	.set _ZL15flash_attn_tileILi512ELi512ELi1ELi4ELb1EEvPKcS1_S1_S1_S1_PKiPfP15HIP_vector_typeIfLj2EEffffjfiS5_IjLj3EEiiiiiiiiiiiliiliiiiil.num_vgpr, 113
	.set _ZL15flash_attn_tileILi512ELi512ELi1ELi4ELb1EEvPKcS1_S1_S1_S1_PKiPfP15HIP_vector_typeIfLj2EEffffjfiS5_IjLj3EEiiiiiiiiiiiliiliiiiil.num_agpr, 0
	.set _ZL15flash_attn_tileILi512ELi512ELi1ELi4ELb1EEvPKcS1_S1_S1_S1_PKiPfP15HIP_vector_typeIfLj2EEffffjfiS5_IjLj3EEiiiiiiiiiiiliiliiiiil.numbered_sgpr, 41
	.set _ZL15flash_attn_tileILi512ELi512ELi1ELi4ELb1EEvPKcS1_S1_S1_S1_PKiPfP15HIP_vector_typeIfLj2EEffffjfiS5_IjLj3EEiiiiiiiiiiiliiliiiiil.num_named_barrier, 0
	.set _ZL15flash_attn_tileILi512ELi512ELi1ELi4ELb1EEvPKcS1_S1_S1_S1_PKiPfP15HIP_vector_typeIfLj2EEffffjfiS5_IjLj3EEiiiiiiiiiiiliiliiiiil.private_seg_size, 0
	.set _ZL15flash_attn_tileILi512ELi512ELi1ELi4ELb1EEvPKcS1_S1_S1_S1_PKiPfP15HIP_vector_typeIfLj2EEffffjfiS5_IjLj3EEiiiiiiiiiiiliiliiiiil.uses_vcc, 1
	.set _ZL15flash_attn_tileILi512ELi512ELi1ELi4ELb1EEvPKcS1_S1_S1_S1_PKiPfP15HIP_vector_typeIfLj2EEffffjfiS5_IjLj3EEiiiiiiiiiiiliiliiiiil.uses_flat_scratch, 0
	.set _ZL15flash_attn_tileILi512ELi512ELi1ELi4ELb1EEvPKcS1_S1_S1_S1_PKiPfP15HIP_vector_typeIfLj2EEffffjfiS5_IjLj3EEiiiiiiiiiiiliiliiiiil.has_dyn_sized_stack, 0
	.set _ZL15flash_attn_tileILi512ELi512ELi1ELi4ELb1EEvPKcS1_S1_S1_S1_PKiPfP15HIP_vector_typeIfLj2EEffffjfiS5_IjLj3EEiiiiiiiiiiiliiliiiiil.has_recursion, 0
	.set _ZL15flash_attn_tileILi512ELi512ELi1ELi4ELb1EEvPKcS1_S1_S1_S1_PKiPfP15HIP_vector_typeIfLj2EEffffjfiS5_IjLj3EEiiiiiiiiiiiliiliiiiil.has_indirect_call, 0
	.section	.AMDGPU.csdata,"",@progbits
; Kernel info:
; codeLenInByte = 23612
; TotalNumSgprs: 47
; NumVgprs: 113
; NumAgprs: 0
; TotalNumVgprs: 113
; ScratchSize: 0
; MemoryBound: 0
; FloatMode: 240
; IeeeMode: 1
; LDSByteSize: 13824 bytes/workgroup (compile time only)
; SGPRBlocks: 12
; VGPRBlocks: 14
; NumSGPRsForWavesPerEU: 97
; NumVGPRsForWavesPerEU: 113
; AccumOffset: 116
; Occupancy: 4
; WaveLimiterHint : 1
; COMPUTE_PGM_RSRC2:SCRATCH_EN: 0
; COMPUTE_PGM_RSRC2:USER_SGPR: 2
; COMPUTE_PGM_RSRC2:TRAP_HANDLER: 0
; COMPUTE_PGM_RSRC2:TGID_X_EN: 1
; COMPUTE_PGM_RSRC2:TGID_Y_EN: 1
; COMPUTE_PGM_RSRC2:TGID_Z_EN: 1
; COMPUTE_PGM_RSRC2:TIDIG_COMP_CNT: 1
; COMPUTE_PGM_RSRC3_GFX90A:ACCUM_OFFSET: 28
; COMPUTE_PGM_RSRC3_GFX90A:TG_SPLIT: 0
	.section	.AMDGPU.gpr_maximums,"",@progbits
	.set amdgpu.max_num_vgpr, 0
	.set amdgpu.max_num_agpr, 0
	.set amdgpu.max_num_sgpr, 0
	.section	.AMDGPU.csdata,"",@progbits
	.type	__hip_cuid_4620da668e6ecde2,@object ; @__hip_cuid_4620da668e6ecde2
	.section	.bss,"aw",@nobits
	.globl	__hip_cuid_4620da668e6ecde2
__hip_cuid_4620da668e6ecde2:
	.byte	0                               ; 0x0
	.size	__hip_cuid_4620da668e6ecde2, 1

	.ident	"AMD clang version 22.0.0git (https://github.com/RadeonOpenCompute/llvm-project roc-7.2.4 26084 f58b06dce1f9c15707c5f808fd002e18c2accf7e)"
	.section	".note.GNU-stack","",@progbits
	.addrsig
	.addrsig_sym __hip_cuid_4620da668e6ecde2
	.amdgpu_metadata
---
amdhsa.kernels:
  - .agpr_count:     0
    .args:
      - .address_space:  global
        .offset:         0
        .size:           8
        .value_kind:     global_buffer
      - .address_space:  global
        .offset:         8
        .size:           8
        .value_kind:     global_buffer
      - .address_space:  global
        .offset:         16
        .size:           8
        .value_kind:     global_buffer
      - .address_space:  global
        .offset:         24
        .size:           8
        .value_kind:     global_buffer
      - .address_space:  global
        .offset:         32
        .size:           8
        .value_kind:     global_buffer
      - .address_space:  global
        .offset:         40
        .size:           8
        .value_kind:     global_buffer
      - .address_space:  global
        .offset:         48
        .size:           8
        .value_kind:     global_buffer
      - .address_space:  global
        .offset:         56
        .size:           8
        .value_kind:     global_buffer
      - .offset:         64
        .size:           4
        .value_kind:     by_value
      - .offset:         68
        .size:           4
        .value_kind:     by_value
      - .offset:         72
        .size:           4
        .value_kind:     by_value
      - .offset:         76
        .size:           4
        .value_kind:     by_value
      - .offset:         80
        .size:           4
        .value_kind:     by_value
      - .offset:         84
        .size:           4
        .value_kind:     by_value
      - .offset:         88
        .size:           4
        .value_kind:     by_value
      - .offset:         92
        .size:           12
        .value_kind:     by_value
      - .offset:         104
        .size:           4
        .value_kind:     by_value
      - .offset:         108
        .size:           4
        .value_kind:     by_value
      - .offset:         112
        .size:           4
        .value_kind:     by_value
      - .offset:         116
        .size:           4
        .value_kind:     by_value
      - .offset:         120
        .size:           4
        .value_kind:     by_value
      - .offset:         124
        .size:           4
        .value_kind:     by_value
      - .offset:         128
        .size:           4
        .value_kind:     by_value
      - .offset:         132
        .size:           4
        .value_kind:     by_value
      - .offset:         136
        .size:           4
        .value_kind:     by_value
      - .offset:         140
        .size:           4
        .value_kind:     by_value
      - .offset:         144
        .size:           4
        .value_kind:     by_value
      - .offset:         152
        .size:           8
        .value_kind:     by_value
      - .offset:         160
        .size:           4
        .value_kind:     by_value
      - .offset:         164
        .size:           4
        .value_kind:     by_value
      - .offset:         168
        .size:           8
        .value_kind:     by_value
      - .offset:         176
        .size:           4
        .value_kind:     by_value
      - .offset:         180
        .size:           4
        .value_kind:     by_value
      - .offset:         184
        .size:           4
        .value_kind:     by_value
      - .offset:         188
        .size:           4
        .value_kind:     by_value
      - .offset:         192
        .size:           4
        .value_kind:     by_value
      - .offset:         200
        .size:           8
        .value_kind:     by_value
      - .offset:         208
        .size:           4
        .value_kind:     hidden_block_count_x
      - .offset:         212
        .size:           4
        .value_kind:     hidden_block_count_y
      - .offset:         216
        .size:           4
        .value_kind:     hidden_block_count_z
      - .offset:         220
        .size:           2
        .value_kind:     hidden_group_size_x
      - .offset:         222
        .size:           2
        .value_kind:     hidden_group_size_y
      - .offset:         224
        .size:           2
        .value_kind:     hidden_group_size_z
      - .offset:         226
        .size:           2
        .value_kind:     hidden_remainder_x
      - .offset:         228
        .size:           2
        .value_kind:     hidden_remainder_y
      - .offset:         230
        .size:           2
        .value_kind:     hidden_remainder_z
      - .offset:         248
        .size:           8
        .value_kind:     hidden_global_offset_x
      - .offset:         256
        .size:           8
        .value_kind:     hidden_global_offset_y
      - .offset:         264
        .size:           8
        .value_kind:     hidden_global_offset_z
      - .offset:         272
        .size:           2
        .value_kind:     hidden_grid_dims
    .group_segment_fixed_size: 59392
    .kernarg_segment_align: 8
    .kernarg_segment_size: 464
    .language:       OpenCL C
    .language_version:
      - 2
      - 0
    .max_flat_workgroup_size: 512
    .name:           _ZL15flash_attn_tileILi512ELi512ELi4ELi8ELb0EEvPKcS1_S1_S1_S1_PKiPfP15HIP_vector_typeIfLj2EEffffjfiS5_IjLj3EEiiiiiiiiiiiliiliiiiil
    .private_segment_fixed_size: 0
    .sgpr_count:     46
    .sgpr_spill_count: 0
    .symbol:         _ZL15flash_attn_tileILi512ELi512ELi4ELi8ELb0EEvPKcS1_S1_S1_S1_PKiPfP15HIP_vector_typeIfLj2EEffffjfiS5_IjLj3EEiiiiiiiiiiiliiliiiiil.kd
    .uniform_work_group_size: 1
    .uses_dynamic_stack: false
    .vgpr_count:     94
    .vgpr_spill_count: 0
    .wavefront_size: 64
  - .agpr_count:     0
    .args:
      - .actual_access:  read_only
        .address_space:  global
        .offset:         0
        .size:           8
        .value_kind:     global_buffer
      - .actual_access:  write_only
        .address_space:  global
        .offset:         8
        .size:           8
        .value_kind:     global_buffer
      - .offset:         16
        .size:           4
        .value_kind:     by_value
      - .offset:         20
        .size:           4
        .value_kind:     by_value
      - .offset:         24
        .size:           4
        .value_kind:     by_value
      - .offset:         32
        .size:           4
        .value_kind:     hidden_block_count_x
      - .offset:         36
        .size:           4
        .value_kind:     hidden_block_count_y
      - .offset:         40
        .size:           4
        .value_kind:     hidden_block_count_z
      - .offset:         44
        .size:           2
        .value_kind:     hidden_group_size_x
      - .offset:         46
        .size:           2
        .value_kind:     hidden_group_size_y
      - .offset:         48
        .size:           2
        .value_kind:     hidden_group_size_z
      - .offset:         50
        .size:           2
        .value_kind:     hidden_remainder_x
      - .offset:         52
        .size:           2
        .value_kind:     hidden_remainder_y
      - .offset:         54
        .size:           2
        .value_kind:     hidden_remainder_z
      - .offset:         72
        .size:           8
        .value_kind:     hidden_global_offset_x
      - .offset:         80
        .size:           8
        .value_kind:     hidden_global_offset_y
      - .offset:         88
        .size:           8
        .value_kind:     hidden_global_offset_z
      - .offset:         96
        .size:           2
        .value_kind:     hidden_grid_dims
    .group_segment_fixed_size: 128
    .kernarg_segment_align: 8
    .kernarg_segment_size: 288
    .language:       OpenCL C
    .language_version:
      - 2
      - 0
    .max_flat_workgroup_size: 128
    .name:           _ZL25flash_attn_mask_to_KV_maxILi4EEvPK7__half2Piiii
    .private_segment_fixed_size: 0
    .sgpr_count:     36
    .sgpr_spill_count: 0
    .symbol:         _ZL25flash_attn_mask_to_KV_maxILi4EEvPK7__half2Piiii.kd
    .uniform_work_group_size: 1
    .uses_dynamic_stack: false
    .vgpr_count:     17
    .vgpr_spill_count: 0
    .wavefront_size: 64
  - .agpr_count:     0
    .args:
      - .address_space:  global
        .offset:         0
        .size:           8
        .value_kind:     global_buffer
      - .address_space:  global
        .offset:         8
        .size:           8
        .value_kind:     global_buffer
      - .offset:         16
        .size:           4
        .value_kind:     by_value
      - .offset:         20
        .size:           4
        .value_kind:     by_value
      - .offset:         24
        .size:           4
        .value_kind:     by_value
      - .offset:         28
        .size:           4
        .value_kind:     by_value
      - .offset:         32
        .size:           4
        .value_kind:     by_value
      - .offset:         36
        .size:           4
        .value_kind:     by_value
      - .offset:         40
        .size:           12
        .value_kind:     by_value
      - .offset:         52
        .size:           12
        .value_kind:     by_value
      - .offset:         64
        .size:           12
        .value_kind:     by_value
    .group_segment_fixed_size: 0
    .kernarg_segment_align: 8
    .kernarg_segment_size: 76
    .language:       OpenCL C
    .language_version:
      - 2
      - 0
    .max_flat_workgroup_size: 512
    .name:           _ZL33flash_attn_stream_k_fixup_uniformILi512ELi4ELi8EEvPfPK15HIP_vector_typeIfLj2EEiiiiiiS1_IjLj3EES5_S5_
    .private_segment_fixed_size: 0
    .sgpr_count:     30
    .sgpr_spill_count: 0
    .symbol:         _ZL33flash_attn_stream_k_fixup_uniformILi512ELi4ELi8EEvPfPK15HIP_vector_typeIfLj2EEiiiiiiS1_IjLj3EES5_S5_.kd
    .uniform_work_group_size: 1
    .uses_dynamic_stack: false
    .vgpr_count:     17
    .vgpr_spill_count: 0
    .wavefront_size: 64
  - .agpr_count:     0
    .args:
      - .address_space:  global
        .offset:         0
        .size:           8
        .value_kind:     global_buffer
      - .address_space:  global
        .offset:         8
        .size:           8
        .value_kind:     global_buffer
      - .offset:         16
        .size:           4
        .value_kind:     by_value
      - .offset:         20
        .size:           4
        .value_kind:     by_value
      - .offset:         24
        .size:           4
        .value_kind:     by_value
      - .offset:         28
        .size:           4
        .value_kind:     by_value
      - .offset:         32
        .size:           12
        .value_kind:     by_value
      - .offset:         44
        .size:           12
        .value_kind:     by_value
      - .offset:         56
        .size:           12
        .value_kind:     by_value
      - .offset:         68
        .size:           12
        .value_kind:     by_value
      - .offset:         80
        .size:           4
        .value_kind:     hidden_block_count_x
      - .offset:         84
        .size:           4
        .value_kind:     hidden_block_count_y
      - .offset:         88
        .size:           4
        .value_kind:     hidden_block_count_z
      - .offset:         92
        .size:           2
        .value_kind:     hidden_group_size_x
      - .offset:         94
        .size:           2
        .value_kind:     hidden_group_size_y
      - .offset:         96
        .size:           2
        .value_kind:     hidden_group_size_z
      - .offset:         98
        .size:           2
        .value_kind:     hidden_remainder_x
      - .offset:         100
        .size:           2
        .value_kind:     hidden_remainder_y
      - .offset:         102
        .size:           2
        .value_kind:     hidden_remainder_z
      - .offset:         120
        .size:           8
        .value_kind:     hidden_global_offset_x
      - .offset:         128
        .size:           8
        .value_kind:     hidden_global_offset_y
      - .offset:         136
        .size:           8
        .value_kind:     hidden_global_offset_z
      - .offset:         144
        .size:           2
        .value_kind:     hidden_grid_dims
    .group_segment_fixed_size: 0
    .kernarg_segment_align: 8
    .kernarg_segment_size: 336
    .language:       OpenCL C
    .language_version:
      - 2
      - 0
    .max_flat_workgroup_size: 512
    .name:           _ZL33flash_attn_stream_k_fixup_generalILi512ELi4ELi8EEvPfPK15HIP_vector_typeIfLj2EEiiiiS1_IjLj3EES5_S5_S5_
    .private_segment_fixed_size: 0
    .sgpr_count:     42
    .sgpr_spill_count: 0
    .symbol:         _ZL33flash_attn_stream_k_fixup_generalILi512ELi4ELi8EEvPfPK15HIP_vector_typeIfLj2EEiiiiS1_IjLj3EES5_S5_S5_.kd
    .uniform_work_group_size: 1
    .uses_dynamic_stack: false
    .vgpr_count:     18
    .vgpr_spill_count: 0
    .wavefront_size: 64
  - .agpr_count:     0
    .args:
      - .address_space:  global
        .offset:         0
        .size:           8
        .value_kind:     global_buffer
      - .address_space:  global
        .offset:         8
        .size:           8
        .value_kind:     global_buffer
      - .address_space:  global
        .offset:         16
        .size:           8
        .value_kind:     global_buffer
      - .offset:         24
        .size:           4
        .value_kind:     by_value
      - .offset:         32
        .size:           4
        .value_kind:     hidden_block_count_x
      - .offset:         36
        .size:           4
        .value_kind:     hidden_block_count_y
      - .offset:         40
        .size:           4
        .value_kind:     hidden_block_count_z
      - .offset:         44
        .size:           2
        .value_kind:     hidden_group_size_x
      - .offset:         46
        .size:           2
        .value_kind:     hidden_group_size_y
      - .offset:         48
        .size:           2
        .value_kind:     hidden_group_size_z
      - .offset:         50
        .size:           2
        .value_kind:     hidden_remainder_x
      - .offset:         52
        .size:           2
        .value_kind:     hidden_remainder_y
      - .offset:         54
        .size:           2
        .value_kind:     hidden_remainder_z
      - .offset:         72
        .size:           8
        .value_kind:     hidden_global_offset_x
      - .offset:         80
        .size:           8
        .value_kind:     hidden_global_offset_y
      - .offset:         88
        .size:           8
        .value_kind:     hidden_global_offset_z
      - .offset:         96
        .size:           2
        .value_kind:     hidden_grid_dims
      - .offset:         152
        .size:           4
        .value_kind:     hidden_dynamic_lds_size
    .group_segment_fixed_size: 0
    .kernarg_segment_align: 8
    .kernarg_segment_size: 288
    .language:       OpenCL C
    .language_version:
      - 2
      - 0
    .max_flat_workgroup_size: 512
    .name:           _ZL26flash_attn_combine_resultsILi512EEvPKfPK15HIP_vector_typeIfLj2EEPfi
    .private_segment_fixed_size: 0
    .sgpr_count:     32
    .sgpr_spill_count: 0
    .symbol:         _ZL26flash_attn_combine_resultsILi512EEvPKfPK15HIP_vector_typeIfLj2EEPfi.kd
    .uniform_work_group_size: 1
    .uses_dynamic_stack: false
    .vgpr_count:     59
    .vgpr_spill_count: 0
    .wavefront_size: 64
  - .agpr_count:     0
    .args:
      - .address_space:  global
        .offset:         0
        .size:           8
        .value_kind:     global_buffer
      - .address_space:  global
        .offset:         8
        .size:           8
        .value_kind:     global_buffer
      - .address_space:  global
        .offset:         16
        .size:           8
        .value_kind:     global_buffer
      - .address_space:  global
        .offset:         24
        .size:           8
        .value_kind:     global_buffer
      - .address_space:  global
        .offset:         32
        .size:           8
        .value_kind:     global_buffer
      - .address_space:  global
        .offset:         40
        .size:           8
        .value_kind:     global_buffer
      - .address_space:  global
        .offset:         48
        .size:           8
        .value_kind:     global_buffer
      - .address_space:  global
        .offset:         56
        .size:           8
        .value_kind:     global_buffer
      - .offset:         64
        .size:           4
        .value_kind:     by_value
      - .offset:         68
        .size:           4
        .value_kind:     by_value
      - .offset:         72
        .size:           4
        .value_kind:     by_value
      - .offset:         76
        .size:           4
        .value_kind:     by_value
      - .offset:         80
        .size:           4
        .value_kind:     by_value
      - .offset:         84
        .size:           4
        .value_kind:     by_value
      - .offset:         88
        .size:           4
        .value_kind:     by_value
      - .offset:         92
        .size:           12
        .value_kind:     by_value
      - .offset:         104
        .size:           4
        .value_kind:     by_value
      - .offset:         108
        .size:           4
        .value_kind:     by_value
      - .offset:         112
        .size:           4
        .value_kind:     by_value
      - .offset:         116
        .size:           4
        .value_kind:     by_value
      - .offset:         120
        .size:           4
        .value_kind:     by_value
      - .offset:         124
        .size:           4
        .value_kind:     by_value
      - .offset:         128
        .size:           4
        .value_kind:     by_value
      - .offset:         132
        .size:           4
        .value_kind:     by_value
      - .offset:         136
        .size:           4
        .value_kind:     by_value
      - .offset:         140
        .size:           4
        .value_kind:     by_value
      - .offset:         144
        .size:           4
        .value_kind:     by_value
      - .offset:         152
        .size:           8
        .value_kind:     by_value
      - .offset:         160
        .size:           4
        .value_kind:     by_value
      - .offset:         164
        .size:           4
        .value_kind:     by_value
      - .offset:         168
        .size:           8
        .value_kind:     by_value
      - .offset:         176
        .size:           4
        .value_kind:     by_value
      - .offset:         180
        .size:           4
        .value_kind:     by_value
      - .offset:         184
        .size:           4
        .value_kind:     by_value
      - .offset:         188
        .size:           4
        .value_kind:     by_value
      - .offset:         192
        .size:           4
        .value_kind:     by_value
      - .offset:         200
        .size:           8
        .value_kind:     by_value
      - .offset:         208
        .size:           4
        .value_kind:     hidden_block_count_x
      - .offset:         212
        .size:           4
        .value_kind:     hidden_block_count_y
      - .offset:         216
        .size:           4
        .value_kind:     hidden_block_count_z
      - .offset:         220
        .size:           2
        .value_kind:     hidden_group_size_x
      - .offset:         222
        .size:           2
        .value_kind:     hidden_group_size_y
      - .offset:         224
        .size:           2
        .value_kind:     hidden_group_size_z
      - .offset:         226
        .size:           2
        .value_kind:     hidden_remainder_x
      - .offset:         228
        .size:           2
        .value_kind:     hidden_remainder_y
      - .offset:         230
        .size:           2
        .value_kind:     hidden_remainder_z
      - .offset:         248
        .size:           8
        .value_kind:     hidden_global_offset_x
      - .offset:         256
        .size:           8
        .value_kind:     hidden_global_offset_y
      - .offset:         264
        .size:           8
        .value_kind:     hidden_global_offset_z
      - .offset:         272
        .size:           2
        .value_kind:     hidden_grid_dims
    .group_segment_fixed_size: 27648
    .kernarg_segment_align: 8
    .kernarg_segment_size: 464
    .language:       OpenCL C
    .language_version:
      - 2
      - 0
    .max_flat_workgroup_size: 256
    .name:           _ZL15flash_attn_tileILi512ELi512ELi2ELi8ELb0EEvPKcS1_S1_S1_S1_PKiPfP15HIP_vector_typeIfLj2EEffffjfiS5_IjLj3EEiiiiiiiiiiiliiliiiiil
    .private_segment_fixed_size: 0
    .sgpr_count:     58
    .sgpr_spill_count: 0
    .symbol:         _ZL15flash_attn_tileILi512ELi512ELi2ELi8ELb0EEvPKcS1_S1_S1_S1_PKiPfP15HIP_vector_typeIfLj2EEffffjfiS5_IjLj3EEiiiiiiiiiiiliiliiiiil.kd
    .uniform_work_group_size: 1
    .uses_dynamic_stack: false
    .vgpr_count:     93
    .vgpr_spill_count: 0
    .wavefront_size: 64
  - .agpr_count:     0
    .args:
      - .actual_access:  read_only
        .address_space:  global
        .offset:         0
        .size:           8
        .value_kind:     global_buffer
      - .actual_access:  write_only
        .address_space:  global
        .offset:         8
        .size:           8
        .value_kind:     global_buffer
      - .offset:         16
        .size:           4
        .value_kind:     by_value
      - .offset:         20
        .size:           4
        .value_kind:     by_value
      - .offset:         24
        .size:           4
        .value_kind:     by_value
      - .offset:         32
        .size:           4
        .value_kind:     hidden_block_count_x
      - .offset:         36
        .size:           4
        .value_kind:     hidden_block_count_y
      - .offset:         40
        .size:           4
        .value_kind:     hidden_block_count_z
      - .offset:         44
        .size:           2
        .value_kind:     hidden_group_size_x
      - .offset:         46
        .size:           2
        .value_kind:     hidden_group_size_y
      - .offset:         48
        .size:           2
        .value_kind:     hidden_group_size_z
      - .offset:         50
        .size:           2
        .value_kind:     hidden_remainder_x
      - .offset:         52
        .size:           2
        .value_kind:     hidden_remainder_y
      - .offset:         54
        .size:           2
        .value_kind:     hidden_remainder_z
      - .offset:         72
        .size:           8
        .value_kind:     hidden_global_offset_x
      - .offset:         80
        .size:           8
        .value_kind:     hidden_global_offset_y
      - .offset:         88
        .size:           8
        .value_kind:     hidden_global_offset_z
      - .offset:         96
        .size:           2
        .value_kind:     hidden_grid_dims
    .group_segment_fixed_size: 128
    .kernarg_segment_align: 8
    .kernarg_segment_size: 288
    .language:       OpenCL C
    .language_version:
      - 2
      - 0
    .max_flat_workgroup_size: 128
    .name:           _ZL25flash_attn_mask_to_KV_maxILi2EEvPK7__half2Piiii
    .private_segment_fixed_size: 0
    .sgpr_count:     28
    .sgpr_spill_count: 0
    .symbol:         _ZL25flash_attn_mask_to_KV_maxILi2EEvPK7__half2Piiii.kd
    .uniform_work_group_size: 1
    .uses_dynamic_stack: false
    .vgpr_count:     17
    .vgpr_spill_count: 0
    .wavefront_size: 64
  - .agpr_count:     0
    .args:
      - .address_space:  global
        .offset:         0
        .size:           8
        .value_kind:     global_buffer
      - .address_space:  global
        .offset:         8
        .size:           8
        .value_kind:     global_buffer
      - .offset:         16
        .size:           4
        .value_kind:     by_value
      - .offset:         20
        .size:           4
        .value_kind:     by_value
      - .offset:         24
        .size:           4
        .value_kind:     by_value
      - .offset:         28
        .size:           4
        .value_kind:     by_value
      - .offset:         32
        .size:           4
        .value_kind:     by_value
      - .offset:         36
        .size:           4
        .value_kind:     by_value
      - .offset:         40
        .size:           12
        .value_kind:     by_value
      - .offset:         52
        .size:           12
        .value_kind:     by_value
      - .offset:         64
        .size:           12
        .value_kind:     by_value
    .group_segment_fixed_size: 0
    .kernarg_segment_align: 8
    .kernarg_segment_size: 76
    .language:       OpenCL C
    .language_version:
      - 2
      - 0
    .max_flat_workgroup_size: 512
    .name:           _ZL33flash_attn_stream_k_fixup_uniformILi512ELi2ELi8EEvPfPK15HIP_vector_typeIfLj2EEiiiiiiS1_IjLj3EES5_S5_
    .private_segment_fixed_size: 0
    .sgpr_count:     30
    .sgpr_spill_count: 0
    .symbol:         _ZL33flash_attn_stream_k_fixup_uniformILi512ELi2ELi8EEvPfPK15HIP_vector_typeIfLj2EEiiiiiiS1_IjLj3EES5_S5_.kd
    .uniform_work_group_size: 1
    .uses_dynamic_stack: false
    .vgpr_count:     17
    .vgpr_spill_count: 0
    .wavefront_size: 64
  - .agpr_count:     0
    .args:
      - .address_space:  global
        .offset:         0
        .size:           8
        .value_kind:     global_buffer
      - .address_space:  global
        .offset:         8
        .size:           8
        .value_kind:     global_buffer
      - .offset:         16
        .size:           4
        .value_kind:     by_value
      - .offset:         20
        .size:           4
        .value_kind:     by_value
      - .offset:         24
        .size:           4
        .value_kind:     by_value
      - .offset:         28
        .size:           4
        .value_kind:     by_value
      - .offset:         32
        .size:           12
        .value_kind:     by_value
      - .offset:         44
        .size:           12
        .value_kind:     by_value
      - .offset:         56
        .size:           12
        .value_kind:     by_value
      - .offset:         68
        .size:           12
        .value_kind:     by_value
      - .offset:         80
        .size:           4
        .value_kind:     hidden_block_count_x
      - .offset:         84
        .size:           4
        .value_kind:     hidden_block_count_y
      - .offset:         88
        .size:           4
        .value_kind:     hidden_block_count_z
      - .offset:         92
        .size:           2
        .value_kind:     hidden_group_size_x
      - .offset:         94
        .size:           2
        .value_kind:     hidden_group_size_y
      - .offset:         96
        .size:           2
        .value_kind:     hidden_group_size_z
      - .offset:         98
        .size:           2
        .value_kind:     hidden_remainder_x
      - .offset:         100
        .size:           2
        .value_kind:     hidden_remainder_y
      - .offset:         102
        .size:           2
        .value_kind:     hidden_remainder_z
      - .offset:         120
        .size:           8
        .value_kind:     hidden_global_offset_x
      - .offset:         128
        .size:           8
        .value_kind:     hidden_global_offset_y
      - .offset:         136
        .size:           8
        .value_kind:     hidden_global_offset_z
      - .offset:         144
        .size:           2
        .value_kind:     hidden_grid_dims
    .group_segment_fixed_size: 0
    .kernarg_segment_align: 8
    .kernarg_segment_size: 336
    .language:       OpenCL C
    .language_version:
      - 2
      - 0
    .max_flat_workgroup_size: 512
    .name:           _ZL33flash_attn_stream_k_fixup_generalILi512ELi2ELi8EEvPfPK15HIP_vector_typeIfLj2EEiiiiS1_IjLj3EES5_S5_S5_
    .private_segment_fixed_size: 0
    .sgpr_count:     42
    .sgpr_spill_count: 0
    .symbol:         _ZL33flash_attn_stream_k_fixup_generalILi512ELi2ELi8EEvPfPK15HIP_vector_typeIfLj2EEiiiiS1_IjLj3EES5_S5_S5_.kd
    .uniform_work_group_size: 1
    .uses_dynamic_stack: false
    .vgpr_count:     18
    .vgpr_spill_count: 0
    .wavefront_size: 64
  - .agpr_count:     0
    .args:
      - .address_space:  global
        .offset:         0
        .size:           8
        .value_kind:     global_buffer
      - .address_space:  global
        .offset:         8
        .size:           8
        .value_kind:     global_buffer
      - .address_space:  global
        .offset:         16
        .size:           8
        .value_kind:     global_buffer
      - .address_space:  global
        .offset:         24
        .size:           8
        .value_kind:     global_buffer
      - .address_space:  global
        .offset:         32
        .size:           8
        .value_kind:     global_buffer
      - .address_space:  global
        .offset:         40
        .size:           8
        .value_kind:     global_buffer
      - .address_space:  global
        .offset:         48
        .size:           8
        .value_kind:     global_buffer
      - .address_space:  global
        .offset:         56
        .size:           8
        .value_kind:     global_buffer
      - .offset:         64
        .size:           4
        .value_kind:     by_value
      - .offset:         68
        .size:           4
        .value_kind:     by_value
      - .offset:         72
        .size:           4
        .value_kind:     by_value
      - .offset:         76
        .size:           4
        .value_kind:     by_value
      - .offset:         80
        .size:           4
        .value_kind:     by_value
      - .offset:         84
        .size:           4
        .value_kind:     by_value
      - .offset:         88
        .size:           4
        .value_kind:     by_value
      - .offset:         92
        .size:           12
        .value_kind:     by_value
      - .offset:         104
        .size:           4
        .value_kind:     by_value
      - .offset:         108
        .size:           4
        .value_kind:     by_value
      - .offset:         112
        .size:           4
        .value_kind:     by_value
      - .offset:         116
        .size:           4
        .value_kind:     by_value
      - .offset:         120
        .size:           4
        .value_kind:     by_value
      - .offset:         124
        .size:           4
        .value_kind:     by_value
      - .offset:         128
        .size:           4
        .value_kind:     by_value
      - .offset:         132
        .size:           4
        .value_kind:     by_value
      - .offset:         136
        .size:           4
        .value_kind:     by_value
      - .offset:         140
        .size:           4
        .value_kind:     by_value
      - .offset:         144
        .size:           4
        .value_kind:     by_value
      - .offset:         152
        .size:           8
        .value_kind:     by_value
      - .offset:         160
        .size:           4
        .value_kind:     by_value
      - .offset:         164
        .size:           4
        .value_kind:     by_value
      - .offset:         168
        .size:           8
        .value_kind:     by_value
      - .offset:         176
        .size:           4
        .value_kind:     by_value
      - .offset:         180
        .size:           4
        .value_kind:     by_value
      - .offset:         184
        .size:           4
        .value_kind:     by_value
      - .offset:         188
        .size:           4
        .value_kind:     by_value
      - .offset:         192
        .size:           4
        .value_kind:     by_value
      - .offset:         200
        .size:           8
        .value_kind:     by_value
      - .offset:         208
        .size:           4
        .value_kind:     hidden_block_count_x
      - .offset:         212
        .size:           4
        .value_kind:     hidden_block_count_y
      - .offset:         216
        .size:           4
        .value_kind:     hidden_block_count_z
      - .offset:         220
        .size:           2
        .value_kind:     hidden_group_size_x
      - .offset:         222
        .size:           2
        .value_kind:     hidden_group_size_y
      - .offset:         224
        .size:           2
        .value_kind:     hidden_group_size_z
      - .offset:         226
        .size:           2
        .value_kind:     hidden_remainder_x
      - .offset:         228
        .size:           2
        .value_kind:     hidden_remainder_y
      - .offset:         230
        .size:           2
        .value_kind:     hidden_remainder_z
      - .offset:         248
        .size:           8
        .value_kind:     hidden_global_offset_x
      - .offset:         256
        .size:           8
        .value_kind:     hidden_global_offset_y
      - .offset:         264
        .size:           8
        .value_kind:     hidden_global_offset_z
      - .offset:         272
        .size:           2
        .value_kind:     hidden_grid_dims
    .group_segment_fixed_size: 18432
    .kernarg_segment_align: 8
    .kernarg_segment_size: 464
    .language:       OpenCL C
    .language_version:
      - 2
      - 0
    .max_flat_workgroup_size: 256
    .name:           _ZL15flash_attn_tileILi512ELi512ELi1ELi8ELb0EEvPKcS1_S1_S1_S1_PKiPfP15HIP_vector_typeIfLj2EEffffjfiS5_IjLj3EEiiiiiiiiiiiliiliiiiil
    .private_segment_fixed_size: 0
    .sgpr_count:     53
    .sgpr_spill_count: 0
    .symbol:         _ZL15flash_attn_tileILi512ELi512ELi1ELi8ELb0EEvPKcS1_S1_S1_S1_PKiPfP15HIP_vector_typeIfLj2EEffffjfiS5_IjLj3EEiiiiiiiiiiiliiliiiiil.kd
    .uniform_work_group_size: 1
    .uses_dynamic_stack: false
    .vgpr_count:     68
    .vgpr_spill_count: 0
    .wavefront_size: 64
  - .agpr_count:     0
    .args:
      - .actual_access:  read_only
        .address_space:  global
        .offset:         0
        .size:           8
        .value_kind:     global_buffer
      - .actual_access:  write_only
        .address_space:  global
        .offset:         8
        .size:           8
        .value_kind:     global_buffer
      - .offset:         16
        .size:           4
        .value_kind:     by_value
      - .offset:         20
        .size:           4
        .value_kind:     by_value
      - .offset:         24
        .size:           4
        .value_kind:     by_value
      - .offset:         32
        .size:           4
        .value_kind:     hidden_block_count_x
      - .offset:         36
        .size:           4
        .value_kind:     hidden_block_count_y
      - .offset:         40
        .size:           4
        .value_kind:     hidden_block_count_z
      - .offset:         44
        .size:           2
        .value_kind:     hidden_group_size_x
      - .offset:         46
        .size:           2
        .value_kind:     hidden_group_size_y
      - .offset:         48
        .size:           2
        .value_kind:     hidden_group_size_z
      - .offset:         50
        .size:           2
        .value_kind:     hidden_remainder_x
      - .offset:         52
        .size:           2
        .value_kind:     hidden_remainder_y
      - .offset:         54
        .size:           2
        .value_kind:     hidden_remainder_z
      - .offset:         72
        .size:           8
        .value_kind:     hidden_global_offset_x
      - .offset:         80
        .size:           8
        .value_kind:     hidden_global_offset_y
      - .offset:         88
        .size:           8
        .value_kind:     hidden_global_offset_z
      - .offset:         96
        .size:           2
        .value_kind:     hidden_grid_dims
    .group_segment_fixed_size: 128
    .kernarg_segment_align: 8
    .kernarg_segment_size: 288
    .language:       OpenCL C
    .language_version:
      - 2
      - 0
    .max_flat_workgroup_size: 128
    .name:           _ZL25flash_attn_mask_to_KV_maxILi1EEvPK7__half2Piiii
    .private_segment_fixed_size: 0
    .sgpr_count:     26
    .sgpr_spill_count: 0
    .symbol:         _ZL25flash_attn_mask_to_KV_maxILi1EEvPK7__half2Piiii.kd
    .uniform_work_group_size: 1
    .uses_dynamic_stack: false
    .vgpr_count:     17
    .vgpr_spill_count: 0
    .wavefront_size: 64
  - .agpr_count:     0
    .args:
      - .address_space:  global
        .offset:         0
        .size:           8
        .value_kind:     global_buffer
      - .address_space:  global
        .offset:         8
        .size:           8
        .value_kind:     global_buffer
      - .offset:         16
        .size:           4
        .value_kind:     by_value
      - .offset:         20
        .size:           4
        .value_kind:     by_value
      - .offset:         24
        .size:           4
        .value_kind:     by_value
      - .offset:         28
        .size:           4
        .value_kind:     by_value
      - .offset:         32
        .size:           4
        .value_kind:     by_value
      - .offset:         36
        .size:           4
        .value_kind:     by_value
      - .offset:         40
        .size:           12
        .value_kind:     by_value
      - .offset:         52
        .size:           12
        .value_kind:     by_value
      - .offset:         64
        .size:           12
        .value_kind:     by_value
    .group_segment_fixed_size: 0
    .kernarg_segment_align: 8
    .kernarg_segment_size: 76
    .language:       OpenCL C
    .language_version:
      - 2
      - 0
    .max_flat_workgroup_size: 512
    .name:           _ZL33flash_attn_stream_k_fixup_uniformILi512ELi1ELi8EEvPfPK15HIP_vector_typeIfLj2EEiiiiiiS1_IjLj3EES5_S5_
    .private_segment_fixed_size: 0
    .sgpr_count:     26
    .sgpr_spill_count: 0
    .symbol:         _ZL33flash_attn_stream_k_fixup_uniformILi512ELi1ELi8EEvPfPK15HIP_vector_typeIfLj2EEiiiiiiS1_IjLj3EES5_S5_.kd
    .uniform_work_group_size: 1
    .uses_dynamic_stack: false
    .vgpr_count:     17
    .vgpr_spill_count: 0
    .wavefront_size: 64
  - .agpr_count:     0
    .args:
      - .address_space:  global
        .offset:         0
        .size:           8
        .value_kind:     global_buffer
      - .address_space:  global
        .offset:         8
        .size:           8
        .value_kind:     global_buffer
      - .offset:         16
        .size:           4
        .value_kind:     by_value
      - .offset:         20
        .size:           4
        .value_kind:     by_value
      - .offset:         24
        .size:           4
        .value_kind:     by_value
      - .offset:         28
        .size:           4
        .value_kind:     by_value
      - .offset:         32
        .size:           12
        .value_kind:     by_value
      - .offset:         44
        .size:           12
        .value_kind:     by_value
      - .offset:         56
        .size:           12
        .value_kind:     by_value
      - .offset:         68
        .size:           12
        .value_kind:     by_value
      - .offset:         80
        .size:           4
        .value_kind:     hidden_block_count_x
      - .offset:         84
        .size:           4
        .value_kind:     hidden_block_count_y
      - .offset:         88
        .size:           4
        .value_kind:     hidden_block_count_z
      - .offset:         92
        .size:           2
        .value_kind:     hidden_group_size_x
      - .offset:         94
        .size:           2
        .value_kind:     hidden_group_size_y
      - .offset:         96
        .size:           2
        .value_kind:     hidden_group_size_z
      - .offset:         98
        .size:           2
        .value_kind:     hidden_remainder_x
      - .offset:         100
        .size:           2
        .value_kind:     hidden_remainder_y
      - .offset:         102
        .size:           2
        .value_kind:     hidden_remainder_z
      - .offset:         120
        .size:           8
        .value_kind:     hidden_global_offset_x
      - .offset:         128
        .size:           8
        .value_kind:     hidden_global_offset_y
      - .offset:         136
        .size:           8
        .value_kind:     hidden_global_offset_z
      - .offset:         144
        .size:           2
        .value_kind:     hidden_grid_dims
    .group_segment_fixed_size: 0
    .kernarg_segment_align: 8
    .kernarg_segment_size: 336
    .language:       OpenCL C
    .language_version:
      - 2
      - 0
    .max_flat_workgroup_size: 512
    .name:           _ZL33flash_attn_stream_k_fixup_generalILi512ELi1ELi8EEvPfPK15HIP_vector_typeIfLj2EEiiiiS1_IjLj3EES5_S5_S5_
    .private_segment_fixed_size: 0
    .sgpr_count:     43
    .sgpr_spill_count: 0
    .symbol:         _ZL33flash_attn_stream_k_fixup_generalILi512ELi1ELi8EEvPfPK15HIP_vector_typeIfLj2EEiiiiS1_IjLj3EES5_S5_S5_.kd
    .uniform_work_group_size: 1
    .uses_dynamic_stack: false
    .vgpr_count:     18
    .vgpr_spill_count: 0
    .wavefront_size: 64
  - .agpr_count:     0
    .args:
      - .address_space:  global
        .offset:         0
        .size:           8
        .value_kind:     global_buffer
      - .address_space:  global
        .offset:         8
        .size:           8
        .value_kind:     global_buffer
      - .address_space:  global
        .offset:         16
        .size:           8
        .value_kind:     global_buffer
      - .address_space:  global
        .offset:         24
        .size:           8
        .value_kind:     global_buffer
      - .address_space:  global
        .offset:         32
        .size:           8
        .value_kind:     global_buffer
      - .address_space:  global
        .offset:         40
        .size:           8
        .value_kind:     global_buffer
      - .address_space:  global
        .offset:         48
        .size:           8
        .value_kind:     global_buffer
      - .address_space:  global
        .offset:         56
        .size:           8
        .value_kind:     global_buffer
      - .offset:         64
        .size:           4
        .value_kind:     by_value
      - .offset:         68
        .size:           4
        .value_kind:     by_value
      - .offset:         72
        .size:           4
        .value_kind:     by_value
      - .offset:         76
        .size:           4
        .value_kind:     by_value
      - .offset:         80
        .size:           4
        .value_kind:     by_value
      - .offset:         84
        .size:           4
        .value_kind:     by_value
      - .offset:         88
        .size:           4
        .value_kind:     by_value
      - .offset:         92
        .size:           12
        .value_kind:     by_value
      - .offset:         104
        .size:           4
        .value_kind:     by_value
      - .offset:         108
        .size:           4
        .value_kind:     by_value
      - .offset:         112
        .size:           4
        .value_kind:     by_value
      - .offset:         116
        .size:           4
        .value_kind:     by_value
      - .offset:         120
        .size:           4
        .value_kind:     by_value
      - .offset:         124
        .size:           4
        .value_kind:     by_value
      - .offset:         128
        .size:           4
        .value_kind:     by_value
      - .offset:         132
        .size:           4
        .value_kind:     by_value
      - .offset:         136
        .size:           4
        .value_kind:     by_value
      - .offset:         140
        .size:           4
        .value_kind:     by_value
      - .offset:         144
        .size:           4
        .value_kind:     by_value
      - .offset:         152
        .size:           8
        .value_kind:     by_value
      - .offset:         160
        .size:           4
        .value_kind:     by_value
      - .offset:         164
        .size:           4
        .value_kind:     by_value
      - .offset:         168
        .size:           8
        .value_kind:     by_value
      - .offset:         176
        .size:           4
        .value_kind:     by_value
      - .offset:         180
        .size:           4
        .value_kind:     by_value
      - .offset:         184
        .size:           4
        .value_kind:     by_value
      - .offset:         188
        .size:           4
        .value_kind:     by_value
      - .offset:         192
        .size:           4
        .value_kind:     by_value
      - .offset:         200
        .size:           8
        .value_kind:     by_value
      - .offset:         208
        .size:           4
        .value_kind:     hidden_block_count_x
      - .offset:         212
        .size:           4
        .value_kind:     hidden_block_count_y
      - .offset:         216
        .size:           4
        .value_kind:     hidden_block_count_z
      - .offset:         220
        .size:           2
        .value_kind:     hidden_group_size_x
      - .offset:         222
        .size:           2
        .value_kind:     hidden_group_size_y
      - .offset:         224
        .size:           2
        .value_kind:     hidden_group_size_z
      - .offset:         226
        .size:           2
        .value_kind:     hidden_remainder_x
      - .offset:         228
        .size:           2
        .value_kind:     hidden_remainder_y
      - .offset:         230
        .size:           2
        .value_kind:     hidden_remainder_z
      - .offset:         248
        .size:           8
        .value_kind:     hidden_global_offset_x
      - .offset:         256
        .size:           8
        .value_kind:     hidden_global_offset_y
      - .offset:         264
        .size:           8
        .value_kind:     hidden_global_offset_z
      - .offset:         272
        .size:           2
        .value_kind:     hidden_grid_dims
    .group_segment_fixed_size: 59392
    .kernarg_segment_align: 8
    .kernarg_segment_size: 464
    .language:       OpenCL C
    .language_version:
      - 2
      - 0
    .max_flat_workgroup_size: 512
    .name:           _ZL15flash_attn_tileILi512ELi512ELi8ELi4ELb0EEvPKcS1_S1_S1_S1_PKiPfP15HIP_vector_typeIfLj2EEffffjfiS5_IjLj3EEiiiiiiiiiiiliiliiiiil
    .private_segment_fixed_size: 0
    .sgpr_count:     46
    .sgpr_spill_count: 0
    .symbol:         _ZL15flash_attn_tileILi512ELi512ELi8ELi4ELb0EEvPKcS1_S1_S1_S1_PKiPfP15HIP_vector_typeIfLj2EEffffjfiS5_IjLj3EEiiiiiiiiiiiliiliiiiil.kd
    .uniform_work_group_size: 1
    .uses_dynamic_stack: false
    .vgpr_count:     94
    .vgpr_spill_count: 0
    .wavefront_size: 64
  - .agpr_count:     0
    .args:
      - .actual_access:  read_only
        .address_space:  global
        .offset:         0
        .size:           8
        .value_kind:     global_buffer
      - .actual_access:  write_only
        .address_space:  global
        .offset:         8
        .size:           8
        .value_kind:     global_buffer
      - .offset:         16
        .size:           4
        .value_kind:     by_value
      - .offset:         20
        .size:           4
        .value_kind:     by_value
      - .offset:         24
        .size:           4
        .value_kind:     by_value
      - .offset:         32
        .size:           4
        .value_kind:     hidden_block_count_x
      - .offset:         36
        .size:           4
        .value_kind:     hidden_block_count_y
      - .offset:         40
        .size:           4
        .value_kind:     hidden_block_count_z
      - .offset:         44
        .size:           2
        .value_kind:     hidden_group_size_x
      - .offset:         46
        .size:           2
        .value_kind:     hidden_group_size_y
      - .offset:         48
        .size:           2
        .value_kind:     hidden_group_size_z
      - .offset:         50
        .size:           2
        .value_kind:     hidden_remainder_x
      - .offset:         52
        .size:           2
        .value_kind:     hidden_remainder_y
      - .offset:         54
        .size:           2
        .value_kind:     hidden_remainder_z
      - .offset:         72
        .size:           8
        .value_kind:     hidden_global_offset_x
      - .offset:         80
        .size:           8
        .value_kind:     hidden_global_offset_y
      - .offset:         88
        .size:           8
        .value_kind:     hidden_global_offset_z
      - .offset:         96
        .size:           2
        .value_kind:     hidden_grid_dims
    .group_segment_fixed_size: 128
    .kernarg_segment_align: 8
    .kernarg_segment_size: 288
    .language:       OpenCL C
    .language_version:
      - 2
      - 0
    .max_flat_workgroup_size: 128
    .name:           _ZL25flash_attn_mask_to_KV_maxILi8EEvPK7__half2Piiii
    .private_segment_fixed_size: 0
    .sgpr_count:     52
    .sgpr_spill_count: 0
    .symbol:         _ZL25flash_attn_mask_to_KV_maxILi8EEvPK7__half2Piiii.kd
    .uniform_work_group_size: 1
    .uses_dynamic_stack: false
    .vgpr_count:     12
    .vgpr_spill_count: 0
    .wavefront_size: 64
  - .agpr_count:     0
    .args:
      - .address_space:  global
        .offset:         0
        .size:           8
        .value_kind:     global_buffer
      - .address_space:  global
        .offset:         8
        .size:           8
        .value_kind:     global_buffer
      - .offset:         16
        .size:           4
        .value_kind:     by_value
      - .offset:         20
        .size:           4
        .value_kind:     by_value
      - .offset:         24
        .size:           4
        .value_kind:     by_value
      - .offset:         28
        .size:           4
        .value_kind:     by_value
      - .offset:         32
        .size:           4
        .value_kind:     by_value
      - .offset:         36
        .size:           4
        .value_kind:     by_value
      - .offset:         40
        .size:           12
        .value_kind:     by_value
      - .offset:         52
        .size:           12
        .value_kind:     by_value
      - .offset:         64
        .size:           12
        .value_kind:     by_value
    .group_segment_fixed_size: 0
    .kernarg_segment_align: 8
    .kernarg_segment_size: 76
    .language:       OpenCL C
    .language_version:
      - 2
      - 0
    .max_flat_workgroup_size: 512
    .name:           _ZL33flash_attn_stream_k_fixup_uniformILi512ELi8ELi4EEvPfPK15HIP_vector_typeIfLj2EEiiiiiiS1_IjLj3EES5_S5_
    .private_segment_fixed_size: 0
    .sgpr_count:     30
    .sgpr_spill_count: 0
    .symbol:         _ZL33flash_attn_stream_k_fixup_uniformILi512ELi8ELi4EEvPfPK15HIP_vector_typeIfLj2EEiiiiiiS1_IjLj3EES5_S5_.kd
    .uniform_work_group_size: 1
    .uses_dynamic_stack: false
    .vgpr_count:     17
    .vgpr_spill_count: 0
    .wavefront_size: 64
  - .agpr_count:     0
    .args:
      - .address_space:  global
        .offset:         0
        .size:           8
        .value_kind:     global_buffer
      - .address_space:  global
        .offset:         8
        .size:           8
        .value_kind:     global_buffer
      - .offset:         16
        .size:           4
        .value_kind:     by_value
      - .offset:         20
        .size:           4
        .value_kind:     by_value
      - .offset:         24
        .size:           4
        .value_kind:     by_value
      - .offset:         28
        .size:           4
        .value_kind:     by_value
      - .offset:         32
        .size:           12
        .value_kind:     by_value
      - .offset:         44
        .size:           12
        .value_kind:     by_value
      - .offset:         56
        .size:           12
        .value_kind:     by_value
      - .offset:         68
        .size:           12
        .value_kind:     by_value
      - .offset:         80
        .size:           4
        .value_kind:     hidden_block_count_x
      - .offset:         84
        .size:           4
        .value_kind:     hidden_block_count_y
      - .offset:         88
        .size:           4
        .value_kind:     hidden_block_count_z
      - .offset:         92
        .size:           2
        .value_kind:     hidden_group_size_x
      - .offset:         94
        .size:           2
        .value_kind:     hidden_group_size_y
      - .offset:         96
        .size:           2
        .value_kind:     hidden_group_size_z
      - .offset:         98
        .size:           2
        .value_kind:     hidden_remainder_x
      - .offset:         100
        .size:           2
        .value_kind:     hidden_remainder_y
      - .offset:         102
        .size:           2
        .value_kind:     hidden_remainder_z
      - .offset:         120
        .size:           8
        .value_kind:     hidden_global_offset_x
      - .offset:         128
        .size:           8
        .value_kind:     hidden_global_offset_y
      - .offset:         136
        .size:           8
        .value_kind:     hidden_global_offset_z
      - .offset:         144
        .size:           2
        .value_kind:     hidden_grid_dims
    .group_segment_fixed_size: 0
    .kernarg_segment_align: 8
    .kernarg_segment_size: 336
    .language:       OpenCL C
    .language_version:
      - 2
      - 0
    .max_flat_workgroup_size: 512
    .name:           _ZL33flash_attn_stream_k_fixup_generalILi512ELi8ELi4EEvPfPK15HIP_vector_typeIfLj2EEiiiiS1_IjLj3EES5_S5_S5_
    .private_segment_fixed_size: 0
    .sgpr_count:     42
    .sgpr_spill_count: 0
    .symbol:         _ZL33flash_attn_stream_k_fixup_generalILi512ELi8ELi4EEvPfPK15HIP_vector_typeIfLj2EEiiiiS1_IjLj3EES5_S5_S5_.kd
    .uniform_work_group_size: 1
    .uses_dynamic_stack: false
    .vgpr_count:     18
    .vgpr_spill_count: 0
    .wavefront_size: 64
  - .agpr_count:     0
    .args:
      - .address_space:  global
        .offset:         0
        .size:           8
        .value_kind:     global_buffer
      - .address_space:  global
        .offset:         8
        .size:           8
        .value_kind:     global_buffer
      - .address_space:  global
        .offset:         16
        .size:           8
        .value_kind:     global_buffer
      - .address_space:  global
        .offset:         24
        .size:           8
        .value_kind:     global_buffer
      - .address_space:  global
        .offset:         32
        .size:           8
        .value_kind:     global_buffer
      - .address_space:  global
        .offset:         40
        .size:           8
        .value_kind:     global_buffer
      - .address_space:  global
        .offset:         48
        .size:           8
        .value_kind:     global_buffer
      - .address_space:  global
        .offset:         56
        .size:           8
        .value_kind:     global_buffer
      - .offset:         64
        .size:           4
        .value_kind:     by_value
      - .offset:         68
        .size:           4
        .value_kind:     by_value
      - .offset:         72
        .size:           4
        .value_kind:     by_value
      - .offset:         76
        .size:           4
        .value_kind:     by_value
      - .offset:         80
        .size:           4
        .value_kind:     by_value
      - .offset:         84
        .size:           4
        .value_kind:     by_value
      - .offset:         88
        .size:           4
        .value_kind:     by_value
      - .offset:         92
        .size:           12
        .value_kind:     by_value
      - .offset:         104
        .size:           4
        .value_kind:     by_value
      - .offset:         108
        .size:           4
        .value_kind:     by_value
      - .offset:         112
        .size:           4
        .value_kind:     by_value
      - .offset:         116
        .size:           4
        .value_kind:     by_value
      - .offset:         120
        .size:           4
        .value_kind:     by_value
      - .offset:         124
        .size:           4
        .value_kind:     by_value
      - .offset:         128
        .size:           4
        .value_kind:     by_value
      - .offset:         132
        .size:           4
        .value_kind:     by_value
      - .offset:         136
        .size:           4
        .value_kind:     by_value
      - .offset:         140
        .size:           4
        .value_kind:     by_value
      - .offset:         144
        .size:           4
        .value_kind:     by_value
      - .offset:         152
        .size:           8
        .value_kind:     by_value
      - .offset:         160
        .size:           4
        .value_kind:     by_value
      - .offset:         164
        .size:           4
        .value_kind:     by_value
      - .offset:         168
        .size:           8
        .value_kind:     by_value
      - .offset:         176
        .size:           4
        .value_kind:     by_value
      - .offset:         180
        .size:           4
        .value_kind:     by_value
      - .offset:         184
        .size:           4
        .value_kind:     by_value
      - .offset:         188
        .size:           4
        .value_kind:     by_value
      - .offset:         192
        .size:           4
        .value_kind:     by_value
      - .offset:         200
        .size:           8
        .value_kind:     by_value
      - .offset:         208
        .size:           4
        .value_kind:     hidden_block_count_x
      - .offset:         212
        .size:           4
        .value_kind:     hidden_block_count_y
      - .offset:         216
        .size:           4
        .value_kind:     hidden_block_count_z
      - .offset:         220
        .size:           2
        .value_kind:     hidden_group_size_x
      - .offset:         222
        .size:           2
        .value_kind:     hidden_group_size_y
      - .offset:         224
        .size:           2
        .value_kind:     hidden_group_size_z
      - .offset:         226
        .size:           2
        .value_kind:     hidden_remainder_x
      - .offset:         228
        .size:           2
        .value_kind:     hidden_remainder_y
      - .offset:         230
        .size:           2
        .value_kind:     hidden_remainder_z
      - .offset:         248
        .size:           8
        .value_kind:     hidden_global_offset_x
      - .offset:         256
        .size:           8
        .value_kind:     hidden_global_offset_y
      - .offset:         264
        .size:           8
        .value_kind:     hidden_global_offset_z
      - .offset:         272
        .size:           2
        .value_kind:     hidden_grid_dims
    .group_segment_fixed_size: 27648
    .kernarg_segment_align: 8
    .kernarg_segment_size: 464
    .language:       OpenCL C
    .language_version:
      - 2
      - 0
    .max_flat_workgroup_size: 256
    .name:           _ZL15flash_attn_tileILi512ELi512ELi4ELi4ELb0EEvPKcS1_S1_S1_S1_PKiPfP15HIP_vector_typeIfLj2EEffffjfiS5_IjLj3EEiiiiiiiiiiiliiliiiiil
    .private_segment_fixed_size: 0
    .sgpr_count:     58
    .sgpr_spill_count: 0
    .symbol:         _ZL15flash_attn_tileILi512ELi512ELi4ELi4ELb0EEvPKcS1_S1_S1_S1_PKiPfP15HIP_vector_typeIfLj2EEffffjfiS5_IjLj3EEiiiiiiiiiiiliiliiiiil.kd
    .uniform_work_group_size: 1
    .uses_dynamic_stack: false
    .vgpr_count:     93
    .vgpr_spill_count: 0
    .wavefront_size: 64
  - .agpr_count:     0
    .args:
      - .address_space:  global
        .offset:         0
        .size:           8
        .value_kind:     global_buffer
      - .address_space:  global
        .offset:         8
        .size:           8
        .value_kind:     global_buffer
      - .offset:         16
        .size:           4
        .value_kind:     by_value
      - .offset:         20
        .size:           4
        .value_kind:     by_value
      - .offset:         24
        .size:           4
        .value_kind:     by_value
      - .offset:         28
        .size:           4
        .value_kind:     by_value
      - .offset:         32
        .size:           4
        .value_kind:     by_value
      - .offset:         36
        .size:           4
        .value_kind:     by_value
      - .offset:         40
        .size:           12
        .value_kind:     by_value
      - .offset:         52
        .size:           12
        .value_kind:     by_value
      - .offset:         64
        .size:           12
        .value_kind:     by_value
    .group_segment_fixed_size: 0
    .kernarg_segment_align: 8
    .kernarg_segment_size: 76
    .language:       OpenCL C
    .language_version:
      - 2
      - 0
    .max_flat_workgroup_size: 512
    .name:           _ZL33flash_attn_stream_k_fixup_uniformILi512ELi4ELi4EEvPfPK15HIP_vector_typeIfLj2EEiiiiiiS1_IjLj3EES5_S5_
    .private_segment_fixed_size: 0
    .sgpr_count:     30
    .sgpr_spill_count: 0
    .symbol:         _ZL33flash_attn_stream_k_fixup_uniformILi512ELi4ELi4EEvPfPK15HIP_vector_typeIfLj2EEiiiiiiS1_IjLj3EES5_S5_.kd
    .uniform_work_group_size: 1
    .uses_dynamic_stack: false
    .vgpr_count:     17
    .vgpr_spill_count: 0
    .wavefront_size: 64
  - .agpr_count:     0
    .args:
      - .address_space:  global
        .offset:         0
        .size:           8
        .value_kind:     global_buffer
      - .address_space:  global
        .offset:         8
        .size:           8
        .value_kind:     global_buffer
      - .offset:         16
        .size:           4
        .value_kind:     by_value
      - .offset:         20
        .size:           4
        .value_kind:     by_value
      - .offset:         24
        .size:           4
        .value_kind:     by_value
      - .offset:         28
        .size:           4
        .value_kind:     by_value
      - .offset:         32
        .size:           12
        .value_kind:     by_value
      - .offset:         44
        .size:           12
        .value_kind:     by_value
      - .offset:         56
        .size:           12
        .value_kind:     by_value
      - .offset:         68
        .size:           12
        .value_kind:     by_value
      - .offset:         80
        .size:           4
        .value_kind:     hidden_block_count_x
      - .offset:         84
        .size:           4
        .value_kind:     hidden_block_count_y
      - .offset:         88
        .size:           4
        .value_kind:     hidden_block_count_z
      - .offset:         92
        .size:           2
        .value_kind:     hidden_group_size_x
      - .offset:         94
        .size:           2
        .value_kind:     hidden_group_size_y
      - .offset:         96
        .size:           2
        .value_kind:     hidden_group_size_z
      - .offset:         98
        .size:           2
        .value_kind:     hidden_remainder_x
      - .offset:         100
        .size:           2
        .value_kind:     hidden_remainder_y
      - .offset:         102
        .size:           2
        .value_kind:     hidden_remainder_z
      - .offset:         120
        .size:           8
        .value_kind:     hidden_global_offset_x
      - .offset:         128
        .size:           8
        .value_kind:     hidden_global_offset_y
      - .offset:         136
        .size:           8
        .value_kind:     hidden_global_offset_z
      - .offset:         144
        .size:           2
        .value_kind:     hidden_grid_dims
    .group_segment_fixed_size: 0
    .kernarg_segment_align: 8
    .kernarg_segment_size: 336
    .language:       OpenCL C
    .language_version:
      - 2
      - 0
    .max_flat_workgroup_size: 512
    .name:           _ZL33flash_attn_stream_k_fixup_generalILi512ELi4ELi4EEvPfPK15HIP_vector_typeIfLj2EEiiiiS1_IjLj3EES5_S5_S5_
    .private_segment_fixed_size: 0
    .sgpr_count:     42
    .sgpr_spill_count: 0
    .symbol:         _ZL33flash_attn_stream_k_fixup_generalILi512ELi4ELi4EEvPfPK15HIP_vector_typeIfLj2EEiiiiS1_IjLj3EES5_S5_S5_.kd
    .uniform_work_group_size: 1
    .uses_dynamic_stack: false
    .vgpr_count:     18
    .vgpr_spill_count: 0
    .wavefront_size: 64
  - .agpr_count:     0
    .args:
      - .address_space:  global
        .offset:         0
        .size:           8
        .value_kind:     global_buffer
      - .address_space:  global
        .offset:         8
        .size:           8
        .value_kind:     global_buffer
      - .address_space:  global
        .offset:         16
        .size:           8
        .value_kind:     global_buffer
      - .address_space:  global
        .offset:         24
        .size:           8
        .value_kind:     global_buffer
      - .address_space:  global
        .offset:         32
        .size:           8
        .value_kind:     global_buffer
      - .address_space:  global
        .offset:         40
        .size:           8
        .value_kind:     global_buffer
      - .address_space:  global
        .offset:         48
        .size:           8
        .value_kind:     global_buffer
      - .address_space:  global
        .offset:         56
        .size:           8
        .value_kind:     global_buffer
      - .offset:         64
        .size:           4
        .value_kind:     by_value
      - .offset:         68
        .size:           4
        .value_kind:     by_value
      - .offset:         72
        .size:           4
        .value_kind:     by_value
      - .offset:         76
        .size:           4
        .value_kind:     by_value
      - .offset:         80
        .size:           4
        .value_kind:     by_value
      - .offset:         84
        .size:           4
        .value_kind:     by_value
      - .offset:         88
        .size:           4
        .value_kind:     by_value
      - .offset:         92
        .size:           12
        .value_kind:     by_value
      - .offset:         104
        .size:           4
        .value_kind:     by_value
      - .offset:         108
        .size:           4
        .value_kind:     by_value
      - .offset:         112
        .size:           4
        .value_kind:     by_value
      - .offset:         116
        .size:           4
        .value_kind:     by_value
      - .offset:         120
        .size:           4
        .value_kind:     by_value
      - .offset:         124
        .size:           4
        .value_kind:     by_value
      - .offset:         128
        .size:           4
        .value_kind:     by_value
      - .offset:         132
        .size:           4
        .value_kind:     by_value
      - .offset:         136
        .size:           4
        .value_kind:     by_value
      - .offset:         140
        .size:           4
        .value_kind:     by_value
      - .offset:         144
        .size:           4
        .value_kind:     by_value
      - .offset:         152
        .size:           8
        .value_kind:     by_value
      - .offset:         160
        .size:           4
        .value_kind:     by_value
      - .offset:         164
        .size:           4
        .value_kind:     by_value
      - .offset:         168
        .size:           8
        .value_kind:     by_value
      - .offset:         176
        .size:           4
        .value_kind:     by_value
      - .offset:         180
        .size:           4
        .value_kind:     by_value
      - .offset:         184
        .size:           4
        .value_kind:     by_value
      - .offset:         188
        .size:           4
        .value_kind:     by_value
      - .offset:         192
        .size:           4
        .value_kind:     by_value
      - .offset:         200
        .size:           8
        .value_kind:     by_value
      - .offset:         208
        .size:           4
        .value_kind:     hidden_block_count_x
      - .offset:         212
        .size:           4
        .value_kind:     hidden_block_count_y
      - .offset:         216
        .size:           4
        .value_kind:     hidden_block_count_z
      - .offset:         220
        .size:           2
        .value_kind:     hidden_group_size_x
      - .offset:         222
        .size:           2
        .value_kind:     hidden_group_size_y
      - .offset:         224
        .size:           2
        .value_kind:     hidden_group_size_z
      - .offset:         226
        .size:           2
        .value_kind:     hidden_remainder_x
      - .offset:         228
        .size:           2
        .value_kind:     hidden_remainder_y
      - .offset:         230
        .size:           2
        .value_kind:     hidden_remainder_z
      - .offset:         248
        .size:           8
        .value_kind:     hidden_global_offset_x
      - .offset:         256
        .size:           8
        .value_kind:     hidden_global_offset_y
      - .offset:         264
        .size:           8
        .value_kind:     hidden_global_offset_z
      - .offset:         272
        .size:           2
        .value_kind:     hidden_grid_dims
    .group_segment_fixed_size: 18432
    .kernarg_segment_align: 8
    .kernarg_segment_size: 464
    .language:       OpenCL C
    .language_version:
      - 2
      - 0
    .max_flat_workgroup_size: 256
    .name:           _ZL15flash_attn_tileILi512ELi512ELi2ELi4ELb0EEvPKcS1_S1_S1_S1_PKiPfP15HIP_vector_typeIfLj2EEffffjfiS5_IjLj3EEiiiiiiiiiiiliiliiiiil
    .private_segment_fixed_size: 0
    .sgpr_count:     53
    .sgpr_spill_count: 0
    .symbol:         _ZL15flash_attn_tileILi512ELi512ELi2ELi4ELb0EEvPKcS1_S1_S1_S1_PKiPfP15HIP_vector_typeIfLj2EEffffjfiS5_IjLj3EEiiiiiiiiiiiliiliiiiil.kd
    .uniform_work_group_size: 1
    .uses_dynamic_stack: false
    .vgpr_count:     68
    .vgpr_spill_count: 0
    .wavefront_size: 64
  - .agpr_count:     0
    .args:
      - .address_space:  global
        .offset:         0
        .size:           8
        .value_kind:     global_buffer
      - .address_space:  global
        .offset:         8
        .size:           8
        .value_kind:     global_buffer
      - .offset:         16
        .size:           4
        .value_kind:     by_value
      - .offset:         20
        .size:           4
        .value_kind:     by_value
      - .offset:         24
        .size:           4
        .value_kind:     by_value
      - .offset:         28
        .size:           4
        .value_kind:     by_value
      - .offset:         32
        .size:           4
        .value_kind:     by_value
      - .offset:         36
        .size:           4
        .value_kind:     by_value
      - .offset:         40
        .size:           12
        .value_kind:     by_value
      - .offset:         52
        .size:           12
        .value_kind:     by_value
      - .offset:         64
        .size:           12
        .value_kind:     by_value
    .group_segment_fixed_size: 0
    .kernarg_segment_align: 8
    .kernarg_segment_size: 76
    .language:       OpenCL C
    .language_version:
      - 2
      - 0
    .max_flat_workgroup_size: 512
    .name:           _ZL33flash_attn_stream_k_fixup_uniformILi512ELi2ELi4EEvPfPK15HIP_vector_typeIfLj2EEiiiiiiS1_IjLj3EES5_S5_
    .private_segment_fixed_size: 0
    .sgpr_count:     30
    .sgpr_spill_count: 0
    .symbol:         _ZL33flash_attn_stream_k_fixup_uniformILi512ELi2ELi4EEvPfPK15HIP_vector_typeIfLj2EEiiiiiiS1_IjLj3EES5_S5_.kd
    .uniform_work_group_size: 1
    .uses_dynamic_stack: false
    .vgpr_count:     17
    .vgpr_spill_count: 0
    .wavefront_size: 64
  - .agpr_count:     0
    .args:
      - .address_space:  global
        .offset:         0
        .size:           8
        .value_kind:     global_buffer
      - .address_space:  global
        .offset:         8
        .size:           8
        .value_kind:     global_buffer
      - .offset:         16
        .size:           4
        .value_kind:     by_value
      - .offset:         20
        .size:           4
        .value_kind:     by_value
      - .offset:         24
        .size:           4
        .value_kind:     by_value
      - .offset:         28
        .size:           4
        .value_kind:     by_value
      - .offset:         32
        .size:           12
        .value_kind:     by_value
      - .offset:         44
        .size:           12
        .value_kind:     by_value
      - .offset:         56
        .size:           12
        .value_kind:     by_value
      - .offset:         68
        .size:           12
        .value_kind:     by_value
      - .offset:         80
        .size:           4
        .value_kind:     hidden_block_count_x
      - .offset:         84
        .size:           4
        .value_kind:     hidden_block_count_y
      - .offset:         88
        .size:           4
        .value_kind:     hidden_block_count_z
      - .offset:         92
        .size:           2
        .value_kind:     hidden_group_size_x
      - .offset:         94
        .size:           2
        .value_kind:     hidden_group_size_y
      - .offset:         96
        .size:           2
        .value_kind:     hidden_group_size_z
      - .offset:         98
        .size:           2
        .value_kind:     hidden_remainder_x
      - .offset:         100
        .size:           2
        .value_kind:     hidden_remainder_y
      - .offset:         102
        .size:           2
        .value_kind:     hidden_remainder_z
      - .offset:         120
        .size:           8
        .value_kind:     hidden_global_offset_x
      - .offset:         128
        .size:           8
        .value_kind:     hidden_global_offset_y
      - .offset:         136
        .size:           8
        .value_kind:     hidden_global_offset_z
      - .offset:         144
        .size:           2
        .value_kind:     hidden_grid_dims
    .group_segment_fixed_size: 0
    .kernarg_segment_align: 8
    .kernarg_segment_size: 336
    .language:       OpenCL C
    .language_version:
      - 2
      - 0
    .max_flat_workgroup_size: 512
    .name:           _ZL33flash_attn_stream_k_fixup_generalILi512ELi2ELi4EEvPfPK15HIP_vector_typeIfLj2EEiiiiS1_IjLj3EES5_S5_S5_
    .private_segment_fixed_size: 0
    .sgpr_count:     42
    .sgpr_spill_count: 0
    .symbol:         _ZL33flash_attn_stream_k_fixup_generalILi512ELi2ELi4EEvPfPK15HIP_vector_typeIfLj2EEiiiiS1_IjLj3EES5_S5_S5_.kd
    .uniform_work_group_size: 1
    .uses_dynamic_stack: false
    .vgpr_count:     18
    .vgpr_spill_count: 0
    .wavefront_size: 64
  - .agpr_count:     0
    .args:
      - .address_space:  global
        .offset:         0
        .size:           8
        .value_kind:     global_buffer
      - .address_space:  global
        .offset:         8
        .size:           8
        .value_kind:     global_buffer
      - .address_space:  global
        .offset:         16
        .size:           8
        .value_kind:     global_buffer
      - .address_space:  global
        .offset:         24
        .size:           8
        .value_kind:     global_buffer
      - .address_space:  global
        .offset:         32
        .size:           8
        .value_kind:     global_buffer
      - .address_space:  global
        .offset:         40
        .size:           8
        .value_kind:     global_buffer
      - .address_space:  global
        .offset:         48
        .size:           8
        .value_kind:     global_buffer
      - .address_space:  global
        .offset:         56
        .size:           8
        .value_kind:     global_buffer
      - .offset:         64
        .size:           4
        .value_kind:     by_value
      - .offset:         68
        .size:           4
        .value_kind:     by_value
      - .offset:         72
        .size:           4
        .value_kind:     by_value
      - .offset:         76
        .size:           4
        .value_kind:     by_value
      - .offset:         80
        .size:           4
        .value_kind:     by_value
      - .offset:         84
        .size:           4
        .value_kind:     by_value
      - .offset:         88
        .size:           4
        .value_kind:     by_value
      - .offset:         92
        .size:           12
        .value_kind:     by_value
      - .offset:         104
        .size:           4
        .value_kind:     by_value
      - .offset:         108
        .size:           4
        .value_kind:     by_value
      - .offset:         112
        .size:           4
        .value_kind:     by_value
      - .offset:         116
        .size:           4
        .value_kind:     by_value
      - .offset:         120
        .size:           4
        .value_kind:     by_value
      - .offset:         124
        .size:           4
        .value_kind:     by_value
      - .offset:         128
        .size:           4
        .value_kind:     by_value
      - .offset:         132
        .size:           4
        .value_kind:     by_value
      - .offset:         136
        .size:           4
        .value_kind:     by_value
      - .offset:         140
        .size:           4
        .value_kind:     by_value
      - .offset:         144
        .size:           4
        .value_kind:     by_value
      - .offset:         152
        .size:           8
        .value_kind:     by_value
      - .offset:         160
        .size:           4
        .value_kind:     by_value
      - .offset:         164
        .size:           4
        .value_kind:     by_value
      - .offset:         168
        .size:           8
        .value_kind:     by_value
      - .offset:         176
        .size:           4
        .value_kind:     by_value
      - .offset:         180
        .size:           4
        .value_kind:     by_value
      - .offset:         184
        .size:           4
        .value_kind:     by_value
      - .offset:         188
        .size:           4
        .value_kind:     by_value
      - .offset:         192
        .size:           4
        .value_kind:     by_value
      - .offset:         200
        .size:           8
        .value_kind:     by_value
      - .offset:         208
        .size:           4
        .value_kind:     hidden_block_count_x
      - .offset:         212
        .size:           4
        .value_kind:     hidden_block_count_y
      - .offset:         216
        .size:           4
        .value_kind:     hidden_block_count_z
      - .offset:         220
        .size:           2
        .value_kind:     hidden_group_size_x
      - .offset:         222
        .size:           2
        .value_kind:     hidden_group_size_y
      - .offset:         224
        .size:           2
        .value_kind:     hidden_group_size_z
      - .offset:         226
        .size:           2
        .value_kind:     hidden_remainder_x
      - .offset:         228
        .size:           2
        .value_kind:     hidden_remainder_y
      - .offset:         230
        .size:           2
        .value_kind:     hidden_remainder_z
      - .offset:         248
        .size:           8
        .value_kind:     hidden_global_offset_x
      - .offset:         256
        .size:           8
        .value_kind:     hidden_global_offset_y
      - .offset:         264
        .size:           8
        .value_kind:     hidden_global_offset_z
      - .offset:         272
        .size:           2
        .value_kind:     hidden_grid_dims
    .group_segment_fixed_size: 13824
    .kernarg_segment_align: 8
    .kernarg_segment_size: 464
    .language:       OpenCL C
    .language_version:
      - 2
      - 0
    .max_flat_workgroup_size: 128
    .name:           _ZL15flash_attn_tileILi512ELi512ELi1ELi4ELb0EEvPKcS1_S1_S1_S1_PKiPfP15HIP_vector_typeIfLj2EEffffjfiS5_IjLj3EEiiiiiiiiiiiliiliiiiil
    .private_segment_fixed_size: 0
    .sgpr_count:     46
    .sgpr_spill_count: 0
    .symbol:         _ZL15flash_attn_tileILi512ELi512ELi1ELi4ELb0EEvPKcS1_S1_S1_S1_PKiPfP15HIP_vector_typeIfLj2EEffffjfiS5_IjLj3EEiiiiiiiiiiiliiliiiiil.kd
    .uniform_work_group_size: 1
    .uses_dynamic_stack: false
    .vgpr_count:     82
    .vgpr_spill_count: 0
    .wavefront_size: 64
  - .agpr_count:     0
    .args:
      - .address_space:  global
        .offset:         0
        .size:           8
        .value_kind:     global_buffer
      - .address_space:  global
        .offset:         8
        .size:           8
        .value_kind:     global_buffer
      - .offset:         16
        .size:           4
        .value_kind:     by_value
      - .offset:         20
        .size:           4
        .value_kind:     by_value
      - .offset:         24
        .size:           4
        .value_kind:     by_value
      - .offset:         28
        .size:           4
        .value_kind:     by_value
      - .offset:         32
        .size:           4
        .value_kind:     by_value
      - .offset:         36
        .size:           4
        .value_kind:     by_value
      - .offset:         40
        .size:           12
        .value_kind:     by_value
      - .offset:         52
        .size:           12
        .value_kind:     by_value
      - .offset:         64
        .size:           12
        .value_kind:     by_value
    .group_segment_fixed_size: 0
    .kernarg_segment_align: 8
    .kernarg_segment_size: 76
    .language:       OpenCL C
    .language_version:
      - 2
      - 0
    .max_flat_workgroup_size: 512
    .name:           _ZL33flash_attn_stream_k_fixup_uniformILi512ELi1ELi4EEvPfPK15HIP_vector_typeIfLj2EEiiiiiiS1_IjLj3EES5_S5_
    .private_segment_fixed_size: 0
    .sgpr_count:     26
    .sgpr_spill_count: 0
    .symbol:         _ZL33flash_attn_stream_k_fixup_uniformILi512ELi1ELi4EEvPfPK15HIP_vector_typeIfLj2EEiiiiiiS1_IjLj3EES5_S5_.kd
    .uniform_work_group_size: 1
    .uses_dynamic_stack: false
    .vgpr_count:     17
    .vgpr_spill_count: 0
    .wavefront_size: 64
  - .agpr_count:     0
    .args:
      - .address_space:  global
        .offset:         0
        .size:           8
        .value_kind:     global_buffer
      - .address_space:  global
        .offset:         8
        .size:           8
        .value_kind:     global_buffer
      - .offset:         16
        .size:           4
        .value_kind:     by_value
      - .offset:         20
        .size:           4
        .value_kind:     by_value
      - .offset:         24
        .size:           4
        .value_kind:     by_value
      - .offset:         28
        .size:           4
        .value_kind:     by_value
      - .offset:         32
        .size:           12
        .value_kind:     by_value
      - .offset:         44
        .size:           12
        .value_kind:     by_value
      - .offset:         56
        .size:           12
        .value_kind:     by_value
      - .offset:         68
        .size:           12
        .value_kind:     by_value
      - .offset:         80
        .size:           4
        .value_kind:     hidden_block_count_x
      - .offset:         84
        .size:           4
        .value_kind:     hidden_block_count_y
      - .offset:         88
        .size:           4
        .value_kind:     hidden_block_count_z
      - .offset:         92
        .size:           2
        .value_kind:     hidden_group_size_x
      - .offset:         94
        .size:           2
        .value_kind:     hidden_group_size_y
      - .offset:         96
        .size:           2
        .value_kind:     hidden_group_size_z
      - .offset:         98
        .size:           2
        .value_kind:     hidden_remainder_x
      - .offset:         100
        .size:           2
        .value_kind:     hidden_remainder_y
      - .offset:         102
        .size:           2
        .value_kind:     hidden_remainder_z
      - .offset:         120
        .size:           8
        .value_kind:     hidden_global_offset_x
      - .offset:         128
        .size:           8
        .value_kind:     hidden_global_offset_y
      - .offset:         136
        .size:           8
        .value_kind:     hidden_global_offset_z
      - .offset:         144
        .size:           2
        .value_kind:     hidden_grid_dims
    .group_segment_fixed_size: 0
    .kernarg_segment_align: 8
    .kernarg_segment_size: 336
    .language:       OpenCL C
    .language_version:
      - 2
      - 0
    .max_flat_workgroup_size: 512
    .name:           _ZL33flash_attn_stream_k_fixup_generalILi512ELi1ELi4EEvPfPK15HIP_vector_typeIfLj2EEiiiiS1_IjLj3EES5_S5_S5_
    .private_segment_fixed_size: 0
    .sgpr_count:     43
    .sgpr_spill_count: 0
    .symbol:         _ZL33flash_attn_stream_k_fixup_generalILi512ELi1ELi4EEvPfPK15HIP_vector_typeIfLj2EEiiiiS1_IjLj3EES5_S5_S5_.kd
    .uniform_work_group_size: 1
    .uses_dynamic_stack: false
    .vgpr_count:     18
    .vgpr_spill_count: 0
    .wavefront_size: 64
  - .agpr_count:     0
    .args:
      - .address_space:  global
        .offset:         0
        .size:           8
        .value_kind:     global_buffer
      - .address_space:  global
        .offset:         8
        .size:           8
        .value_kind:     global_buffer
      - .address_space:  global
        .offset:         16
        .size:           8
        .value_kind:     global_buffer
      - .address_space:  global
        .offset:         24
        .size:           8
        .value_kind:     global_buffer
      - .address_space:  global
        .offset:         32
        .size:           8
        .value_kind:     global_buffer
      - .address_space:  global
        .offset:         40
        .size:           8
        .value_kind:     global_buffer
      - .address_space:  global
        .offset:         48
        .size:           8
        .value_kind:     global_buffer
      - .address_space:  global
        .offset:         56
        .size:           8
        .value_kind:     global_buffer
      - .offset:         64
        .size:           4
        .value_kind:     by_value
      - .offset:         68
        .size:           4
        .value_kind:     by_value
      - .offset:         72
        .size:           4
        .value_kind:     by_value
      - .offset:         76
        .size:           4
        .value_kind:     by_value
      - .offset:         80
        .size:           4
        .value_kind:     by_value
      - .offset:         84
        .size:           4
        .value_kind:     by_value
      - .offset:         88
        .size:           4
        .value_kind:     by_value
      - .offset:         92
        .size:           12
        .value_kind:     by_value
      - .offset:         104
        .size:           4
        .value_kind:     by_value
      - .offset:         108
        .size:           4
        .value_kind:     by_value
      - .offset:         112
        .size:           4
        .value_kind:     by_value
      - .offset:         116
        .size:           4
        .value_kind:     by_value
      - .offset:         120
        .size:           4
        .value_kind:     by_value
      - .offset:         124
        .size:           4
        .value_kind:     by_value
      - .offset:         128
        .size:           4
        .value_kind:     by_value
      - .offset:         132
        .size:           4
        .value_kind:     by_value
      - .offset:         136
        .size:           4
        .value_kind:     by_value
      - .offset:         140
        .size:           4
        .value_kind:     by_value
      - .offset:         144
        .size:           4
        .value_kind:     by_value
      - .offset:         152
        .size:           8
        .value_kind:     by_value
      - .offset:         160
        .size:           4
        .value_kind:     by_value
      - .offset:         164
        .size:           4
        .value_kind:     by_value
      - .offset:         168
        .size:           8
        .value_kind:     by_value
      - .offset:         176
        .size:           4
        .value_kind:     by_value
      - .offset:         180
        .size:           4
        .value_kind:     by_value
      - .offset:         184
        .size:           4
        .value_kind:     by_value
      - .offset:         188
        .size:           4
        .value_kind:     by_value
      - .offset:         192
        .size:           4
        .value_kind:     by_value
      - .offset:         200
        .size:           8
        .value_kind:     by_value
      - .offset:         208
        .size:           4
        .value_kind:     hidden_block_count_x
      - .offset:         212
        .size:           4
        .value_kind:     hidden_block_count_y
      - .offset:         216
        .size:           4
        .value_kind:     hidden_block_count_z
      - .offset:         220
        .size:           2
        .value_kind:     hidden_group_size_x
      - .offset:         222
        .size:           2
        .value_kind:     hidden_group_size_y
      - .offset:         224
        .size:           2
        .value_kind:     hidden_group_size_z
      - .offset:         226
        .size:           2
        .value_kind:     hidden_remainder_x
      - .offset:         228
        .size:           2
        .value_kind:     hidden_remainder_y
      - .offset:         230
        .size:           2
        .value_kind:     hidden_remainder_z
      - .offset:         248
        .size:           8
        .value_kind:     hidden_global_offset_x
      - .offset:         256
        .size:           8
        .value_kind:     hidden_global_offset_y
      - .offset:         264
        .size:           8
        .value_kind:     hidden_global_offset_z
      - .offset:         272
        .size:           2
        .value_kind:     hidden_grid_dims
    .group_segment_fixed_size: 59392
    .kernarg_segment_align: 8
    .kernarg_segment_size: 464
    .language:       OpenCL C
    .language_version:
      - 2
      - 0
    .max_flat_workgroup_size: 512
    .name:           _ZL15flash_attn_tileILi512ELi512ELi4ELi8ELb1EEvPKcS1_S1_S1_S1_PKiPfP15HIP_vector_typeIfLj2EEffffjfiS5_IjLj3EEiiiiiiiiiiiliiliiiiil
    .private_segment_fixed_size: 0
    .sgpr_count:     46
    .sgpr_spill_count: 0
    .symbol:         _ZL15flash_attn_tileILi512ELi512ELi4ELi8ELb1EEvPKcS1_S1_S1_S1_PKiPfP15HIP_vector_typeIfLj2EEffffjfiS5_IjLj3EEiiiiiiiiiiiliiliiiiil.kd
    .uniform_work_group_size: 1
    .uses_dynamic_stack: false
    .vgpr_count:     108
    .vgpr_spill_count: 0
    .wavefront_size: 64
  - .agpr_count:     0
    .args:
      - .address_space:  global
        .offset:         0
        .size:           8
        .value_kind:     global_buffer
      - .address_space:  global
        .offset:         8
        .size:           8
        .value_kind:     global_buffer
      - .address_space:  global
        .offset:         16
        .size:           8
        .value_kind:     global_buffer
      - .address_space:  global
        .offset:         24
        .size:           8
        .value_kind:     global_buffer
      - .address_space:  global
        .offset:         32
        .size:           8
        .value_kind:     global_buffer
      - .address_space:  global
        .offset:         40
        .size:           8
        .value_kind:     global_buffer
      - .address_space:  global
        .offset:         48
        .size:           8
        .value_kind:     global_buffer
      - .address_space:  global
        .offset:         56
        .size:           8
        .value_kind:     global_buffer
      - .offset:         64
        .size:           4
        .value_kind:     by_value
      - .offset:         68
        .size:           4
        .value_kind:     by_value
      - .offset:         72
        .size:           4
        .value_kind:     by_value
      - .offset:         76
        .size:           4
        .value_kind:     by_value
      - .offset:         80
        .size:           4
        .value_kind:     by_value
      - .offset:         84
        .size:           4
        .value_kind:     by_value
      - .offset:         88
        .size:           4
        .value_kind:     by_value
      - .offset:         92
        .size:           12
        .value_kind:     by_value
      - .offset:         104
        .size:           4
        .value_kind:     by_value
      - .offset:         108
        .size:           4
        .value_kind:     by_value
      - .offset:         112
        .size:           4
        .value_kind:     by_value
      - .offset:         116
        .size:           4
        .value_kind:     by_value
      - .offset:         120
        .size:           4
        .value_kind:     by_value
      - .offset:         124
        .size:           4
        .value_kind:     by_value
      - .offset:         128
        .size:           4
        .value_kind:     by_value
      - .offset:         132
        .size:           4
        .value_kind:     by_value
      - .offset:         136
        .size:           4
        .value_kind:     by_value
      - .offset:         140
        .size:           4
        .value_kind:     by_value
      - .offset:         144
        .size:           4
        .value_kind:     by_value
      - .offset:         152
        .size:           8
        .value_kind:     by_value
      - .offset:         160
        .size:           4
        .value_kind:     by_value
      - .offset:         164
        .size:           4
        .value_kind:     by_value
      - .offset:         168
        .size:           8
        .value_kind:     by_value
      - .offset:         176
        .size:           4
        .value_kind:     by_value
      - .offset:         180
        .size:           4
        .value_kind:     by_value
      - .offset:         184
        .size:           4
        .value_kind:     by_value
      - .offset:         188
        .size:           4
        .value_kind:     by_value
      - .offset:         192
        .size:           4
        .value_kind:     by_value
      - .offset:         200
        .size:           8
        .value_kind:     by_value
      - .offset:         208
        .size:           4
        .value_kind:     hidden_block_count_x
      - .offset:         212
        .size:           4
        .value_kind:     hidden_block_count_y
      - .offset:         216
        .size:           4
        .value_kind:     hidden_block_count_z
      - .offset:         220
        .size:           2
        .value_kind:     hidden_group_size_x
      - .offset:         222
        .size:           2
        .value_kind:     hidden_group_size_y
      - .offset:         224
        .size:           2
        .value_kind:     hidden_group_size_z
      - .offset:         226
        .size:           2
        .value_kind:     hidden_remainder_x
      - .offset:         228
        .size:           2
        .value_kind:     hidden_remainder_y
      - .offset:         230
        .size:           2
        .value_kind:     hidden_remainder_z
      - .offset:         248
        .size:           8
        .value_kind:     hidden_global_offset_x
      - .offset:         256
        .size:           8
        .value_kind:     hidden_global_offset_y
      - .offset:         264
        .size:           8
        .value_kind:     hidden_global_offset_z
      - .offset:         272
        .size:           2
        .value_kind:     hidden_grid_dims
    .group_segment_fixed_size: 27648
    .kernarg_segment_align: 8
    .kernarg_segment_size: 464
    .language:       OpenCL C
    .language_version:
      - 2
      - 0
    .max_flat_workgroup_size: 256
    .name:           _ZL15flash_attn_tileILi512ELi512ELi2ELi8ELb1EEvPKcS1_S1_S1_S1_PKiPfP15HIP_vector_typeIfLj2EEffffjfiS5_IjLj3EEiiiiiiiiiiiliiliiiiil
    .private_segment_fixed_size: 0
    .sgpr_count:     46
    .sgpr_spill_count: 0
    .symbol:         _ZL15flash_attn_tileILi512ELi512ELi2ELi8ELb1EEvPKcS1_S1_S1_S1_PKiPfP15HIP_vector_typeIfLj2EEffffjfiS5_IjLj3EEiiiiiiiiiiiliiliiiiil.kd
    .uniform_work_group_size: 1
    .uses_dynamic_stack: false
    .vgpr_count:     105
    .vgpr_spill_count: 0
    .wavefront_size: 64
  - .agpr_count:     0
    .args:
      - .address_space:  global
        .offset:         0
        .size:           8
        .value_kind:     global_buffer
      - .address_space:  global
        .offset:         8
        .size:           8
        .value_kind:     global_buffer
      - .address_space:  global
        .offset:         16
        .size:           8
        .value_kind:     global_buffer
      - .address_space:  global
        .offset:         24
        .size:           8
        .value_kind:     global_buffer
      - .address_space:  global
        .offset:         32
        .size:           8
        .value_kind:     global_buffer
      - .address_space:  global
        .offset:         40
        .size:           8
        .value_kind:     global_buffer
      - .address_space:  global
        .offset:         48
        .size:           8
        .value_kind:     global_buffer
      - .address_space:  global
        .offset:         56
        .size:           8
        .value_kind:     global_buffer
      - .offset:         64
        .size:           4
        .value_kind:     by_value
      - .offset:         68
        .size:           4
        .value_kind:     by_value
      - .offset:         72
        .size:           4
        .value_kind:     by_value
      - .offset:         76
        .size:           4
        .value_kind:     by_value
      - .offset:         80
        .size:           4
        .value_kind:     by_value
      - .offset:         84
        .size:           4
        .value_kind:     by_value
      - .offset:         88
        .size:           4
        .value_kind:     by_value
      - .offset:         92
        .size:           12
        .value_kind:     by_value
      - .offset:         104
        .size:           4
        .value_kind:     by_value
      - .offset:         108
        .size:           4
        .value_kind:     by_value
      - .offset:         112
        .size:           4
        .value_kind:     by_value
      - .offset:         116
        .size:           4
        .value_kind:     by_value
      - .offset:         120
        .size:           4
        .value_kind:     by_value
      - .offset:         124
        .size:           4
        .value_kind:     by_value
      - .offset:         128
        .size:           4
        .value_kind:     by_value
      - .offset:         132
        .size:           4
        .value_kind:     by_value
      - .offset:         136
        .size:           4
        .value_kind:     by_value
      - .offset:         140
        .size:           4
        .value_kind:     by_value
      - .offset:         144
        .size:           4
        .value_kind:     by_value
      - .offset:         152
        .size:           8
        .value_kind:     by_value
      - .offset:         160
        .size:           4
        .value_kind:     by_value
      - .offset:         164
        .size:           4
        .value_kind:     by_value
      - .offset:         168
        .size:           8
        .value_kind:     by_value
      - .offset:         176
        .size:           4
        .value_kind:     by_value
      - .offset:         180
        .size:           4
        .value_kind:     by_value
      - .offset:         184
        .size:           4
        .value_kind:     by_value
      - .offset:         188
        .size:           4
        .value_kind:     by_value
      - .offset:         192
        .size:           4
        .value_kind:     by_value
      - .offset:         200
        .size:           8
        .value_kind:     by_value
      - .offset:         208
        .size:           4
        .value_kind:     hidden_block_count_x
      - .offset:         212
        .size:           4
        .value_kind:     hidden_block_count_y
      - .offset:         216
        .size:           4
        .value_kind:     hidden_block_count_z
      - .offset:         220
        .size:           2
        .value_kind:     hidden_group_size_x
      - .offset:         222
        .size:           2
        .value_kind:     hidden_group_size_y
      - .offset:         224
        .size:           2
        .value_kind:     hidden_group_size_z
      - .offset:         226
        .size:           2
        .value_kind:     hidden_remainder_x
      - .offset:         228
        .size:           2
        .value_kind:     hidden_remainder_y
      - .offset:         230
        .size:           2
        .value_kind:     hidden_remainder_z
      - .offset:         248
        .size:           8
        .value_kind:     hidden_global_offset_x
      - .offset:         256
        .size:           8
        .value_kind:     hidden_global_offset_y
      - .offset:         264
        .size:           8
        .value_kind:     hidden_global_offset_z
      - .offset:         272
        .size:           2
        .value_kind:     hidden_grid_dims
    .group_segment_fixed_size: 18432
    .kernarg_segment_align: 8
    .kernarg_segment_size: 464
    .language:       OpenCL C
    .language_version:
      - 2
      - 0
    .max_flat_workgroup_size: 256
    .name:           _ZL15flash_attn_tileILi512ELi512ELi1ELi8ELb1EEvPKcS1_S1_S1_S1_PKiPfP15HIP_vector_typeIfLj2EEffffjfiS5_IjLj3EEiiiiiiiiiiiliiliiiiil
    .private_segment_fixed_size: 0
    .sgpr_count:     46
    .sgpr_spill_count: 0
    .symbol:         _ZL15flash_attn_tileILi512ELi512ELi1ELi8ELb1EEvPKcS1_S1_S1_S1_PKiPfP15HIP_vector_typeIfLj2EEffffjfiS5_IjLj3EEiiiiiiiiiiiliiliiiiil.kd
    .uniform_work_group_size: 1
    .uses_dynamic_stack: false
    .vgpr_count:     93
    .vgpr_spill_count: 0
    .wavefront_size: 64
  - .agpr_count:     0
    .args:
      - .address_space:  global
        .offset:         0
        .size:           8
        .value_kind:     global_buffer
      - .address_space:  global
        .offset:         8
        .size:           8
        .value_kind:     global_buffer
      - .address_space:  global
        .offset:         16
        .size:           8
        .value_kind:     global_buffer
      - .address_space:  global
        .offset:         24
        .size:           8
        .value_kind:     global_buffer
      - .address_space:  global
        .offset:         32
        .size:           8
        .value_kind:     global_buffer
      - .address_space:  global
        .offset:         40
        .size:           8
        .value_kind:     global_buffer
      - .address_space:  global
        .offset:         48
        .size:           8
        .value_kind:     global_buffer
      - .address_space:  global
        .offset:         56
        .size:           8
        .value_kind:     global_buffer
      - .offset:         64
        .size:           4
        .value_kind:     by_value
      - .offset:         68
        .size:           4
        .value_kind:     by_value
      - .offset:         72
        .size:           4
        .value_kind:     by_value
      - .offset:         76
        .size:           4
        .value_kind:     by_value
      - .offset:         80
        .size:           4
        .value_kind:     by_value
      - .offset:         84
        .size:           4
        .value_kind:     by_value
      - .offset:         88
        .size:           4
        .value_kind:     by_value
      - .offset:         92
        .size:           12
        .value_kind:     by_value
      - .offset:         104
        .size:           4
        .value_kind:     by_value
      - .offset:         108
        .size:           4
        .value_kind:     by_value
      - .offset:         112
        .size:           4
        .value_kind:     by_value
      - .offset:         116
        .size:           4
        .value_kind:     by_value
      - .offset:         120
        .size:           4
        .value_kind:     by_value
      - .offset:         124
        .size:           4
        .value_kind:     by_value
      - .offset:         128
        .size:           4
        .value_kind:     by_value
      - .offset:         132
        .size:           4
        .value_kind:     by_value
      - .offset:         136
        .size:           4
        .value_kind:     by_value
      - .offset:         140
        .size:           4
        .value_kind:     by_value
      - .offset:         144
        .size:           4
        .value_kind:     by_value
      - .offset:         152
        .size:           8
        .value_kind:     by_value
      - .offset:         160
        .size:           4
        .value_kind:     by_value
      - .offset:         164
        .size:           4
        .value_kind:     by_value
      - .offset:         168
        .size:           8
        .value_kind:     by_value
      - .offset:         176
        .size:           4
        .value_kind:     by_value
      - .offset:         180
        .size:           4
        .value_kind:     by_value
      - .offset:         184
        .size:           4
        .value_kind:     by_value
      - .offset:         188
        .size:           4
        .value_kind:     by_value
      - .offset:         192
        .size:           4
        .value_kind:     by_value
      - .offset:         200
        .size:           8
        .value_kind:     by_value
      - .offset:         208
        .size:           4
        .value_kind:     hidden_block_count_x
      - .offset:         212
        .size:           4
        .value_kind:     hidden_block_count_y
      - .offset:         216
        .size:           4
        .value_kind:     hidden_block_count_z
      - .offset:         220
        .size:           2
        .value_kind:     hidden_group_size_x
      - .offset:         222
        .size:           2
        .value_kind:     hidden_group_size_y
      - .offset:         224
        .size:           2
        .value_kind:     hidden_group_size_z
      - .offset:         226
        .size:           2
        .value_kind:     hidden_remainder_x
      - .offset:         228
        .size:           2
        .value_kind:     hidden_remainder_y
      - .offset:         230
        .size:           2
        .value_kind:     hidden_remainder_z
      - .offset:         248
        .size:           8
        .value_kind:     hidden_global_offset_x
      - .offset:         256
        .size:           8
        .value_kind:     hidden_global_offset_y
      - .offset:         264
        .size:           8
        .value_kind:     hidden_global_offset_z
      - .offset:         272
        .size:           2
        .value_kind:     hidden_grid_dims
    .group_segment_fixed_size: 59392
    .kernarg_segment_align: 8
    .kernarg_segment_size: 464
    .language:       OpenCL C
    .language_version:
      - 2
      - 0
    .max_flat_workgroup_size: 512
    .name:           _ZL15flash_attn_tileILi512ELi512ELi8ELi4ELb1EEvPKcS1_S1_S1_S1_PKiPfP15HIP_vector_typeIfLj2EEffffjfiS5_IjLj3EEiiiiiiiiiiiliiliiiiil
    .private_segment_fixed_size: 0
    .sgpr_count:     46
    .sgpr_spill_count: 0
    .symbol:         _ZL15flash_attn_tileILi512ELi512ELi8ELi4ELb1EEvPKcS1_S1_S1_S1_PKiPfP15HIP_vector_typeIfLj2EEffffjfiS5_IjLj3EEiiiiiiiiiiiliiliiiiil.kd
    .uniform_work_group_size: 1
    .uses_dynamic_stack: false
    .vgpr_count:     108
    .vgpr_spill_count: 0
    .wavefront_size: 64
  - .agpr_count:     0
    .args:
      - .address_space:  global
        .offset:         0
        .size:           8
        .value_kind:     global_buffer
      - .address_space:  global
        .offset:         8
        .size:           8
        .value_kind:     global_buffer
      - .address_space:  global
        .offset:         16
        .size:           8
        .value_kind:     global_buffer
      - .address_space:  global
        .offset:         24
        .size:           8
        .value_kind:     global_buffer
      - .address_space:  global
        .offset:         32
        .size:           8
        .value_kind:     global_buffer
      - .address_space:  global
        .offset:         40
        .size:           8
        .value_kind:     global_buffer
      - .address_space:  global
        .offset:         48
        .size:           8
        .value_kind:     global_buffer
      - .address_space:  global
        .offset:         56
        .size:           8
        .value_kind:     global_buffer
      - .offset:         64
        .size:           4
        .value_kind:     by_value
      - .offset:         68
        .size:           4
        .value_kind:     by_value
      - .offset:         72
        .size:           4
        .value_kind:     by_value
      - .offset:         76
        .size:           4
        .value_kind:     by_value
      - .offset:         80
        .size:           4
        .value_kind:     by_value
      - .offset:         84
        .size:           4
        .value_kind:     by_value
      - .offset:         88
        .size:           4
        .value_kind:     by_value
      - .offset:         92
        .size:           12
        .value_kind:     by_value
      - .offset:         104
        .size:           4
        .value_kind:     by_value
      - .offset:         108
        .size:           4
        .value_kind:     by_value
      - .offset:         112
        .size:           4
        .value_kind:     by_value
      - .offset:         116
        .size:           4
        .value_kind:     by_value
      - .offset:         120
        .size:           4
        .value_kind:     by_value
      - .offset:         124
        .size:           4
        .value_kind:     by_value
      - .offset:         128
        .size:           4
        .value_kind:     by_value
      - .offset:         132
        .size:           4
        .value_kind:     by_value
      - .offset:         136
        .size:           4
        .value_kind:     by_value
      - .offset:         140
        .size:           4
        .value_kind:     by_value
      - .offset:         144
        .size:           4
        .value_kind:     by_value
      - .offset:         152
        .size:           8
        .value_kind:     by_value
      - .offset:         160
        .size:           4
        .value_kind:     by_value
      - .offset:         164
        .size:           4
        .value_kind:     by_value
      - .offset:         168
        .size:           8
        .value_kind:     by_value
      - .offset:         176
        .size:           4
        .value_kind:     by_value
      - .offset:         180
        .size:           4
        .value_kind:     by_value
      - .offset:         184
        .size:           4
        .value_kind:     by_value
      - .offset:         188
        .size:           4
        .value_kind:     by_value
      - .offset:         192
        .size:           4
        .value_kind:     by_value
      - .offset:         200
        .size:           8
        .value_kind:     by_value
      - .offset:         208
        .size:           4
        .value_kind:     hidden_block_count_x
      - .offset:         212
        .size:           4
        .value_kind:     hidden_block_count_y
      - .offset:         216
        .size:           4
        .value_kind:     hidden_block_count_z
      - .offset:         220
        .size:           2
        .value_kind:     hidden_group_size_x
      - .offset:         222
        .size:           2
        .value_kind:     hidden_group_size_y
      - .offset:         224
        .size:           2
        .value_kind:     hidden_group_size_z
      - .offset:         226
        .size:           2
        .value_kind:     hidden_remainder_x
      - .offset:         228
        .size:           2
        .value_kind:     hidden_remainder_y
      - .offset:         230
        .size:           2
        .value_kind:     hidden_remainder_z
      - .offset:         248
        .size:           8
        .value_kind:     hidden_global_offset_x
      - .offset:         256
        .size:           8
        .value_kind:     hidden_global_offset_y
      - .offset:         264
        .size:           8
        .value_kind:     hidden_global_offset_z
      - .offset:         272
        .size:           2
        .value_kind:     hidden_grid_dims
    .group_segment_fixed_size: 27648
    .kernarg_segment_align: 8
    .kernarg_segment_size: 464
    .language:       OpenCL C
    .language_version:
      - 2
      - 0
    .max_flat_workgroup_size: 256
    .name:           _ZL15flash_attn_tileILi512ELi512ELi4ELi4ELb1EEvPKcS1_S1_S1_S1_PKiPfP15HIP_vector_typeIfLj2EEffffjfiS5_IjLj3EEiiiiiiiiiiiliiliiiiil
    .private_segment_fixed_size: 0
    .sgpr_count:     46
    .sgpr_spill_count: 0
    .symbol:         _ZL15flash_attn_tileILi512ELi512ELi4ELi4ELb1EEvPKcS1_S1_S1_S1_PKiPfP15HIP_vector_typeIfLj2EEffffjfiS5_IjLj3EEiiiiiiiiiiiliiliiiiil.kd
    .uniform_work_group_size: 1
    .uses_dynamic_stack: false
    .vgpr_count:     105
    .vgpr_spill_count: 0
    .wavefront_size: 64
  - .agpr_count:     0
    .args:
      - .address_space:  global
        .offset:         0
        .size:           8
        .value_kind:     global_buffer
      - .address_space:  global
        .offset:         8
        .size:           8
        .value_kind:     global_buffer
      - .address_space:  global
        .offset:         16
        .size:           8
        .value_kind:     global_buffer
      - .address_space:  global
        .offset:         24
        .size:           8
        .value_kind:     global_buffer
      - .address_space:  global
        .offset:         32
        .size:           8
        .value_kind:     global_buffer
      - .address_space:  global
        .offset:         40
        .size:           8
        .value_kind:     global_buffer
      - .address_space:  global
        .offset:         48
        .size:           8
        .value_kind:     global_buffer
      - .address_space:  global
        .offset:         56
        .size:           8
        .value_kind:     global_buffer
      - .offset:         64
        .size:           4
        .value_kind:     by_value
      - .offset:         68
        .size:           4
        .value_kind:     by_value
      - .offset:         72
        .size:           4
        .value_kind:     by_value
      - .offset:         76
        .size:           4
        .value_kind:     by_value
      - .offset:         80
        .size:           4
        .value_kind:     by_value
      - .offset:         84
        .size:           4
        .value_kind:     by_value
      - .offset:         88
        .size:           4
        .value_kind:     by_value
      - .offset:         92
        .size:           12
        .value_kind:     by_value
      - .offset:         104
        .size:           4
        .value_kind:     by_value
      - .offset:         108
        .size:           4
        .value_kind:     by_value
      - .offset:         112
        .size:           4
        .value_kind:     by_value
      - .offset:         116
        .size:           4
        .value_kind:     by_value
      - .offset:         120
        .size:           4
        .value_kind:     by_value
      - .offset:         124
        .size:           4
        .value_kind:     by_value
      - .offset:         128
        .size:           4
        .value_kind:     by_value
      - .offset:         132
        .size:           4
        .value_kind:     by_value
      - .offset:         136
        .size:           4
        .value_kind:     by_value
      - .offset:         140
        .size:           4
        .value_kind:     by_value
      - .offset:         144
        .size:           4
        .value_kind:     by_value
      - .offset:         152
        .size:           8
        .value_kind:     by_value
      - .offset:         160
        .size:           4
        .value_kind:     by_value
      - .offset:         164
        .size:           4
        .value_kind:     by_value
      - .offset:         168
        .size:           8
        .value_kind:     by_value
      - .offset:         176
        .size:           4
        .value_kind:     by_value
      - .offset:         180
        .size:           4
        .value_kind:     by_value
      - .offset:         184
        .size:           4
        .value_kind:     by_value
      - .offset:         188
        .size:           4
        .value_kind:     by_value
      - .offset:         192
        .size:           4
        .value_kind:     by_value
      - .offset:         200
        .size:           8
        .value_kind:     by_value
      - .offset:         208
        .size:           4
        .value_kind:     hidden_block_count_x
      - .offset:         212
        .size:           4
        .value_kind:     hidden_block_count_y
      - .offset:         216
        .size:           4
        .value_kind:     hidden_block_count_z
      - .offset:         220
        .size:           2
        .value_kind:     hidden_group_size_x
      - .offset:         222
        .size:           2
        .value_kind:     hidden_group_size_y
      - .offset:         224
        .size:           2
        .value_kind:     hidden_group_size_z
      - .offset:         226
        .size:           2
        .value_kind:     hidden_remainder_x
      - .offset:         228
        .size:           2
        .value_kind:     hidden_remainder_y
      - .offset:         230
        .size:           2
        .value_kind:     hidden_remainder_z
      - .offset:         248
        .size:           8
        .value_kind:     hidden_global_offset_x
      - .offset:         256
        .size:           8
        .value_kind:     hidden_global_offset_y
      - .offset:         264
        .size:           8
        .value_kind:     hidden_global_offset_z
      - .offset:         272
        .size:           2
        .value_kind:     hidden_grid_dims
    .group_segment_fixed_size: 18432
    .kernarg_segment_align: 8
    .kernarg_segment_size: 464
    .language:       OpenCL C
    .language_version:
      - 2
      - 0
    .max_flat_workgroup_size: 256
    .name:           _ZL15flash_attn_tileILi512ELi512ELi2ELi4ELb1EEvPKcS1_S1_S1_S1_PKiPfP15HIP_vector_typeIfLj2EEffffjfiS5_IjLj3EEiiiiiiiiiiiliiliiiiil
    .private_segment_fixed_size: 0
    .sgpr_count:     46
    .sgpr_spill_count: 0
    .symbol:         _ZL15flash_attn_tileILi512ELi512ELi2ELi4ELb1EEvPKcS1_S1_S1_S1_PKiPfP15HIP_vector_typeIfLj2EEffffjfiS5_IjLj3EEiiiiiiiiiiiliiliiiiil.kd
    .uniform_work_group_size: 1
    .uses_dynamic_stack: false
    .vgpr_count:     93
    .vgpr_spill_count: 0
    .wavefront_size: 64
  - .agpr_count:     0
    .args:
      - .address_space:  global
        .offset:         0
        .size:           8
        .value_kind:     global_buffer
      - .address_space:  global
        .offset:         8
        .size:           8
        .value_kind:     global_buffer
      - .address_space:  global
        .offset:         16
        .size:           8
        .value_kind:     global_buffer
      - .address_space:  global
        .offset:         24
        .size:           8
        .value_kind:     global_buffer
      - .address_space:  global
        .offset:         32
        .size:           8
        .value_kind:     global_buffer
      - .address_space:  global
        .offset:         40
        .size:           8
        .value_kind:     global_buffer
      - .address_space:  global
        .offset:         48
        .size:           8
        .value_kind:     global_buffer
      - .address_space:  global
        .offset:         56
        .size:           8
        .value_kind:     global_buffer
      - .offset:         64
        .size:           4
        .value_kind:     by_value
      - .offset:         68
        .size:           4
        .value_kind:     by_value
      - .offset:         72
        .size:           4
        .value_kind:     by_value
      - .offset:         76
        .size:           4
        .value_kind:     by_value
      - .offset:         80
        .size:           4
        .value_kind:     by_value
      - .offset:         84
        .size:           4
        .value_kind:     by_value
      - .offset:         88
        .size:           4
        .value_kind:     by_value
      - .offset:         92
        .size:           12
        .value_kind:     by_value
      - .offset:         104
        .size:           4
        .value_kind:     by_value
      - .offset:         108
        .size:           4
        .value_kind:     by_value
      - .offset:         112
        .size:           4
        .value_kind:     by_value
      - .offset:         116
        .size:           4
        .value_kind:     by_value
      - .offset:         120
        .size:           4
        .value_kind:     by_value
      - .offset:         124
        .size:           4
        .value_kind:     by_value
      - .offset:         128
        .size:           4
        .value_kind:     by_value
      - .offset:         132
        .size:           4
        .value_kind:     by_value
      - .offset:         136
        .size:           4
        .value_kind:     by_value
      - .offset:         140
        .size:           4
        .value_kind:     by_value
      - .offset:         144
        .size:           4
        .value_kind:     by_value
      - .offset:         152
        .size:           8
        .value_kind:     by_value
      - .offset:         160
        .size:           4
        .value_kind:     by_value
      - .offset:         164
        .size:           4
        .value_kind:     by_value
      - .offset:         168
        .size:           8
        .value_kind:     by_value
      - .offset:         176
        .size:           4
        .value_kind:     by_value
      - .offset:         180
        .size:           4
        .value_kind:     by_value
      - .offset:         184
        .size:           4
        .value_kind:     by_value
      - .offset:         188
        .size:           4
        .value_kind:     by_value
      - .offset:         192
        .size:           4
        .value_kind:     by_value
      - .offset:         200
        .size:           8
        .value_kind:     by_value
      - .offset:         208
        .size:           4
        .value_kind:     hidden_block_count_x
      - .offset:         212
        .size:           4
        .value_kind:     hidden_block_count_y
      - .offset:         216
        .size:           4
        .value_kind:     hidden_block_count_z
      - .offset:         220
        .size:           2
        .value_kind:     hidden_group_size_x
      - .offset:         222
        .size:           2
        .value_kind:     hidden_group_size_y
      - .offset:         224
        .size:           2
        .value_kind:     hidden_group_size_z
      - .offset:         226
        .size:           2
        .value_kind:     hidden_remainder_x
      - .offset:         228
        .size:           2
        .value_kind:     hidden_remainder_y
      - .offset:         230
        .size:           2
        .value_kind:     hidden_remainder_z
      - .offset:         248
        .size:           8
        .value_kind:     hidden_global_offset_x
      - .offset:         256
        .size:           8
        .value_kind:     hidden_global_offset_y
      - .offset:         264
        .size:           8
        .value_kind:     hidden_global_offset_z
      - .offset:         272
        .size:           2
        .value_kind:     hidden_grid_dims
    .group_segment_fixed_size: 13824
    .kernarg_segment_align: 8
    .kernarg_segment_size: 464
    .language:       OpenCL C
    .language_version:
      - 2
      - 0
    .max_flat_workgroup_size: 128
    .name:           _ZL15flash_attn_tileILi512ELi512ELi1ELi4ELb1EEvPKcS1_S1_S1_S1_PKiPfP15HIP_vector_typeIfLj2EEffffjfiS5_IjLj3EEiiiiiiiiiiiliiliiiiil
    .private_segment_fixed_size: 0
    .sgpr_count:     47
    .sgpr_spill_count: 0
    .symbol:         _ZL15flash_attn_tileILi512ELi512ELi1ELi4ELb1EEvPKcS1_S1_S1_S1_PKiPfP15HIP_vector_typeIfLj2EEffffjfiS5_IjLj3EEiiiiiiiiiiiliiliiiiil.kd
    .uniform_work_group_size: 1
    .uses_dynamic_stack: false
    .vgpr_count:     113
    .vgpr_spill_count: 0
    .wavefront_size: 64
amdhsa.target:   amdgcn-amd-amdhsa--gfx950
amdhsa.version:
  - 1
  - 2
...

	.end_amdgpu_metadata
